;; amdgpu-corpus repo=pytorch/pytorch kind=compiled arch=gfx906 opt=O3
	.amdgcn_target "amdgcn-amd-amdhsa--gfx906"
	.amdhsa_code_object_version 6
	.section	.text._ZN2at6native16triu_tril_kernelIhiLb0ELi4ELb1EEEvNS_4cuda6detail10TensorInfoIT_T0_EENS4_IKS5_S6_EEllS6_,"axG",@progbits,_ZN2at6native16triu_tril_kernelIhiLb0ELi4ELb1EEEvNS_4cuda6detail10TensorInfoIT_T0_EENS4_IKS5_S6_EEllS6_,comdat
	.protected	_ZN2at6native16triu_tril_kernelIhiLb0ELi4ELb1EEEvNS_4cuda6detail10TensorInfoIT_T0_EENS4_IKS5_S6_EEllS6_ ; -- Begin function _ZN2at6native16triu_tril_kernelIhiLb0ELi4ELb1EEEvNS_4cuda6detail10TensorInfoIT_T0_EENS4_IKS5_S6_EEllS6_
	.globl	_ZN2at6native16triu_tril_kernelIhiLb0ELi4ELb1EEEvNS_4cuda6detail10TensorInfoIT_T0_EENS4_IKS5_S6_EEllS6_
	.p2align	8
	.type	_ZN2at6native16triu_tril_kernelIhiLb0ELi4ELb1EEEvNS_4cuda6detail10TensorInfoIT_T0_EENS4_IKS5_S6_EEllS6_,@function
_ZN2at6native16triu_tril_kernelIhiLb0ELi4ELb1EEEvNS_4cuda6detail10TensorInfoIT_T0_EENS4_IKS5_S6_EEllS6_: ; @_ZN2at6native16triu_tril_kernelIhiLb0ELi4ELb1EEEvNS_4cuda6detail10TensorInfoIT_T0_EENS4_IKS5_S6_EEllS6_
; %bb.0:
	s_load_dword s2, s[4:5], 0x1d4
	s_load_dwordx4 s[8:11], s[4:5], 0x1b0
	s_add_u32 s0, s4, 0x1c8
	v_mov_b32_e32 v2, 0
	s_addc_u32 s1, s5, 0
	s_waitcnt lgkmcnt(0)
	s_and_b32 s7, s2, 0xffff
	v_mov_b32_e32 v1, v2
	v_mov_b32_e32 v3, s6
	v_mad_u64_u32 v[0:1], s[2:3], s7, v3, v[0:1]
	v_lshlrev_b64 v[0:1], 2, v[0:1]
	v_cmp_gt_i64_e32 vcc, s[10:11], v[0:1]
	s_and_saveexec_b64 s[2:3], vcc
	s_cbranch_execz .LBB0_69
; %bb.1:
	s_load_dword s33, s[4:5], 0x1c0
	s_load_dword s16, s[4:5], 0x1a8
	s_add_u32 s42, s4, 0xd8
	s_addc_u32 s43, s5, 0
	s_load_dword s6, s[0:1], 0x0
	s_waitcnt lgkmcnt(0)
	s_ashr_i32 s44, s33, 31
	s_ashr_i32 s17, s16, 31
	s_lshl_b64 s[0:1], s[16:17], 2
	s_add_u32 s2, s42, s0
	s_addc_u32 s3, s43, s1
	s_load_dword s45, s[2:3], 0x0
	s_load_dwordx2 s[12:13], s[4:5], 0x0
	s_mul_i32 s18, s6, s7
	v_cmp_gt_i64_e64 s[6:7], s[16:17], 2
	s_mov_b32 s17, 0
	s_waitcnt lgkmcnt(0)
	s_ashr_i32 s46, s45, 31
	s_add_u32 s14, s4, s0
	s_addc_u32 s15, s5, s1
	s_add_i32 s0, s16, 6
	s_add_i32 s47, s16, -3
	s_lshl_b32 s48, s18, 2
	s_and_b32 s49, s0, 7
	s_and_b32 s0, s16, 7
	s_cmp_lg_u32 s0, 2
	s_cselect_b64 s[18:19], -1, 0
	s_cmp_gt_u32 s47, 6
	s_cselect_b64 s[20:21], -1, 0
	s_mov_b64 s[22:23], 0
	s_ashr_i32 s24, s44, 31
	s_branch .LBB0_3
.LBB0_2:                                ;   in Loop: Header=BB0_3 Depth=1
	s_or_b64 exec, exec, s[26:27]
	v_add_co_u32_e32 v0, vcc, s48, v0
	v_addc_co_u32_e32 v1, vcc, 0, v1, vcc
	v_cmp_le_i64_e32 vcc, s[10:11], v[0:1]
	s_or_b64 s[22:23], vcc, s[22:23]
	s_andn2_b64 exec, exec, s[22:23]
	s_cbranch_execz .LBB0_69
.LBB0_3:                                ; =>This Loop Header: Depth=1
                                        ;     Child Loop BB0_14 Depth 2
                                        ;     Child Loop BB0_23 Depth 2
	v_or_b32_e32 v3, s44, v1
	v_cmp_ne_u64_e32 vcc, 0, v[2:3]
                                        ; implicit-def: $vgpr4_vgpr5
	s_and_saveexec_b64 s[0:1], vcc
	s_xor_b64 s[26:27], exec, s[0:1]
	s_cbranch_execz .LBB0_5
; %bb.4:                                ;   in Loop: Header=BB0_3 Depth=1
	s_add_u32 s0, s33, s24
	s_mov_b32 s25, s24
	s_addc_u32 s1, s44, s24
	s_xor_b64 s[28:29], s[0:1], s[24:25]
	v_cvt_f32_u32_e32 v3, s28
	v_cvt_f32_u32_e32 v4, s29
	s_sub_u32 s16, 0, s28
	s_subb_u32 s25, 0, s29
	v_ashrrev_i32_e32 v7, 31, v1
	v_mac_f32_e32 v3, 0x4f800000, v4
	v_rcp_f32_e32 v3, v3
	v_mul_f32_e32 v3, 0x5f7ffffc, v3
	v_mul_f32_e32 v4, 0x2f800000, v3
	v_trunc_f32_e32 v4, v4
	v_mac_f32_e32 v3, 0xcf800000, v4
	v_cvt_u32_f32_e32 v4, v4
	v_cvt_u32_f32_e32 v3, v3
	v_readfirstlane_b32 s30, v4
	v_readfirstlane_b32 s0, v3
	s_mul_i32 s1, s16, s30
	s_mul_hi_u32 s34, s16, s0
	s_mul_i32 s31, s25, s0
	s_add_i32 s1, s34, s1
	s_add_i32 s1, s1, s31
	s_mul_i32 s35, s16, s0
	s_mul_i32 s34, s0, s1
	s_mul_hi_u32 s36, s0, s35
	s_mul_hi_u32 s31, s0, s1
	s_add_u32 s34, s36, s34
	s_addc_u32 s31, 0, s31
	s_mul_hi_u32 s37, s30, s35
	s_mul_i32 s35, s30, s35
	s_add_u32 s34, s34, s35
	s_mul_hi_u32 s36, s30, s1
	s_addc_u32 s31, s31, s37
	s_addc_u32 s34, s36, 0
	s_mul_i32 s1, s30, s1
	s_add_u32 s1, s31, s1
	s_addc_u32 s31, 0, s34
	s_add_u32 s34, s0, s1
	s_cselect_b64 s[0:1], -1, 0
	s_cmp_lg_u64 s[0:1], 0
	s_addc_u32 s30, s30, s31
	s_mul_i32 s0, s16, s30
	s_mul_hi_u32 s1, s16, s34
	s_add_i32 s0, s1, s0
	s_mul_i32 s25, s25, s34
	s_add_i32 s0, s0, s25
	s_mul_i32 s16, s16, s34
	s_mul_hi_u32 s25, s30, s16
	s_mul_i32 s31, s30, s16
	s_mul_i32 s36, s34, s0
	s_mul_hi_u32 s16, s34, s16
	s_mul_hi_u32 s35, s34, s0
	s_add_u32 s16, s16, s36
	s_addc_u32 s35, 0, s35
	s_add_u32 s16, s16, s31
	s_mul_hi_u32 s1, s30, s0
	s_addc_u32 s16, s35, s25
	s_addc_u32 s1, s1, 0
	s_mul_i32 s0, s30, s0
	s_add_u32 s0, s16, s0
	s_addc_u32 s16, 0, s1
	s_add_u32 s25, s34, s0
	s_cselect_b64 s[0:1], -1, 0
	s_cmp_lg_u64 s[0:1], 0
	v_add_co_u32_e32 v3, vcc, v0, v7
	s_addc_u32 s16, s30, s16
	v_xor_b32_e32 v8, v3, v7
	v_mad_u64_u32 v[3:4], s[0:1], v8, s16, 0
	v_mul_hi_u32 v6, v8, s25
	v_addc_co_u32_e32 v5, vcc, v1, v7, vcc
	v_xor_b32_e32 v9, v5, v7
	v_add_co_u32_e32 v10, vcc, v6, v3
	v_addc_co_u32_e32 v11, vcc, 0, v4, vcc
	v_mad_u64_u32 v[3:4], s[0:1], v9, s25, 0
	v_mad_u64_u32 v[5:6], s[0:1], v9, s16, 0
	v_add_co_u32_e32 v3, vcc, v10, v3
	v_addc_co_u32_e32 v3, vcc, v11, v4, vcc
	v_addc_co_u32_e32 v4, vcc, 0, v6, vcc
	v_add_co_u32_e32 v5, vcc, v3, v5
	v_addc_co_u32_e32 v6, vcc, 0, v4, vcc
	v_mul_lo_u32 v10, s29, v5
	v_mul_lo_u32 v11, s28, v6
	v_mad_u64_u32 v[3:4], s[0:1], s28, v5, 0
	v_add3_u32 v4, v4, v11, v10
	v_sub_u32_e32 v10, v9, v4
	v_mov_b32_e32 v11, s29
	v_sub_co_u32_e32 v3, vcc, v8, v3
	v_subb_co_u32_e64 v8, s[0:1], v10, v11, vcc
	v_subrev_co_u32_e64 v10, s[0:1], s28, v3
	v_subbrev_co_u32_e64 v8, s[0:1], 0, v8, s[0:1]
	v_cmp_le_u32_e64 s[0:1], s29, v8
	v_cndmask_b32_e64 v11, 0, -1, s[0:1]
	v_cmp_le_u32_e64 s[0:1], s28, v10
	v_cndmask_b32_e64 v10, 0, -1, s[0:1]
	v_cmp_eq_u32_e64 s[0:1], s29, v8
	v_cndmask_b32_e64 v8, v11, v10, s[0:1]
	v_add_co_u32_e64 v10, s[0:1], 2, v5
	v_subb_co_u32_e32 v4, vcc, v9, v4, vcc
	v_addc_co_u32_e64 v11, s[0:1], 0, v6, s[0:1]
	v_cmp_le_u32_e32 vcc, s29, v4
	v_add_co_u32_e64 v12, s[0:1], 1, v5
	v_cndmask_b32_e64 v9, 0, -1, vcc
	v_cmp_le_u32_e32 vcc, s28, v3
	v_addc_co_u32_e64 v13, s[0:1], 0, v6, s[0:1]
	v_cndmask_b32_e64 v3, 0, -1, vcc
	v_cmp_eq_u32_e32 vcc, s29, v4
	v_cmp_ne_u32_e64 s[0:1], 0, v8
	v_cndmask_b32_e32 v3, v9, v3, vcc
	v_cmp_ne_u32_e32 vcc, 0, v3
	v_cndmask_b32_e64 v4, v12, v10, s[0:1]
	v_cndmask_b32_e64 v8, v13, v11, s[0:1]
	v_cndmask_b32_e32 v4, v5, v4, vcc
	v_xor_b32_e32 v5, s24, v7
	v_cndmask_b32_e32 v3, v6, v8, vcc
	v_xor_b32_e32 v4, v4, v5
	v_xor_b32_e32 v3, v3, v5
	v_sub_co_u32_e32 v4, vcc, v4, v5
	v_subb_co_u32_e32 v5, vcc, v3, v5, vcc
.LBB0_5:                                ;   in Loop: Header=BB0_3 Depth=1
	s_andn2_saveexec_b64 s[0:1], s[26:27]
	s_cbranch_execz .LBB0_7
; %bb.6:                                ;   in Loop: Header=BB0_3 Depth=1
	v_cvt_f32_u32_e32 v3, s33
	s_sub_i32 s16, 0, s33
	v_rcp_iflag_f32_e32 v3, v3
	v_mul_f32_e32 v3, 0x4f7ffffe, v3
	v_cvt_u32_f32_e32 v3, v3
	v_mul_lo_u32 v4, s16, v3
	v_mul_hi_u32 v4, v3, v4
	v_add_u32_e32 v3, v3, v4
	v_mul_hi_u32 v3, v0, v3
	v_mul_lo_u32 v4, v3, s33
	v_add_u32_e32 v5, 1, v3
	v_sub_u32_e32 v4, v0, v4
	v_subrev_u32_e32 v6, s33, v4
	v_cmp_le_u32_e32 vcc, s33, v4
	v_cndmask_b32_e32 v4, v4, v6, vcc
	v_cndmask_b32_e32 v3, v3, v5, vcc
	v_add_u32_e32 v5, 1, v3
	v_cmp_le_u32_e32 vcc, s33, v4
	v_cndmask_b32_e32 v4, v3, v5, vcc
	v_mov_b32_e32 v5, v2
.LBB0_7:                                ;   in Loop: Header=BB0_3 Depth=1
	s_or_b64 exec, exec, s[0:1]
	v_or_b32_e32 v3, s46, v5
	v_cmp_ne_u64_e32 vcc, 0, v[2:3]
                                        ; implicit-def: $vgpr7_vgpr8
	s_and_saveexec_b64 s[0:1], vcc
	s_xor_b64 s[26:27], exec, s[0:1]
	s_cbranch_execz .LBB0_9
; %bb.8:                                ;   in Loop: Header=BB0_3 Depth=1
	s_ashr_i32 s28, s46, 31
	s_add_u32 s0, s45, s28
	s_mov_b32 s29, s28
	s_addc_u32 s1, s46, s28
	s_xor_b64 s[30:31], s[0:1], s[28:29]
	v_cvt_f32_u32_e32 v3, s30
	v_cvt_f32_u32_e32 v6, s31
	s_sub_u32 s16, 0, s30
	s_subb_u32 s25, 0, s31
	v_mac_f32_e32 v3, 0x4f800000, v6
	v_rcp_f32_e32 v3, v3
	v_mul_f32_e32 v3, 0x5f7ffffc, v3
	v_mul_f32_e32 v6, 0x2f800000, v3
	v_trunc_f32_e32 v6, v6
	v_mac_f32_e32 v3, 0xcf800000, v6
	v_cvt_u32_f32_e32 v6, v6
	v_cvt_u32_f32_e32 v3, v3
	v_readfirstlane_b32 s29, v6
	v_readfirstlane_b32 s0, v3
	s_mul_i32 s1, s16, s29
	s_mul_hi_u32 s35, s16, s0
	s_mul_i32 s34, s25, s0
	s_add_i32 s1, s35, s1
	s_add_i32 s1, s1, s34
	s_mul_i32 s36, s16, s0
	s_mul_i32 s35, s0, s1
	s_mul_hi_u32 s37, s0, s36
	s_mul_hi_u32 s34, s0, s1
	s_add_u32 s35, s37, s35
	s_addc_u32 s34, 0, s34
	s_mul_hi_u32 s38, s29, s36
	s_mul_i32 s36, s29, s36
	s_add_u32 s35, s35, s36
	s_mul_hi_u32 s37, s29, s1
	s_addc_u32 s34, s34, s38
	s_addc_u32 s35, s37, 0
	s_mul_i32 s1, s29, s1
	s_add_u32 s1, s34, s1
	s_addc_u32 s34, 0, s35
	s_add_u32 s35, s0, s1
	s_cselect_b64 s[0:1], -1, 0
	s_cmp_lg_u64 s[0:1], 0
	s_addc_u32 s29, s29, s34
	s_mul_i32 s0, s16, s29
	s_mul_hi_u32 s1, s16, s35
	s_add_i32 s0, s1, s0
	s_mul_i32 s25, s25, s35
	s_add_i32 s0, s0, s25
	s_mul_i32 s16, s16, s35
	s_mul_hi_u32 s25, s29, s16
	s_mul_i32 s34, s29, s16
	s_mul_i32 s37, s35, s0
	s_mul_hi_u32 s16, s35, s16
	s_mul_hi_u32 s36, s35, s0
	s_add_u32 s16, s16, s37
	s_addc_u32 s36, 0, s36
	s_add_u32 s16, s16, s34
	s_mul_hi_u32 s1, s29, s0
	s_addc_u32 s16, s36, s25
	s_addc_u32 s1, s1, 0
	s_mul_i32 s0, s29, s0
	s_add_u32 s0, s16, s0
	s_addc_u32 s16, 0, s1
	s_add_u32 s25, s35, s0
	s_cselect_b64 s[0:1], -1, 0
	v_ashrrev_i32_e32 v3, 31, v5
	s_cmp_lg_u64 s[0:1], 0
	v_add_co_u32_e32 v6, vcc, v4, v3
	s_addc_u32 s16, s29, s16
	v_xor_b32_e32 v9, v6, v3
	v_addc_co_u32_e32 v7, vcc, v5, v3, vcc
	v_mad_u64_u32 v[5:6], s[0:1], v9, s16, 0
	v_mul_hi_u32 v8, v9, s25
	v_xor_b32_e32 v10, v7, v3
	v_xor_b32_e32 v3, s28, v3
	v_add_co_u32_e32 v11, vcc, v8, v5
	v_addc_co_u32_e32 v12, vcc, 0, v6, vcc
	v_mad_u64_u32 v[5:6], s[0:1], v10, s25, 0
	v_mad_u64_u32 v[7:8], s[0:1], v10, s16, 0
	v_add_co_u32_e32 v5, vcc, v11, v5
	v_addc_co_u32_e32 v5, vcc, v12, v6, vcc
	v_addc_co_u32_e32 v6, vcc, 0, v8, vcc
	v_add_co_u32_e32 v7, vcc, v5, v7
	v_addc_co_u32_e32 v8, vcc, 0, v6, vcc
	v_mul_lo_u32 v11, s31, v7
	v_mul_lo_u32 v12, s30, v8
	v_mad_u64_u32 v[5:6], s[0:1], s30, v7, 0
	v_add3_u32 v6, v6, v12, v11
	v_sub_u32_e32 v11, v10, v6
	v_mov_b32_e32 v12, s31
	v_sub_co_u32_e32 v5, vcc, v9, v5
	v_subb_co_u32_e64 v9, s[0:1], v11, v12, vcc
	v_subrev_co_u32_e64 v11, s[0:1], s30, v5
	v_subbrev_co_u32_e64 v9, s[0:1], 0, v9, s[0:1]
	v_cmp_le_u32_e64 s[0:1], s31, v9
	v_cndmask_b32_e64 v12, 0, -1, s[0:1]
	v_cmp_le_u32_e64 s[0:1], s30, v11
	v_cndmask_b32_e64 v11, 0, -1, s[0:1]
	v_cmp_eq_u32_e64 s[0:1], s31, v9
	v_cndmask_b32_e64 v9, v12, v11, s[0:1]
	v_add_co_u32_e64 v11, s[0:1], 2, v7
	v_subb_co_u32_e32 v6, vcc, v10, v6, vcc
	v_addc_co_u32_e64 v12, s[0:1], 0, v8, s[0:1]
	v_cmp_le_u32_e32 vcc, s31, v6
	v_add_co_u32_e64 v13, s[0:1], 1, v7
	v_cndmask_b32_e64 v10, 0, -1, vcc
	v_cmp_le_u32_e32 vcc, s30, v5
	v_addc_co_u32_e64 v14, s[0:1], 0, v8, s[0:1]
	v_cndmask_b32_e64 v5, 0, -1, vcc
	v_cmp_eq_u32_e32 vcc, s31, v6
	v_cmp_ne_u32_e64 s[0:1], 0, v9
	v_cndmask_b32_e32 v5, v10, v5, vcc
	v_cmp_ne_u32_e32 vcc, 0, v5
	v_cndmask_b32_e64 v6, v13, v11, s[0:1]
	v_cndmask_b32_e64 v9, v14, v12, s[0:1]
	v_cndmask_b32_e32 v6, v7, v6, vcc
	v_cndmask_b32_e32 v5, v8, v9, vcc
	v_xor_b32_e32 v6, v6, v3
	v_xor_b32_e32 v5, v5, v3
	v_sub_co_u32_e32 v7, vcc, v6, v3
	v_subb_co_u32_e32 v8, vcc, v5, v3, vcc
.LBB0_9:                                ;   in Loop: Header=BB0_3 Depth=1
	s_andn2_saveexec_b64 s[0:1], s[26:27]
	s_cbranch_execz .LBB0_11
; %bb.10:                               ;   in Loop: Header=BB0_3 Depth=1
	v_cvt_f32_u32_e32 v3, s45
	s_sub_i32 s16, 0, s45
	v_mov_b32_e32 v8, v2
	v_rcp_iflag_f32_e32 v3, v3
	v_mul_f32_e32 v3, 0x4f7ffffe, v3
	v_cvt_u32_f32_e32 v3, v3
	v_mul_lo_u32 v5, s16, v3
	v_mul_hi_u32 v5, v3, v5
	v_add_u32_e32 v3, v3, v5
	v_mul_hi_u32 v3, v4, v3
	v_mul_lo_u32 v5, v3, s45
	v_add_u32_e32 v6, 1, v3
	v_sub_u32_e32 v5, v4, v5
	v_subrev_u32_e32 v7, s45, v5
	v_cmp_le_u32_e32 vcc, s45, v5
	v_cndmask_b32_e32 v5, v5, v7, vcc
	v_cndmask_b32_e32 v3, v3, v6, vcc
	v_add_u32_e32 v6, 1, v3
	v_cmp_le_u32_e32 vcc, s45, v5
	v_cndmask_b32_e32 v7, v3, v6, vcc
.LBB0_11:                               ;   in Loop: Header=BB0_3 Depth=1
	s_or_b64 exec, exec, s[0:1]
	v_mad_u64_u32 v[5:6], s[0:1], v4, s33, 0
	v_mad_u64_u32 v[9:10], s[0:1], v7, s45, 0
	v_sub_co_u32_e32 v26, vcc, v0, v5
	v_sub_co_u32_e32 v25, vcc, v4, v9
	v_sub_u32_e32 v6, v26, v25
	v_add_u32_e32 v3, 4, v6
	v_ashrrev_i32_e32 v4, 31, v3
	v_cmp_lt_i64_e32 vcc, s[8:9], v[3:4]
	s_and_saveexec_b64 s[26:27], vcc
	s_cbranch_execz .LBB0_2
; %bb.12:                               ;   in Loop: Header=BB0_3 Depth=1
	s_load_dwordx2 s[28:29], s[14:15], 0x64
	s_andn2_b64 vcc, exec, s[6:7]
	s_waitcnt lgkmcnt(0)
	v_mul_lo_u32 v3, s29, v26
	v_mad_u64_u32 v[4:5], s[0:1], s28, v25, v[3:4]
	s_cbranch_vccnz .LBB0_57
; %bb.13:                               ;   in Loop: Header=BB0_3 Depth=1
	s_andn2_b64 vcc, exec, s[18:19]
	s_mov_b32 s25, s49
	s_mov_b32 s16, s47
	;; [unrolled: 1-line block ×3, first 2 shown]
	s_cbranch_vccnz .LBB0_21
.LBB0_14:                               ;   Parent Loop BB0_3 Depth=1
                                        ; =>  This Inner Loop Header: Depth=2
	s_lshl_b64 s[30:31], s[16:17], 2
	s_add_u32 s0, s42, s30
	s_addc_u32 s1, s43, s31
	s_load_dword s28, s[0:1], 0x8
                                        ; implicit-def: $vgpr9_vgpr10
	s_waitcnt lgkmcnt(0)
	s_ashr_i32 s0, s28, 31
	v_or_b32_e32 v3, s0, v8
	v_cmp_ne_u64_e32 vcc, 0, v[2:3]
	s_and_saveexec_b64 s[34:35], vcc
	s_xor_b64 s[34:35], exec, s[34:35]
	s_cbranch_execz .LBB0_16
; %bb.15:                               ;   in Loop: Header=BB0_14 Depth=2
	s_ashr_i32 s36, s0, 31
	s_add_u32 s38, s28, s36
	s_mov_b32 s37, s36
	s_addc_u32 s39, s0, s36
	s_xor_b64 s[38:39], s[38:39], s[36:37]
	v_cvt_f32_u32_e32 v3, s38
	v_cvt_f32_u32_e32 v5, s39
	s_sub_u32 s37, 0, s38
	s_subb_u32 s40, 0, s39
	v_mac_f32_e32 v3, 0x4f800000, v5
	v_rcp_f32_e32 v3, v3
	v_mul_f32_e32 v3, 0x5f7ffffc, v3
	v_mul_f32_e32 v5, 0x2f800000, v3
	v_trunc_f32_e32 v5, v5
	v_mac_f32_e32 v3, 0xcf800000, v5
	v_cvt_u32_f32_e32 v5, v5
	v_cvt_u32_f32_e32 v3, v3
	v_readfirstlane_b32 s41, v5
	v_readfirstlane_b32 s0, v3
	s_mul_i32 s1, s37, s41
	s_mul_hi_u32 s51, s37, s0
	s_mul_i32 s50, s40, s0
	s_add_i32 s1, s51, s1
	s_add_i32 s1, s1, s50
	s_mul_i32 s52, s37, s0
	s_mul_i32 s51, s0, s1
	s_mul_hi_u32 s53, s0, s52
	s_mul_hi_u32 s50, s0, s1
	s_add_u32 s51, s53, s51
	s_addc_u32 s50, 0, s50
	s_mul_hi_u32 s54, s41, s52
	s_mul_i32 s52, s41, s52
	s_add_u32 s51, s51, s52
	s_mul_hi_u32 s53, s41, s1
	s_addc_u32 s50, s50, s54
	s_addc_u32 s51, s53, 0
	s_mul_i32 s1, s41, s1
	s_add_u32 s1, s50, s1
	s_addc_u32 s50, 0, s51
	s_add_u32 s51, s0, s1
	s_cselect_b64 s[0:1], -1, 0
	s_cmp_lg_u64 s[0:1], 0
	s_addc_u32 s41, s41, s50
	s_mul_i32 s0, s37, s41
	s_mul_hi_u32 s1, s37, s51
	s_add_i32 s0, s1, s0
	s_mul_i32 s40, s40, s51
	s_add_i32 s0, s0, s40
	s_mul_i32 s37, s37, s51
	s_mul_hi_u32 s40, s41, s37
	s_mul_i32 s50, s41, s37
	s_mul_i32 s53, s51, s0
	s_mul_hi_u32 s37, s51, s37
	s_mul_hi_u32 s52, s51, s0
	s_add_u32 s37, s37, s53
	s_addc_u32 s52, 0, s52
	s_add_u32 s37, s37, s50
	s_mul_hi_u32 s1, s41, s0
	s_addc_u32 s37, s52, s40
	s_addc_u32 s1, s1, 0
	s_mul_i32 s0, s41, s0
	s_add_u32 s0, s37, s0
	s_addc_u32 s37, 0, s1
	s_add_u32 s40, s51, s0
	s_cselect_b64 s[0:1], -1, 0
	v_ashrrev_i32_e32 v3, 31, v8
	s_cmp_lg_u64 s[0:1], 0
	v_add_co_u32_e32 v5, vcc, v7, v3
	s_addc_u32 s37, s41, s37
	v_xor_b32_e32 v5, v5, v3
	v_addc_co_u32_e32 v10, vcc, v8, v3, vcc
	v_mad_u64_u32 v[8:9], s[0:1], v5, s37, 0
	v_mul_hi_u32 v11, v5, s40
	v_xor_b32_e32 v12, v10, v3
	v_xor_b32_e32 v3, s36, v3
	v_add_co_u32_e32 v13, vcc, v11, v8
	v_addc_co_u32_e32 v14, vcc, 0, v9, vcc
	v_mad_u64_u32 v[8:9], s[0:1], v12, s40, 0
	v_mad_u64_u32 v[10:11], s[0:1], v12, s37, 0
	v_add_co_u32_e32 v8, vcc, v13, v8
	v_addc_co_u32_e32 v8, vcc, v14, v9, vcc
	v_addc_co_u32_e32 v9, vcc, 0, v11, vcc
	v_add_co_u32_e32 v10, vcc, v8, v10
	v_addc_co_u32_e32 v11, vcc, 0, v9, vcc
	v_mul_lo_u32 v13, s39, v10
	v_mul_lo_u32 v14, s38, v11
	v_mad_u64_u32 v[8:9], s[0:1], s38, v10, 0
	v_add3_u32 v9, v9, v14, v13
	v_sub_u32_e32 v13, v12, v9
	v_mov_b32_e32 v14, s39
	v_sub_co_u32_e32 v5, vcc, v5, v8
	v_subb_co_u32_e64 v8, s[0:1], v13, v14, vcc
	v_subrev_co_u32_e64 v13, s[0:1], s38, v5
	v_subbrev_co_u32_e64 v8, s[0:1], 0, v8, s[0:1]
	v_cmp_le_u32_e64 s[0:1], s39, v8
	v_cndmask_b32_e64 v14, 0, -1, s[0:1]
	v_cmp_le_u32_e64 s[0:1], s38, v13
	v_cndmask_b32_e64 v13, 0, -1, s[0:1]
	v_cmp_eq_u32_e64 s[0:1], s39, v8
	v_cndmask_b32_e64 v8, v14, v13, s[0:1]
	v_add_co_u32_e64 v13, s[0:1], 2, v10
	v_subb_co_u32_e32 v9, vcc, v12, v9, vcc
	v_addc_co_u32_e64 v14, s[0:1], 0, v11, s[0:1]
	v_cmp_le_u32_e32 vcc, s39, v9
	v_add_co_u32_e64 v15, s[0:1], 1, v10
	v_cndmask_b32_e64 v12, 0, -1, vcc
	v_cmp_le_u32_e32 vcc, s38, v5
	v_addc_co_u32_e64 v16, s[0:1], 0, v11, s[0:1]
	v_cndmask_b32_e64 v5, 0, -1, vcc
	v_cmp_eq_u32_e32 vcc, s39, v9
	v_cmp_ne_u32_e64 s[0:1], 0, v8
	v_cndmask_b32_e32 v5, v12, v5, vcc
	v_cndmask_b32_e64 v8, v16, v14, s[0:1]
	v_cmp_ne_u32_e32 vcc, 0, v5
	v_cndmask_b32_e32 v5, v11, v8, vcc
	v_cndmask_b32_e64 v8, v15, v13, s[0:1]
	v_cndmask_b32_e32 v8, v10, v8, vcc
	v_xor_b32_e32 v8, v8, v3
	v_xor_b32_e32 v5, v5, v3
	v_sub_co_u32_e32 v9, vcc, v8, v3
	v_subb_co_u32_e32 v10, vcc, v5, v3, vcc
.LBB0_16:                               ;   in Loop: Header=BB0_14 Depth=2
	s_andn2_saveexec_b64 s[0:1], s[34:35]
	s_cbranch_execz .LBB0_18
; %bb.17:                               ;   in Loop: Header=BB0_14 Depth=2
	v_cvt_f32_u32_e32 v3, s28
	s_sub_i32 s34, 0, s28
	v_mov_b32_e32 v10, v2
	v_rcp_iflag_f32_e32 v3, v3
	v_mul_f32_e32 v3, 0x4f7ffffe, v3
	v_cvt_u32_f32_e32 v3, v3
	v_mul_lo_u32 v5, s34, v3
	v_mul_hi_u32 v5, v3, v5
	v_add_u32_e32 v3, v3, v5
	v_mul_hi_u32 v3, v7, v3
	v_mul_lo_u32 v5, v3, s28
	v_add_u32_e32 v8, 1, v3
	v_sub_u32_e32 v5, v7, v5
	v_subrev_u32_e32 v9, s28, v5
	v_cmp_le_u32_e32 vcc, s28, v5
	v_cndmask_b32_e32 v5, v5, v9, vcc
	v_cndmask_b32_e32 v3, v3, v8, vcc
	v_add_u32_e32 v8, 1, v3
	v_cmp_le_u32_e32 vcc, s28, v5
	v_cndmask_b32_e32 v9, v3, v8, vcc
.LBB0_18:                               ;   in Loop: Header=BB0_14 Depth=2
	s_or_b64 exec, exec, s[0:1]
	s_add_u32 s0, s4, s30
	s_addc_u32 s1, s5, s31
	v_mul_lo_u32 v3, v9, s28
	s_load_dword s0, s[0:1], 0x6c
	s_add_i32 s16, s16, -1
	s_add_i32 s25, s25, -1
	v_sub_u32_e32 v3, v7, v3
	s_cmp_lg_u32 s25, 0
	s_waitcnt lgkmcnt(0)
	v_mad_u64_u32 v[4:5], s[0:1], s0, v3, v[4:5]
	s_cbranch_scc0 .LBB0_20
; %bb.19:                               ;   in Loop: Header=BB0_14 Depth=2
	v_mov_b32_e32 v7, v9
	v_mov_b32_e32 v8, v10
	s_branch .LBB0_14
.LBB0_20:                               ;   in Loop: Header=BB0_3 Depth=1
	v_mov_b32_e32 v7, v9
	s_mov_b32 s0, s16
	v_mov_b32_e32 v8, v10
.LBB0_21:                               ;   in Loop: Header=BB0_3 Depth=1
	s_andn2_b64 vcc, exec, s[20:21]
	s_cbranch_vccnz .LBB0_57
; %bb.22:                               ;   in Loop: Header=BB0_3 Depth=1
	s_add_i32 s30, s0, -7
.LBB0_23:                               ;   Parent Loop BB0_3 Depth=1
                                        ; =>  This Inner Loop Header: Depth=2
	s_add_i32 s16, s30, 7
	s_lshl_b64 s[34:35], s[16:17], 2
	s_add_u32 s0, s42, s34
	s_addc_u32 s1, s43, s35
	s_load_dword s25, s[0:1], 0x8
                                        ; implicit-def: $vgpr9_vgpr10
	s_waitcnt lgkmcnt(0)
	s_ashr_i32 s0, s25, 31
	v_or_b32_e32 v3, s0, v8
	v_cmp_ne_u64_e32 vcc, 0, v[2:3]
	s_and_saveexec_b64 s[36:37], vcc
	s_xor_b64 s[36:37], exec, s[36:37]
	s_cbranch_execz .LBB0_25
; %bb.24:                               ;   in Loop: Header=BB0_23 Depth=2
	s_ashr_i32 s38, s0, 31
	s_add_u32 s40, s25, s38
	s_mov_b32 s39, s38
	s_addc_u32 s41, s0, s38
	s_xor_b64 s[40:41], s[40:41], s[38:39]
	v_cvt_f32_u32_e32 v3, s40
	v_cvt_f32_u32_e32 v5, s41
	s_sub_u32 s16, 0, s40
	s_subb_u32 s28, 0, s41
	v_mac_f32_e32 v3, 0x4f800000, v5
	v_rcp_f32_e32 v3, v3
	v_mul_f32_e32 v3, 0x5f7ffffc, v3
	v_mul_f32_e32 v5, 0x2f800000, v3
	v_trunc_f32_e32 v5, v5
	v_mac_f32_e32 v3, 0xcf800000, v5
	v_cvt_u32_f32_e32 v5, v5
	v_cvt_u32_f32_e32 v3, v3
	v_readfirstlane_b32 s31, v5
	v_readfirstlane_b32 s0, v3
	s_mul_i32 s1, s16, s31
	s_mul_hi_u32 s50, s16, s0
	s_mul_i32 s39, s28, s0
	s_add_i32 s1, s50, s1
	s_add_i32 s1, s1, s39
	s_mul_i32 s51, s16, s0
	s_mul_i32 s50, s0, s1
	s_mul_hi_u32 s52, s0, s51
	s_mul_hi_u32 s39, s0, s1
	s_add_u32 s50, s52, s50
	s_addc_u32 s39, 0, s39
	s_mul_hi_u32 s53, s31, s51
	s_mul_i32 s51, s31, s51
	s_add_u32 s50, s50, s51
	s_mul_hi_u32 s52, s31, s1
	s_addc_u32 s39, s39, s53
	s_addc_u32 s50, s52, 0
	s_mul_i32 s1, s31, s1
	s_add_u32 s1, s39, s1
	s_addc_u32 s39, 0, s50
	s_add_u32 s50, s0, s1
	s_cselect_b64 s[0:1], -1, 0
	s_cmp_lg_u64 s[0:1], 0
	s_addc_u32 s31, s31, s39
	s_mul_i32 s0, s16, s31
	s_mul_hi_u32 s1, s16, s50
	s_add_i32 s0, s1, s0
	s_mul_i32 s28, s28, s50
	s_add_i32 s0, s0, s28
	s_mul_i32 s16, s16, s50
	s_mul_hi_u32 s28, s31, s16
	s_mul_i32 s39, s31, s16
	s_mul_i32 s52, s50, s0
	s_mul_hi_u32 s16, s50, s16
	s_mul_hi_u32 s51, s50, s0
	s_add_u32 s16, s16, s52
	s_addc_u32 s51, 0, s51
	s_add_u32 s16, s16, s39
	s_mul_hi_u32 s1, s31, s0
	s_addc_u32 s16, s51, s28
	s_addc_u32 s1, s1, 0
	s_mul_i32 s0, s31, s0
	s_add_u32 s0, s16, s0
	s_addc_u32 s16, 0, s1
	s_add_u32 s28, s50, s0
	s_cselect_b64 s[0:1], -1, 0
	v_ashrrev_i32_e32 v3, 31, v8
	s_cmp_lg_u64 s[0:1], 0
	v_add_co_u32_e32 v5, vcc, v7, v3
	s_addc_u32 s16, s31, s16
	v_xor_b32_e32 v5, v5, v3
	v_addc_co_u32_e32 v10, vcc, v8, v3, vcc
	v_mad_u64_u32 v[8:9], s[0:1], v5, s16, 0
	v_mul_hi_u32 v11, v5, s28
	v_xor_b32_e32 v12, v10, v3
	v_xor_b32_e32 v3, s38, v3
	v_add_co_u32_e32 v13, vcc, v11, v8
	v_addc_co_u32_e32 v14, vcc, 0, v9, vcc
	v_mad_u64_u32 v[8:9], s[0:1], v12, s28, 0
	v_mad_u64_u32 v[10:11], s[0:1], v12, s16, 0
	v_add_co_u32_e32 v8, vcc, v13, v8
	v_addc_co_u32_e32 v8, vcc, v14, v9, vcc
	v_addc_co_u32_e32 v9, vcc, 0, v11, vcc
	v_add_co_u32_e32 v10, vcc, v8, v10
	v_addc_co_u32_e32 v11, vcc, 0, v9, vcc
	v_mul_lo_u32 v13, s41, v10
	v_mul_lo_u32 v14, s40, v11
	v_mad_u64_u32 v[8:9], s[0:1], s40, v10, 0
	v_add3_u32 v9, v9, v14, v13
	v_sub_u32_e32 v13, v12, v9
	v_mov_b32_e32 v14, s41
	v_sub_co_u32_e32 v5, vcc, v5, v8
	v_subb_co_u32_e64 v8, s[0:1], v13, v14, vcc
	v_subrev_co_u32_e64 v13, s[0:1], s40, v5
	v_subbrev_co_u32_e64 v8, s[0:1], 0, v8, s[0:1]
	v_cmp_le_u32_e64 s[0:1], s41, v8
	v_cndmask_b32_e64 v14, 0, -1, s[0:1]
	v_cmp_le_u32_e64 s[0:1], s40, v13
	v_cndmask_b32_e64 v13, 0, -1, s[0:1]
	v_cmp_eq_u32_e64 s[0:1], s41, v8
	v_cndmask_b32_e64 v8, v14, v13, s[0:1]
	v_add_co_u32_e64 v13, s[0:1], 2, v10
	v_subb_co_u32_e32 v9, vcc, v12, v9, vcc
	v_addc_co_u32_e64 v14, s[0:1], 0, v11, s[0:1]
	v_cmp_le_u32_e32 vcc, s41, v9
	v_add_co_u32_e64 v15, s[0:1], 1, v10
	v_cndmask_b32_e64 v12, 0, -1, vcc
	v_cmp_le_u32_e32 vcc, s40, v5
	v_addc_co_u32_e64 v16, s[0:1], 0, v11, s[0:1]
	v_cndmask_b32_e64 v5, 0, -1, vcc
	v_cmp_eq_u32_e32 vcc, s41, v9
	v_cmp_ne_u32_e64 s[0:1], 0, v8
	v_cndmask_b32_e32 v5, v12, v5, vcc
	v_cndmask_b32_e64 v8, v16, v14, s[0:1]
	v_cmp_ne_u32_e32 vcc, 0, v5
	v_cndmask_b32_e32 v5, v11, v8, vcc
	v_cndmask_b32_e64 v8, v15, v13, s[0:1]
	v_cndmask_b32_e32 v8, v10, v8, vcc
	v_xor_b32_e32 v8, v8, v3
	v_xor_b32_e32 v5, v5, v3
	v_sub_co_u32_e32 v9, vcc, v8, v3
	v_subb_co_u32_e32 v10, vcc, v5, v3, vcc
.LBB0_25:                               ;   in Loop: Header=BB0_23 Depth=2
	s_andn2_saveexec_b64 s[0:1], s[36:37]
	s_cbranch_execz .LBB0_27
; %bb.26:                               ;   in Loop: Header=BB0_23 Depth=2
	v_cvt_f32_u32_e32 v3, s25
	s_sub_i32 s16, 0, s25
	v_mov_b32_e32 v10, v2
	v_rcp_iflag_f32_e32 v3, v3
	v_mul_f32_e32 v3, 0x4f7ffffe, v3
	v_cvt_u32_f32_e32 v3, v3
	v_mul_lo_u32 v5, s16, v3
	v_mul_hi_u32 v5, v3, v5
	v_add_u32_e32 v3, v3, v5
	v_mul_hi_u32 v3, v7, v3
	v_mul_lo_u32 v5, v3, s25
	v_add_u32_e32 v8, 1, v3
	v_sub_u32_e32 v5, v7, v5
	v_subrev_u32_e32 v9, s25, v5
	v_cmp_le_u32_e32 vcc, s25, v5
	v_cndmask_b32_e32 v5, v5, v9, vcc
	v_cndmask_b32_e32 v3, v3, v8, vcc
	v_add_u32_e32 v8, 1, v3
	v_cmp_le_u32_e32 vcc, s25, v5
	v_cndmask_b32_e32 v9, v3, v8, vcc
.LBB0_27:                               ;   in Loop: Header=BB0_23 Depth=2
	s_or_b64 exec, exec, s[0:1]
	s_add_u32 s0, s4, s34
	s_addc_u32 s1, s5, s35
	s_add_i32 s16, s30, 6
	s_lshl_b64 s[34:35], s[16:17], 2
	s_add_u32 s36, s42, s34
	s_addc_u32 s37, s43, s35
	s_load_dword s50, s[36:37], 0x8
	s_load_dword s28, s[0:1], 0x6c
                                        ; implicit-def: $vgpr11_vgpr12
	s_waitcnt lgkmcnt(0)
	s_ashr_i32 s0, s50, 31
	v_or_b32_e32 v3, s0, v10
	v_cmp_ne_u64_e32 vcc, 0, v[2:3]
	s_and_saveexec_b64 s[36:37], vcc
	s_xor_b64 s[36:37], exec, s[36:37]
	s_cbranch_execz .LBB0_29
; %bb.28:                               ;   in Loop: Header=BB0_23 Depth=2
	s_ashr_i32 s38, s0, 31
	s_add_u32 s40, s50, s38
	s_mov_b32 s39, s38
	s_addc_u32 s41, s0, s38
	s_xor_b64 s[40:41], s[40:41], s[38:39]
	v_cvt_f32_u32_e32 v3, s40
	v_cvt_f32_u32_e32 v5, s41
	s_sub_u32 s16, 0, s40
	s_subb_u32 s31, 0, s41
	v_mac_f32_e32 v3, 0x4f800000, v5
	v_rcp_f32_e32 v3, v3
	v_mul_f32_e32 v3, 0x5f7ffffc, v3
	v_mul_f32_e32 v5, 0x2f800000, v3
	v_trunc_f32_e32 v5, v5
	v_mac_f32_e32 v3, 0xcf800000, v5
	v_cvt_u32_f32_e32 v5, v5
	v_cvt_u32_f32_e32 v3, v3
	v_readfirstlane_b32 s39, v5
	v_readfirstlane_b32 s0, v3
	s_mul_i32 s1, s16, s39
	s_mul_hi_u32 s52, s16, s0
	s_mul_i32 s51, s31, s0
	s_add_i32 s1, s52, s1
	s_add_i32 s1, s1, s51
	s_mul_i32 s53, s16, s0
	s_mul_i32 s52, s0, s1
	s_mul_hi_u32 s54, s0, s53
	s_mul_hi_u32 s51, s0, s1
	s_add_u32 s52, s54, s52
	s_addc_u32 s51, 0, s51
	s_mul_hi_u32 s55, s39, s53
	s_mul_i32 s53, s39, s53
	s_add_u32 s52, s52, s53
	s_mul_hi_u32 s54, s39, s1
	s_addc_u32 s51, s51, s55
	s_addc_u32 s52, s54, 0
	s_mul_i32 s1, s39, s1
	s_add_u32 s1, s51, s1
	s_addc_u32 s51, 0, s52
	s_add_u32 s52, s0, s1
	s_cselect_b64 s[0:1], -1, 0
	s_cmp_lg_u64 s[0:1], 0
	s_addc_u32 s39, s39, s51
	s_mul_i32 s0, s16, s39
	s_mul_hi_u32 s1, s16, s52
	s_add_i32 s0, s1, s0
	s_mul_i32 s31, s31, s52
	s_add_i32 s0, s0, s31
	s_mul_i32 s16, s16, s52
	s_mul_hi_u32 s31, s39, s16
	s_mul_i32 s51, s39, s16
	s_mul_i32 s54, s52, s0
	s_mul_hi_u32 s16, s52, s16
	s_mul_hi_u32 s53, s52, s0
	s_add_u32 s16, s16, s54
	s_addc_u32 s53, 0, s53
	s_add_u32 s16, s16, s51
	s_mul_hi_u32 s1, s39, s0
	s_addc_u32 s16, s53, s31
	s_addc_u32 s1, s1, 0
	s_mul_i32 s0, s39, s0
	s_add_u32 s0, s16, s0
	s_addc_u32 s16, 0, s1
	s_add_u32 s31, s52, s0
	s_cselect_b64 s[0:1], -1, 0
	v_ashrrev_i32_e32 v3, 31, v10
	s_cmp_lg_u64 s[0:1], 0
	v_add_co_u32_e32 v5, vcc, v9, v3
	s_addc_u32 s16, s39, s16
	v_xor_b32_e32 v5, v5, v3
	v_addc_co_u32_e32 v8, vcc, v10, v3, vcc
	v_mad_u64_u32 v[10:11], s[0:1], v5, s16, 0
	v_mul_hi_u32 v12, v5, s31
	v_xor_b32_e32 v8, v8, v3
	v_xor_b32_e32 v3, s38, v3
	v_add_co_u32_e32 v14, vcc, v12, v10
	v_addc_co_u32_e32 v15, vcc, 0, v11, vcc
	v_mad_u64_u32 v[10:11], s[0:1], v8, s31, 0
	v_mad_u64_u32 v[12:13], s[0:1], v8, s16, 0
	v_add_co_u32_e32 v10, vcc, v14, v10
	v_addc_co_u32_e32 v10, vcc, v15, v11, vcc
	v_addc_co_u32_e32 v11, vcc, 0, v13, vcc
	v_add_co_u32_e32 v12, vcc, v10, v12
	v_addc_co_u32_e32 v13, vcc, 0, v11, vcc
	v_mul_lo_u32 v14, s41, v12
	v_mul_lo_u32 v15, s40, v13
	v_mad_u64_u32 v[10:11], s[0:1], s40, v12, 0
	v_add3_u32 v11, v11, v15, v14
	v_sub_u32_e32 v14, v8, v11
	v_mov_b32_e32 v15, s41
	v_sub_co_u32_e32 v5, vcc, v5, v10
	v_subb_co_u32_e64 v10, s[0:1], v14, v15, vcc
	v_subrev_co_u32_e64 v14, s[0:1], s40, v5
	v_subbrev_co_u32_e64 v10, s[0:1], 0, v10, s[0:1]
	v_cmp_le_u32_e64 s[0:1], s41, v10
	v_cndmask_b32_e64 v15, 0, -1, s[0:1]
	v_cmp_le_u32_e64 s[0:1], s40, v14
	v_cndmask_b32_e64 v14, 0, -1, s[0:1]
	v_cmp_eq_u32_e64 s[0:1], s41, v10
	v_cndmask_b32_e64 v10, v15, v14, s[0:1]
	v_add_co_u32_e64 v14, s[0:1], 2, v12
	v_subb_co_u32_e32 v8, vcc, v8, v11, vcc
	v_addc_co_u32_e64 v15, s[0:1], 0, v13, s[0:1]
	v_cmp_le_u32_e32 vcc, s41, v8
	v_add_co_u32_e64 v16, s[0:1], 1, v12
	v_cndmask_b32_e64 v11, 0, -1, vcc
	v_cmp_le_u32_e32 vcc, s40, v5
	v_addc_co_u32_e64 v17, s[0:1], 0, v13, s[0:1]
	v_cndmask_b32_e64 v5, 0, -1, vcc
	v_cmp_eq_u32_e32 vcc, s41, v8
	v_cmp_ne_u32_e64 s[0:1], 0, v10
	v_cndmask_b32_e32 v5, v11, v5, vcc
	v_cmp_ne_u32_e32 vcc, 0, v5
	v_cndmask_b32_e64 v8, v16, v14, s[0:1]
	v_cndmask_b32_e64 v10, v17, v15, s[0:1]
	v_cndmask_b32_e32 v8, v12, v8, vcc
	v_cndmask_b32_e32 v5, v13, v10, vcc
	v_xor_b32_e32 v8, v8, v3
	v_xor_b32_e32 v5, v5, v3
	v_sub_co_u32_e32 v11, vcc, v8, v3
	v_subb_co_u32_e32 v12, vcc, v5, v3, vcc
.LBB0_29:                               ;   in Loop: Header=BB0_23 Depth=2
	s_andn2_saveexec_b64 s[0:1], s[36:37]
	s_cbranch_execz .LBB0_31
; %bb.30:                               ;   in Loop: Header=BB0_23 Depth=2
	v_cvt_f32_u32_e32 v3, s50
	s_sub_i32 s16, 0, s50
	v_mov_b32_e32 v12, v2
	v_rcp_iflag_f32_e32 v3, v3
	v_mul_f32_e32 v3, 0x4f7ffffe, v3
	v_cvt_u32_f32_e32 v3, v3
	v_mul_lo_u32 v5, s16, v3
	v_mul_hi_u32 v5, v3, v5
	v_add_u32_e32 v3, v3, v5
	v_mul_hi_u32 v3, v9, v3
	v_mul_lo_u32 v5, v3, s50
	v_add_u32_e32 v8, 1, v3
	v_sub_u32_e32 v5, v9, v5
	v_subrev_u32_e32 v10, s50, v5
	v_cmp_le_u32_e32 vcc, s50, v5
	v_cndmask_b32_e32 v5, v5, v10, vcc
	v_cndmask_b32_e32 v3, v3, v8, vcc
	v_add_u32_e32 v8, 1, v3
	v_cmp_le_u32_e32 vcc, s50, v5
	v_cndmask_b32_e32 v11, v3, v8, vcc
.LBB0_31:                               ;   in Loop: Header=BB0_23 Depth=2
	s_or_b64 exec, exec, s[0:1]
	s_add_u32 s0, s4, s34
	s_addc_u32 s1, s5, s35
	s_add_i32 s16, s30, 5
	s_lshl_b64 s[34:35], s[16:17], 2
	s_add_u32 s36, s42, s34
	s_addc_u32 s37, s43, s35
	s_load_dword s52, s[36:37], 0x8
	s_load_dword s51, s[0:1], 0x6c
                                        ; implicit-def: $vgpr13_vgpr14
	s_waitcnt lgkmcnt(0)
	s_ashr_i32 s0, s52, 31
	v_or_b32_e32 v3, s0, v12
	v_cmp_ne_u64_e32 vcc, 0, v[2:3]
	s_and_saveexec_b64 s[36:37], vcc
	s_xor_b64 s[36:37], exec, s[36:37]
	s_cbranch_execz .LBB0_33
; %bb.32:                               ;   in Loop: Header=BB0_23 Depth=2
	s_ashr_i32 s38, s0, 31
	s_add_u32 s40, s52, s38
	s_mov_b32 s39, s38
	s_addc_u32 s41, s0, s38
	s_xor_b64 s[40:41], s[40:41], s[38:39]
	v_cvt_f32_u32_e32 v3, s40
	v_cvt_f32_u32_e32 v5, s41
	s_sub_u32 s16, 0, s40
	s_subb_u32 s31, 0, s41
	v_mac_f32_e32 v3, 0x4f800000, v5
	v_rcp_f32_e32 v3, v3
	v_mul_f32_e32 v3, 0x5f7ffffc, v3
	v_mul_f32_e32 v5, 0x2f800000, v3
	v_trunc_f32_e32 v5, v5
	v_mac_f32_e32 v3, 0xcf800000, v5
	v_cvt_u32_f32_e32 v5, v5
	v_cvt_u32_f32_e32 v3, v3
	v_readfirstlane_b32 s39, v5
	v_readfirstlane_b32 s0, v3
	s_mul_i32 s1, s16, s39
	s_mul_hi_u32 s54, s16, s0
	s_mul_i32 s53, s31, s0
	s_add_i32 s1, s54, s1
	s_add_i32 s1, s1, s53
	s_mul_i32 s55, s16, s0
	s_mul_i32 s54, s0, s1
	s_mul_hi_u32 s56, s0, s55
	s_mul_hi_u32 s53, s0, s1
	s_add_u32 s54, s56, s54
	s_addc_u32 s53, 0, s53
	s_mul_hi_u32 s57, s39, s55
	s_mul_i32 s55, s39, s55
	s_add_u32 s54, s54, s55
	s_mul_hi_u32 s56, s39, s1
	s_addc_u32 s53, s53, s57
	s_addc_u32 s54, s56, 0
	s_mul_i32 s1, s39, s1
	s_add_u32 s1, s53, s1
	s_addc_u32 s53, 0, s54
	s_add_u32 s54, s0, s1
	s_cselect_b64 s[0:1], -1, 0
	s_cmp_lg_u64 s[0:1], 0
	s_addc_u32 s39, s39, s53
	s_mul_i32 s0, s16, s39
	s_mul_hi_u32 s1, s16, s54
	s_add_i32 s0, s1, s0
	s_mul_i32 s31, s31, s54
	s_add_i32 s0, s0, s31
	s_mul_i32 s16, s16, s54
	s_mul_hi_u32 s31, s39, s16
	s_mul_i32 s53, s39, s16
	s_mul_i32 s56, s54, s0
	s_mul_hi_u32 s16, s54, s16
	s_mul_hi_u32 s55, s54, s0
	s_add_u32 s16, s16, s56
	s_addc_u32 s55, 0, s55
	s_add_u32 s16, s16, s53
	s_mul_hi_u32 s1, s39, s0
	s_addc_u32 s16, s55, s31
	s_addc_u32 s1, s1, 0
	s_mul_i32 s0, s39, s0
	s_add_u32 s0, s16, s0
	s_addc_u32 s16, 0, s1
	s_add_u32 s31, s54, s0
	s_cselect_b64 s[0:1], -1, 0
	v_ashrrev_i32_e32 v3, 31, v12
	s_cmp_lg_u64 s[0:1], 0
	v_add_co_u32_e32 v5, vcc, v11, v3
	s_addc_u32 s16, s39, s16
	v_xor_b32_e32 v5, v5, v3
	v_addc_co_u32_e32 v8, vcc, v12, v3, vcc
	v_mad_u64_u32 v[12:13], s[0:1], v5, s16, 0
	v_mul_hi_u32 v10, v5, s31
	v_xor_b32_e32 v8, v8, v3
	v_mad_u64_u32 v[14:15], s[0:1], v8, s16, 0
	v_add_co_u32_e32 v10, vcc, v10, v12
	v_addc_co_u32_e32 v16, vcc, 0, v13, vcc
	v_mad_u64_u32 v[12:13], s[0:1], v8, s31, 0
	v_xor_b32_e32 v3, s38, v3
	v_add_co_u32_e32 v10, vcc, v10, v12
	v_addc_co_u32_e32 v10, vcc, v16, v13, vcc
	v_addc_co_u32_e32 v12, vcc, 0, v15, vcc
	v_add_co_u32_e32 v10, vcc, v10, v14
	v_addc_co_u32_e32 v14, vcc, 0, v12, vcc
	v_mul_lo_u32 v15, s41, v10
	v_mul_lo_u32 v16, s40, v14
	v_mad_u64_u32 v[12:13], s[0:1], s40, v10, 0
	v_add3_u32 v13, v13, v16, v15
	v_sub_u32_e32 v15, v8, v13
	v_mov_b32_e32 v16, s41
	v_sub_co_u32_e32 v5, vcc, v5, v12
	v_subb_co_u32_e64 v12, s[0:1], v15, v16, vcc
	v_subrev_co_u32_e64 v15, s[0:1], s40, v5
	v_subbrev_co_u32_e64 v12, s[0:1], 0, v12, s[0:1]
	v_cmp_le_u32_e64 s[0:1], s41, v12
	v_cndmask_b32_e64 v16, 0, -1, s[0:1]
	v_cmp_le_u32_e64 s[0:1], s40, v15
	v_cndmask_b32_e64 v15, 0, -1, s[0:1]
	v_cmp_eq_u32_e64 s[0:1], s41, v12
	v_cndmask_b32_e64 v12, v16, v15, s[0:1]
	v_add_co_u32_e64 v15, s[0:1], 2, v10
	v_subb_co_u32_e32 v8, vcc, v8, v13, vcc
	v_addc_co_u32_e64 v16, s[0:1], 0, v14, s[0:1]
	v_cmp_le_u32_e32 vcc, s41, v8
	v_add_co_u32_e64 v17, s[0:1], 1, v10
	v_cndmask_b32_e64 v13, 0, -1, vcc
	v_cmp_le_u32_e32 vcc, s40, v5
	v_addc_co_u32_e64 v18, s[0:1], 0, v14, s[0:1]
	v_cndmask_b32_e64 v5, 0, -1, vcc
	v_cmp_eq_u32_e32 vcc, s41, v8
	v_cmp_ne_u32_e64 s[0:1], 0, v12
	v_cndmask_b32_e32 v5, v13, v5, vcc
	v_cmp_ne_u32_e32 vcc, 0, v5
	v_cndmask_b32_e64 v8, v17, v15, s[0:1]
	v_cndmask_b32_e64 v12, v18, v16, s[0:1]
	v_cndmask_b32_e32 v8, v10, v8, vcc
	v_cndmask_b32_e32 v5, v14, v12, vcc
	v_xor_b32_e32 v8, v8, v3
	v_xor_b32_e32 v5, v5, v3
	v_sub_co_u32_e32 v13, vcc, v8, v3
	v_subb_co_u32_e32 v14, vcc, v5, v3, vcc
.LBB0_33:                               ;   in Loop: Header=BB0_23 Depth=2
	s_andn2_saveexec_b64 s[0:1], s[36:37]
	s_cbranch_execz .LBB0_35
; %bb.34:                               ;   in Loop: Header=BB0_23 Depth=2
	v_cvt_f32_u32_e32 v3, s52
	s_sub_i32 s16, 0, s52
	v_mov_b32_e32 v14, v2
	v_rcp_iflag_f32_e32 v3, v3
	v_mul_f32_e32 v3, 0x4f7ffffe, v3
	v_cvt_u32_f32_e32 v3, v3
	v_mul_lo_u32 v5, s16, v3
	v_mul_hi_u32 v5, v3, v5
	v_add_u32_e32 v3, v3, v5
	v_mul_hi_u32 v3, v11, v3
	v_mul_lo_u32 v5, v3, s52
	v_add_u32_e32 v8, 1, v3
	v_sub_u32_e32 v5, v11, v5
	v_subrev_u32_e32 v10, s52, v5
	v_cmp_le_u32_e32 vcc, s52, v5
	v_cndmask_b32_e32 v5, v5, v10, vcc
	v_cndmask_b32_e32 v3, v3, v8, vcc
	v_add_u32_e32 v8, 1, v3
	v_cmp_le_u32_e32 vcc, s52, v5
	v_cndmask_b32_e32 v13, v3, v8, vcc
.LBB0_35:                               ;   in Loop: Header=BB0_23 Depth=2
	s_or_b64 exec, exec, s[0:1]
	s_add_u32 s0, s4, s34
	s_addc_u32 s1, s5, s35
	s_add_i32 s16, s30, 4
	s_lshl_b64 s[34:35], s[16:17], 2
	s_add_u32 s36, s42, s34
	s_addc_u32 s37, s43, s35
	s_load_dword s54, s[36:37], 0x8
	s_load_dword s53, s[0:1], 0x6c
                                        ; implicit-def: $vgpr15_vgpr16
	s_waitcnt lgkmcnt(0)
	s_ashr_i32 s0, s54, 31
	v_or_b32_e32 v3, s0, v14
	v_cmp_ne_u64_e32 vcc, 0, v[2:3]
	s_and_saveexec_b64 s[36:37], vcc
	s_xor_b64 s[36:37], exec, s[36:37]
	s_cbranch_execz .LBB0_37
; %bb.36:                               ;   in Loop: Header=BB0_23 Depth=2
	s_ashr_i32 s38, s0, 31
	s_add_u32 s40, s54, s38
	s_mov_b32 s39, s38
	s_addc_u32 s41, s0, s38
	s_xor_b64 s[40:41], s[40:41], s[38:39]
	v_cvt_f32_u32_e32 v3, s40
	v_cvt_f32_u32_e32 v5, s41
	s_sub_u32 s16, 0, s40
	s_subb_u32 s31, 0, s41
	v_mac_f32_e32 v3, 0x4f800000, v5
	v_rcp_f32_e32 v3, v3
	v_mul_f32_e32 v3, 0x5f7ffffc, v3
	v_mul_f32_e32 v5, 0x2f800000, v3
	v_trunc_f32_e32 v5, v5
	v_mac_f32_e32 v3, 0xcf800000, v5
	v_cvt_u32_f32_e32 v5, v5
	v_cvt_u32_f32_e32 v3, v3
	v_readfirstlane_b32 s39, v5
	v_readfirstlane_b32 s0, v3
	s_mul_i32 s1, s16, s39
	s_mul_hi_u32 s56, s16, s0
	s_mul_i32 s55, s31, s0
	s_add_i32 s1, s56, s1
	s_add_i32 s1, s1, s55
	s_mul_i32 s57, s16, s0
	s_mul_i32 s56, s0, s1
	s_mul_hi_u32 s58, s0, s57
	s_mul_hi_u32 s55, s0, s1
	s_add_u32 s56, s58, s56
	s_addc_u32 s55, 0, s55
	s_mul_hi_u32 s59, s39, s57
	s_mul_i32 s57, s39, s57
	s_add_u32 s56, s56, s57
	s_mul_hi_u32 s58, s39, s1
	s_addc_u32 s55, s55, s59
	s_addc_u32 s56, s58, 0
	s_mul_i32 s1, s39, s1
	s_add_u32 s1, s55, s1
	s_addc_u32 s55, 0, s56
	s_add_u32 s56, s0, s1
	s_cselect_b64 s[0:1], -1, 0
	s_cmp_lg_u64 s[0:1], 0
	s_addc_u32 s39, s39, s55
	s_mul_i32 s0, s16, s39
	s_mul_hi_u32 s1, s16, s56
	s_add_i32 s0, s1, s0
	s_mul_i32 s31, s31, s56
	s_add_i32 s0, s0, s31
	s_mul_i32 s16, s16, s56
	s_mul_hi_u32 s31, s39, s16
	s_mul_i32 s55, s39, s16
	s_mul_i32 s58, s56, s0
	s_mul_hi_u32 s16, s56, s16
	s_mul_hi_u32 s57, s56, s0
	s_add_u32 s16, s16, s58
	s_addc_u32 s57, 0, s57
	s_add_u32 s16, s16, s55
	s_mul_hi_u32 s1, s39, s0
	s_addc_u32 s16, s57, s31
	s_addc_u32 s1, s1, 0
	s_mul_i32 s0, s39, s0
	s_add_u32 s0, s16, s0
	s_addc_u32 s16, 0, s1
	s_add_u32 s31, s56, s0
	s_cselect_b64 s[0:1], -1, 0
	v_ashrrev_i32_e32 v3, 31, v14
	s_cmp_lg_u64 s[0:1], 0
	v_add_co_u32_e32 v5, vcc, v13, v3
	s_addc_u32 s16, s39, s16
	v_xor_b32_e32 v5, v5, v3
	v_addc_co_u32_e32 v8, vcc, v14, v3, vcc
	v_mad_u64_u32 v[14:15], s[0:1], v5, s16, 0
	v_mul_hi_u32 v10, v5, s31
	v_xor_b32_e32 v8, v8, v3
	v_mad_u64_u32 v[16:17], s[0:1], v8, s16, 0
	v_add_co_u32_e32 v10, vcc, v10, v14
	v_addc_co_u32_e32 v12, vcc, 0, v15, vcc
	v_mad_u64_u32 v[14:15], s[0:1], v8, s31, 0
	v_xor_b32_e32 v3, s38, v3
	v_add_co_u32_e32 v10, vcc, v10, v14
	v_addc_co_u32_e32 v10, vcc, v12, v15, vcc
	v_addc_co_u32_e32 v12, vcc, 0, v17, vcc
	v_add_co_u32_e32 v10, vcc, v10, v16
	v_addc_co_u32_e32 v12, vcc, 0, v12, vcc
	v_mul_lo_u32 v16, s41, v10
	v_mul_lo_u32 v17, s40, v12
	v_mad_u64_u32 v[14:15], s[0:1], s40, v10, 0
	v_add3_u32 v15, v15, v17, v16
	v_sub_u32_e32 v16, v8, v15
	v_mov_b32_e32 v17, s41
	v_sub_co_u32_e32 v5, vcc, v5, v14
	v_subb_co_u32_e64 v14, s[0:1], v16, v17, vcc
	v_subrev_co_u32_e64 v16, s[0:1], s40, v5
	v_subbrev_co_u32_e64 v14, s[0:1], 0, v14, s[0:1]
	v_cmp_le_u32_e64 s[0:1], s41, v14
	v_cndmask_b32_e64 v17, 0, -1, s[0:1]
	v_cmp_le_u32_e64 s[0:1], s40, v16
	v_cndmask_b32_e64 v16, 0, -1, s[0:1]
	v_cmp_eq_u32_e64 s[0:1], s41, v14
	v_cndmask_b32_e64 v14, v17, v16, s[0:1]
	v_add_co_u32_e64 v16, s[0:1], 2, v10
	v_subb_co_u32_e32 v8, vcc, v8, v15, vcc
	v_addc_co_u32_e64 v17, s[0:1], 0, v12, s[0:1]
	v_cmp_le_u32_e32 vcc, s41, v8
	v_add_co_u32_e64 v18, s[0:1], 1, v10
	v_cndmask_b32_e64 v15, 0, -1, vcc
	v_cmp_le_u32_e32 vcc, s40, v5
	v_addc_co_u32_e64 v19, s[0:1], 0, v12, s[0:1]
	v_cndmask_b32_e64 v5, 0, -1, vcc
	v_cmp_eq_u32_e32 vcc, s41, v8
	v_cmp_ne_u32_e64 s[0:1], 0, v14
	v_cndmask_b32_e32 v5, v15, v5, vcc
	v_cmp_ne_u32_e32 vcc, 0, v5
	v_cndmask_b32_e64 v8, v18, v16, s[0:1]
	v_cndmask_b32_e64 v14, v19, v17, s[0:1]
	v_cndmask_b32_e32 v8, v10, v8, vcc
	v_cndmask_b32_e32 v5, v12, v14, vcc
	v_xor_b32_e32 v8, v8, v3
	v_xor_b32_e32 v5, v5, v3
	v_sub_co_u32_e32 v15, vcc, v8, v3
	v_subb_co_u32_e32 v16, vcc, v5, v3, vcc
.LBB0_37:                               ;   in Loop: Header=BB0_23 Depth=2
	s_andn2_saveexec_b64 s[0:1], s[36:37]
	s_cbranch_execz .LBB0_39
; %bb.38:                               ;   in Loop: Header=BB0_23 Depth=2
	v_cvt_f32_u32_e32 v3, s54
	s_sub_i32 s16, 0, s54
	v_mov_b32_e32 v16, v2
	v_rcp_iflag_f32_e32 v3, v3
	v_mul_f32_e32 v3, 0x4f7ffffe, v3
	v_cvt_u32_f32_e32 v3, v3
	v_mul_lo_u32 v5, s16, v3
	v_mul_hi_u32 v5, v3, v5
	v_add_u32_e32 v3, v3, v5
	v_mul_hi_u32 v3, v13, v3
	v_mul_lo_u32 v5, v3, s54
	v_add_u32_e32 v8, 1, v3
	v_sub_u32_e32 v5, v13, v5
	v_subrev_u32_e32 v10, s54, v5
	v_cmp_le_u32_e32 vcc, s54, v5
	v_cndmask_b32_e32 v5, v5, v10, vcc
	v_cndmask_b32_e32 v3, v3, v8, vcc
	v_add_u32_e32 v8, 1, v3
	v_cmp_le_u32_e32 vcc, s54, v5
	v_cndmask_b32_e32 v15, v3, v8, vcc
.LBB0_39:                               ;   in Loop: Header=BB0_23 Depth=2
	s_or_b64 exec, exec, s[0:1]
	s_add_u32 s0, s4, s34
	s_addc_u32 s1, s5, s35
	s_add_i32 s16, s30, 3
	s_lshl_b64 s[34:35], s[16:17], 2
	s_add_u32 s36, s42, s34
	s_addc_u32 s37, s43, s35
	s_load_dword s55, s[36:37], 0x8
	s_load_dword s56, s[0:1], 0x6c
                                        ; implicit-def: $vgpr17_vgpr18
	s_waitcnt lgkmcnt(0)
	s_ashr_i32 s0, s55, 31
	v_or_b32_e32 v3, s0, v16
	v_cmp_ne_u64_e32 vcc, 0, v[2:3]
	s_and_saveexec_b64 s[36:37], vcc
	s_xor_b64 s[36:37], exec, s[36:37]
	s_cbranch_execz .LBB0_41
; %bb.40:                               ;   in Loop: Header=BB0_23 Depth=2
	s_ashr_i32 s38, s0, 31
	s_add_u32 s40, s55, s38
	s_mov_b32 s39, s38
	s_addc_u32 s41, s0, s38
	s_xor_b64 s[40:41], s[40:41], s[38:39]
	v_cvt_f32_u32_e32 v3, s40
	v_cvt_f32_u32_e32 v5, s41
	s_sub_u32 s16, 0, s40
	s_subb_u32 s31, 0, s41
	v_mac_f32_e32 v3, 0x4f800000, v5
	v_rcp_f32_e32 v3, v3
	v_mul_f32_e32 v3, 0x5f7ffffc, v3
	v_mul_f32_e32 v5, 0x2f800000, v3
	v_trunc_f32_e32 v5, v5
	v_mac_f32_e32 v3, 0xcf800000, v5
	v_cvt_u32_f32_e32 v5, v5
	v_cvt_u32_f32_e32 v3, v3
	v_readfirstlane_b32 s39, v5
	v_readfirstlane_b32 s0, v3
	s_mul_i32 s1, s16, s39
	s_mul_hi_u32 s58, s16, s0
	s_mul_i32 s57, s31, s0
	s_add_i32 s1, s58, s1
	s_add_i32 s1, s1, s57
	s_mul_i32 s59, s16, s0
	s_mul_i32 s58, s0, s1
	s_mul_hi_u32 s60, s0, s59
	s_mul_hi_u32 s57, s0, s1
	s_add_u32 s58, s60, s58
	s_addc_u32 s57, 0, s57
	s_mul_hi_u32 s61, s39, s59
	s_mul_i32 s59, s39, s59
	s_add_u32 s58, s58, s59
	s_mul_hi_u32 s60, s39, s1
	s_addc_u32 s57, s57, s61
	s_addc_u32 s58, s60, 0
	s_mul_i32 s1, s39, s1
	s_add_u32 s1, s57, s1
	s_addc_u32 s57, 0, s58
	s_add_u32 s58, s0, s1
	s_cselect_b64 s[0:1], -1, 0
	s_cmp_lg_u64 s[0:1], 0
	s_addc_u32 s39, s39, s57
	s_mul_i32 s0, s16, s39
	s_mul_hi_u32 s1, s16, s58
	s_add_i32 s0, s1, s0
	s_mul_i32 s31, s31, s58
	s_add_i32 s0, s0, s31
	s_mul_i32 s16, s16, s58
	s_mul_hi_u32 s31, s39, s16
	s_mul_i32 s57, s39, s16
	s_mul_i32 s60, s58, s0
	s_mul_hi_u32 s16, s58, s16
	s_mul_hi_u32 s59, s58, s0
	s_add_u32 s16, s16, s60
	s_addc_u32 s59, 0, s59
	s_add_u32 s16, s16, s57
	s_mul_hi_u32 s1, s39, s0
	s_addc_u32 s16, s59, s31
	s_addc_u32 s1, s1, 0
	s_mul_i32 s0, s39, s0
	s_add_u32 s0, s16, s0
	s_addc_u32 s16, 0, s1
	s_add_u32 s31, s58, s0
	s_cselect_b64 s[0:1], -1, 0
	v_ashrrev_i32_e32 v3, 31, v16
	s_cmp_lg_u64 s[0:1], 0
	v_add_co_u32_e32 v5, vcc, v15, v3
	s_addc_u32 s16, s39, s16
	v_xor_b32_e32 v5, v5, v3
	v_addc_co_u32_e32 v8, vcc, v16, v3, vcc
	v_mad_u64_u32 v[16:17], s[0:1], v5, s16, 0
	v_mul_hi_u32 v10, v5, s31
	v_xor_b32_e32 v8, v8, v3
	v_mad_u64_u32 v[18:19], s[0:1], v8, s16, 0
	v_add_co_u32_e32 v10, vcc, v10, v16
	v_addc_co_u32_e32 v12, vcc, 0, v17, vcc
	v_mad_u64_u32 v[16:17], s[0:1], v8, s31, 0
	v_xor_b32_e32 v3, s38, v3
	v_add_co_u32_e32 v10, vcc, v10, v16
	v_addc_co_u32_e32 v10, vcc, v12, v17, vcc
	v_addc_co_u32_e32 v12, vcc, 0, v19, vcc
	v_add_co_u32_e32 v10, vcc, v10, v18
	v_addc_co_u32_e32 v12, vcc, 0, v12, vcc
	v_mul_lo_u32 v14, s41, v10
	v_mul_lo_u32 v18, s40, v12
	v_mad_u64_u32 v[16:17], s[0:1], s40, v10, 0
	v_add3_u32 v14, v17, v18, v14
	v_sub_u32_e32 v17, v8, v14
	v_mov_b32_e32 v18, s41
	v_sub_co_u32_e32 v5, vcc, v5, v16
	v_subb_co_u32_e64 v16, s[0:1], v17, v18, vcc
	v_subrev_co_u32_e64 v17, s[0:1], s40, v5
	v_subbrev_co_u32_e64 v16, s[0:1], 0, v16, s[0:1]
	v_cmp_le_u32_e64 s[0:1], s41, v16
	v_cndmask_b32_e64 v18, 0, -1, s[0:1]
	v_cmp_le_u32_e64 s[0:1], s40, v17
	v_cndmask_b32_e64 v17, 0, -1, s[0:1]
	v_cmp_eq_u32_e64 s[0:1], s41, v16
	v_cndmask_b32_e64 v16, v18, v17, s[0:1]
	v_add_co_u32_e64 v17, s[0:1], 2, v10
	v_subb_co_u32_e32 v8, vcc, v8, v14, vcc
	v_addc_co_u32_e64 v18, s[0:1], 0, v12, s[0:1]
	v_cmp_le_u32_e32 vcc, s41, v8
	v_add_co_u32_e64 v19, s[0:1], 1, v10
	v_cndmask_b32_e64 v14, 0, -1, vcc
	v_cmp_le_u32_e32 vcc, s40, v5
	v_addc_co_u32_e64 v20, s[0:1], 0, v12, s[0:1]
	v_cndmask_b32_e64 v5, 0, -1, vcc
	v_cmp_eq_u32_e32 vcc, s41, v8
	v_cmp_ne_u32_e64 s[0:1], 0, v16
	v_cndmask_b32_e32 v5, v14, v5, vcc
	v_cmp_ne_u32_e32 vcc, 0, v5
	v_cndmask_b32_e64 v8, v19, v17, s[0:1]
	v_cndmask_b32_e64 v16, v20, v18, s[0:1]
	v_cndmask_b32_e32 v8, v10, v8, vcc
	v_cndmask_b32_e32 v5, v12, v16, vcc
	v_xor_b32_e32 v8, v8, v3
	v_xor_b32_e32 v5, v5, v3
	v_sub_co_u32_e32 v17, vcc, v8, v3
	v_subb_co_u32_e32 v18, vcc, v5, v3, vcc
.LBB0_41:                               ;   in Loop: Header=BB0_23 Depth=2
	s_andn2_saveexec_b64 s[0:1], s[36:37]
	s_cbranch_execz .LBB0_43
; %bb.42:                               ;   in Loop: Header=BB0_23 Depth=2
	v_cvt_f32_u32_e32 v3, s55
	s_sub_i32 s16, 0, s55
	v_mov_b32_e32 v18, v2
	v_rcp_iflag_f32_e32 v3, v3
	v_mul_f32_e32 v3, 0x4f7ffffe, v3
	v_cvt_u32_f32_e32 v3, v3
	v_mul_lo_u32 v5, s16, v3
	v_mul_hi_u32 v5, v3, v5
	v_add_u32_e32 v3, v3, v5
	v_mul_hi_u32 v3, v15, v3
	v_mul_lo_u32 v5, v3, s55
	v_add_u32_e32 v8, 1, v3
	v_sub_u32_e32 v5, v15, v5
	v_subrev_u32_e32 v10, s55, v5
	v_cmp_le_u32_e32 vcc, s55, v5
	v_cndmask_b32_e32 v5, v5, v10, vcc
	v_cndmask_b32_e32 v3, v3, v8, vcc
	v_add_u32_e32 v8, 1, v3
	v_cmp_le_u32_e32 vcc, s55, v5
	v_cndmask_b32_e32 v17, v3, v8, vcc
.LBB0_43:                               ;   in Loop: Header=BB0_23 Depth=2
	s_or_b64 exec, exec, s[0:1]
	s_add_u32 s0, s4, s34
	s_addc_u32 s1, s5, s35
	s_add_i32 s16, s30, 2
	s_lshl_b64 s[34:35], s[16:17], 2
	s_add_u32 s36, s42, s34
	s_addc_u32 s37, s43, s35
	s_load_dword s58, s[36:37], 0x8
	s_load_dword s57, s[0:1], 0x6c
                                        ; implicit-def: $vgpr19_vgpr20
	s_waitcnt lgkmcnt(0)
	s_ashr_i32 s0, s58, 31
	v_or_b32_e32 v3, s0, v18
	v_cmp_ne_u64_e32 vcc, 0, v[2:3]
	s_and_saveexec_b64 s[36:37], vcc
	s_xor_b64 s[36:37], exec, s[36:37]
	s_cbranch_execz .LBB0_45
; %bb.44:                               ;   in Loop: Header=BB0_23 Depth=2
	s_ashr_i32 s38, s0, 31
	s_add_u32 s40, s58, s38
	s_mov_b32 s39, s38
	s_addc_u32 s41, s0, s38
	s_xor_b64 s[40:41], s[40:41], s[38:39]
	v_cvt_f32_u32_e32 v3, s40
	v_cvt_f32_u32_e32 v5, s41
	s_sub_u32 s16, 0, s40
	s_subb_u32 s31, 0, s41
	v_mac_f32_e32 v3, 0x4f800000, v5
	v_rcp_f32_e32 v3, v3
	v_mul_f32_e32 v3, 0x5f7ffffc, v3
	v_mul_f32_e32 v5, 0x2f800000, v3
	v_trunc_f32_e32 v5, v5
	v_mac_f32_e32 v3, 0xcf800000, v5
	v_cvt_u32_f32_e32 v5, v5
	v_cvt_u32_f32_e32 v3, v3
	v_readfirstlane_b32 s39, v5
	v_readfirstlane_b32 s0, v3
	s_mul_i32 s1, s16, s39
	s_mul_hi_u32 s60, s16, s0
	s_mul_i32 s59, s31, s0
	s_add_i32 s1, s60, s1
	s_add_i32 s1, s1, s59
	s_mul_i32 s61, s16, s0
	s_mul_i32 s60, s0, s1
	s_mul_hi_u32 s62, s0, s61
	s_mul_hi_u32 s59, s0, s1
	s_add_u32 s60, s62, s60
	s_addc_u32 s59, 0, s59
	s_mul_hi_u32 s63, s39, s61
	s_mul_i32 s61, s39, s61
	s_add_u32 s60, s60, s61
	s_mul_hi_u32 s62, s39, s1
	s_addc_u32 s59, s59, s63
	s_addc_u32 s60, s62, 0
	s_mul_i32 s1, s39, s1
	s_add_u32 s1, s59, s1
	s_addc_u32 s59, 0, s60
	s_add_u32 s60, s0, s1
	s_cselect_b64 s[0:1], -1, 0
	s_cmp_lg_u64 s[0:1], 0
	s_addc_u32 s39, s39, s59
	s_mul_i32 s0, s16, s39
	s_mul_hi_u32 s1, s16, s60
	s_add_i32 s0, s1, s0
	s_mul_i32 s31, s31, s60
	s_add_i32 s0, s0, s31
	s_mul_i32 s16, s16, s60
	s_mul_hi_u32 s31, s39, s16
	s_mul_i32 s59, s39, s16
	s_mul_i32 s62, s60, s0
	s_mul_hi_u32 s16, s60, s16
	s_mul_hi_u32 s61, s60, s0
	s_add_u32 s16, s16, s62
	s_addc_u32 s61, 0, s61
	s_add_u32 s16, s16, s59
	s_mul_hi_u32 s1, s39, s0
	s_addc_u32 s16, s61, s31
	s_addc_u32 s1, s1, 0
	s_mul_i32 s0, s39, s0
	s_add_u32 s0, s16, s0
	s_addc_u32 s16, 0, s1
	s_add_u32 s31, s60, s0
	s_cselect_b64 s[0:1], -1, 0
	v_ashrrev_i32_e32 v3, 31, v18
	s_cmp_lg_u64 s[0:1], 0
	v_add_co_u32_e32 v5, vcc, v17, v3
	s_addc_u32 s16, s39, s16
	v_xor_b32_e32 v5, v5, v3
	v_addc_co_u32_e32 v8, vcc, v18, v3, vcc
	v_mad_u64_u32 v[18:19], s[0:1], v5, s16, 0
	v_mul_hi_u32 v10, v5, s31
	v_xor_b32_e32 v8, v8, v3
	v_mad_u64_u32 v[20:21], s[0:1], v8, s16, 0
	v_add_co_u32_e32 v10, vcc, v10, v18
	v_addc_co_u32_e32 v12, vcc, 0, v19, vcc
	v_mad_u64_u32 v[18:19], s[0:1], v8, s31, 0
	v_xor_b32_e32 v3, s38, v3
	v_add_co_u32_e32 v10, vcc, v10, v18
	v_addc_co_u32_e32 v10, vcc, v12, v19, vcc
	v_addc_co_u32_e32 v12, vcc, 0, v21, vcc
	v_add_co_u32_e32 v10, vcc, v10, v20
	v_addc_co_u32_e32 v12, vcc, 0, v12, vcc
	v_mul_lo_u32 v14, s41, v10
	v_mul_lo_u32 v16, s40, v12
	v_mad_u64_u32 v[18:19], s[0:1], s40, v10, 0
	v_add3_u32 v14, v19, v16, v14
	v_sub_u32_e32 v16, v8, v14
	v_mov_b32_e32 v19, s41
	v_sub_co_u32_e32 v5, vcc, v5, v18
	v_subb_co_u32_e64 v16, s[0:1], v16, v19, vcc
	v_subrev_co_u32_e64 v18, s[0:1], s40, v5
	v_subbrev_co_u32_e64 v16, s[0:1], 0, v16, s[0:1]
	v_cmp_le_u32_e64 s[0:1], s41, v16
	v_cndmask_b32_e64 v19, 0, -1, s[0:1]
	v_cmp_le_u32_e64 s[0:1], s40, v18
	v_cndmask_b32_e64 v18, 0, -1, s[0:1]
	v_cmp_eq_u32_e64 s[0:1], s41, v16
	v_cndmask_b32_e64 v16, v19, v18, s[0:1]
	v_add_co_u32_e64 v18, s[0:1], 2, v10
	v_subb_co_u32_e32 v8, vcc, v8, v14, vcc
	v_addc_co_u32_e64 v19, s[0:1], 0, v12, s[0:1]
	v_cmp_le_u32_e32 vcc, s41, v8
	v_add_co_u32_e64 v20, s[0:1], 1, v10
	v_cndmask_b32_e64 v14, 0, -1, vcc
	v_cmp_le_u32_e32 vcc, s40, v5
	v_addc_co_u32_e64 v21, s[0:1], 0, v12, s[0:1]
	v_cndmask_b32_e64 v5, 0, -1, vcc
	v_cmp_eq_u32_e32 vcc, s41, v8
	v_cmp_ne_u32_e64 s[0:1], 0, v16
	v_cndmask_b32_e32 v5, v14, v5, vcc
	v_cmp_ne_u32_e32 vcc, 0, v5
	v_cndmask_b32_e64 v8, v20, v18, s[0:1]
	v_cndmask_b32_e64 v16, v21, v19, s[0:1]
	v_cndmask_b32_e32 v8, v10, v8, vcc
	v_cndmask_b32_e32 v5, v12, v16, vcc
	v_xor_b32_e32 v8, v8, v3
	v_xor_b32_e32 v5, v5, v3
	v_sub_co_u32_e32 v19, vcc, v8, v3
	v_subb_co_u32_e32 v20, vcc, v5, v3, vcc
.LBB0_45:                               ;   in Loop: Header=BB0_23 Depth=2
	s_andn2_saveexec_b64 s[0:1], s[36:37]
	s_cbranch_execz .LBB0_47
; %bb.46:                               ;   in Loop: Header=BB0_23 Depth=2
	v_cvt_f32_u32_e32 v3, s58
	s_sub_i32 s16, 0, s58
	v_mov_b32_e32 v20, v2
	v_rcp_iflag_f32_e32 v3, v3
	v_mul_f32_e32 v3, 0x4f7ffffe, v3
	v_cvt_u32_f32_e32 v3, v3
	v_mul_lo_u32 v5, s16, v3
	v_mul_hi_u32 v5, v3, v5
	v_add_u32_e32 v3, v3, v5
	v_mul_hi_u32 v3, v17, v3
	v_mul_lo_u32 v5, v3, s58
	v_add_u32_e32 v8, 1, v3
	v_sub_u32_e32 v5, v17, v5
	v_subrev_u32_e32 v10, s58, v5
	v_cmp_le_u32_e32 vcc, s58, v5
	v_cndmask_b32_e32 v5, v5, v10, vcc
	v_cndmask_b32_e32 v3, v3, v8, vcc
	v_add_u32_e32 v8, 1, v3
	v_cmp_le_u32_e32 vcc, s58, v5
	v_cndmask_b32_e32 v19, v3, v8, vcc
.LBB0_47:                               ;   in Loop: Header=BB0_23 Depth=2
	s_or_b64 exec, exec, s[0:1]
	s_add_u32 s0, s4, s34
	s_addc_u32 s1, s5, s35
	s_add_i32 s16, s30, 1
	s_lshl_b64 s[34:35], s[16:17], 2
	s_add_u32 s36, s42, s34
	s_addc_u32 s37, s43, s35
	s_load_dword s59, s[36:37], 0x8
	s_load_dword s16, s[0:1], 0x6c
                                        ; implicit-def: $vgpr21_vgpr22
	s_waitcnt lgkmcnt(0)
	s_ashr_i32 s0, s59, 31
	v_or_b32_e32 v3, s0, v20
	v_cmp_ne_u64_e32 vcc, 0, v[2:3]
	s_and_saveexec_b64 s[36:37], vcc
	s_xor_b64 s[36:37], exec, s[36:37]
	s_cbranch_execz .LBB0_49
; %bb.48:                               ;   in Loop: Header=BB0_23 Depth=2
	s_ashr_i32 s38, s0, 31
	s_add_u32 s40, s59, s38
	s_mov_b32 s39, s38
	s_addc_u32 s41, s0, s38
	s_xor_b64 s[40:41], s[40:41], s[38:39]
	v_cvt_f32_u32_e32 v3, s40
	v_cvt_f32_u32_e32 v5, s41
	s_sub_u32 s31, 0, s40
	s_subb_u32 s39, 0, s41
	v_mov_b32_e32 v18, s41
	v_mac_f32_e32 v3, 0x4f800000, v5
	v_rcp_f32_e32 v3, v3
	v_mul_f32_e32 v3, 0x5f7ffffc, v3
	v_mul_f32_e32 v5, 0x2f800000, v3
	v_trunc_f32_e32 v5, v5
	v_mac_f32_e32 v3, 0xcf800000, v5
	v_cvt_u32_f32_e32 v5, v5
	v_cvt_u32_f32_e32 v3, v3
	v_readfirstlane_b32 s60, v5
	v_readfirstlane_b32 s0, v3
	s_mul_i32 s1, s31, s60
	s_mul_hi_u32 s62, s31, s0
	s_mul_i32 s61, s39, s0
	s_add_i32 s1, s62, s1
	s_add_i32 s1, s1, s61
	s_mul_i32 s63, s31, s0
	s_mul_i32 s62, s0, s1
	s_mul_hi_u32 s64, s0, s63
	s_mul_hi_u32 s61, s0, s1
	s_add_u32 s62, s64, s62
	s_addc_u32 s61, 0, s61
	s_mul_hi_u32 s65, s60, s63
	s_mul_i32 s63, s60, s63
	s_add_u32 s62, s62, s63
	s_mul_hi_u32 s64, s60, s1
	s_addc_u32 s61, s61, s65
	s_addc_u32 s62, s64, 0
	s_mul_i32 s1, s60, s1
	s_add_u32 s1, s61, s1
	s_addc_u32 s61, 0, s62
	s_add_u32 s62, s0, s1
	s_cselect_b64 s[0:1], -1, 0
	s_cmp_lg_u64 s[0:1], 0
	s_addc_u32 s60, s60, s61
	s_mul_i32 s0, s31, s60
	s_mul_hi_u32 s1, s31, s62
	s_add_i32 s0, s1, s0
	s_mul_i32 s39, s39, s62
	s_add_i32 s0, s0, s39
	s_mul_i32 s31, s31, s62
	s_mul_hi_u32 s39, s60, s31
	s_mul_i32 s61, s60, s31
	s_mul_i32 s64, s62, s0
	s_mul_hi_u32 s31, s62, s31
	s_mul_hi_u32 s63, s62, s0
	s_add_u32 s31, s31, s64
	s_addc_u32 s63, 0, s63
	s_add_u32 s31, s31, s61
	s_mul_hi_u32 s1, s60, s0
	s_addc_u32 s31, s63, s39
	s_addc_u32 s1, s1, 0
	s_mul_i32 s0, s60, s0
	s_add_u32 s0, s31, s0
	s_addc_u32 s31, 0, s1
	s_add_u32 s39, s62, s0
	s_cselect_b64 s[0:1], -1, 0
	v_ashrrev_i32_e32 v3, 31, v20
	s_cmp_lg_u64 s[0:1], 0
	v_add_co_u32_e32 v5, vcc, v19, v3
	s_addc_u32 s31, s60, s31
	v_xor_b32_e32 v5, v5, v3
	v_addc_co_u32_e32 v8, vcc, v20, v3, vcc
	v_mad_u64_u32 v[20:21], s[0:1], v5, s31, 0
	v_mul_hi_u32 v10, v5, s39
	v_xor_b32_e32 v8, v8, v3
	v_mad_u64_u32 v[22:23], s[0:1], v8, s31, 0
	v_add_co_u32_e32 v10, vcc, v10, v20
	v_addc_co_u32_e32 v12, vcc, 0, v21, vcc
	v_mad_u64_u32 v[20:21], s[0:1], v8, s39, 0
	v_xor_b32_e32 v3, s38, v3
	v_add_co_u32_e32 v10, vcc, v10, v20
	v_addc_co_u32_e32 v10, vcc, v12, v21, vcc
	v_addc_co_u32_e32 v12, vcc, 0, v23, vcc
	v_add_co_u32_e32 v10, vcc, v10, v22
	v_addc_co_u32_e32 v12, vcc, 0, v12, vcc
	v_mul_lo_u32 v14, s41, v10
	v_mul_lo_u32 v16, s40, v12
	v_mad_u64_u32 v[20:21], s[0:1], s40, v10, 0
	v_add3_u32 v14, v21, v16, v14
	v_sub_u32_e32 v16, v8, v14
	v_sub_co_u32_e32 v5, vcc, v5, v20
	v_subb_co_u32_e64 v16, s[0:1], v16, v18, vcc
	v_subrev_co_u32_e64 v18, s[0:1], s40, v5
	v_subbrev_co_u32_e64 v16, s[0:1], 0, v16, s[0:1]
	v_cmp_le_u32_e64 s[0:1], s41, v16
	v_cndmask_b32_e64 v20, 0, -1, s[0:1]
	v_cmp_le_u32_e64 s[0:1], s40, v18
	v_cndmask_b32_e64 v18, 0, -1, s[0:1]
	v_cmp_eq_u32_e64 s[0:1], s41, v16
	v_cndmask_b32_e64 v16, v20, v18, s[0:1]
	v_add_co_u32_e64 v18, s[0:1], 2, v10
	v_subb_co_u32_e32 v8, vcc, v8, v14, vcc
	v_addc_co_u32_e64 v20, s[0:1], 0, v12, s[0:1]
	v_cmp_le_u32_e32 vcc, s41, v8
	v_add_co_u32_e64 v21, s[0:1], 1, v10
	v_cndmask_b32_e64 v14, 0, -1, vcc
	v_cmp_le_u32_e32 vcc, s40, v5
	v_addc_co_u32_e64 v22, s[0:1], 0, v12, s[0:1]
	v_cndmask_b32_e64 v5, 0, -1, vcc
	v_cmp_eq_u32_e32 vcc, s41, v8
	v_cmp_ne_u32_e64 s[0:1], 0, v16
	v_cndmask_b32_e32 v5, v14, v5, vcc
	v_cmp_ne_u32_e32 vcc, 0, v5
	v_cndmask_b32_e64 v8, v21, v18, s[0:1]
	v_cndmask_b32_e64 v16, v22, v20, s[0:1]
	v_cndmask_b32_e32 v8, v10, v8, vcc
	v_cndmask_b32_e32 v5, v12, v16, vcc
	v_xor_b32_e32 v8, v8, v3
	v_xor_b32_e32 v5, v5, v3
	v_sub_co_u32_e32 v21, vcc, v8, v3
	v_subb_co_u32_e32 v22, vcc, v5, v3, vcc
.LBB0_49:                               ;   in Loop: Header=BB0_23 Depth=2
	s_andn2_saveexec_b64 s[0:1], s[36:37]
	s_cbranch_execz .LBB0_51
; %bb.50:                               ;   in Loop: Header=BB0_23 Depth=2
	v_cvt_f32_u32_e32 v3, s59
	s_sub_i32 s31, 0, s59
	v_mov_b32_e32 v22, v2
	v_rcp_iflag_f32_e32 v3, v3
	v_mul_f32_e32 v3, 0x4f7ffffe, v3
	v_cvt_u32_f32_e32 v3, v3
	v_mul_lo_u32 v5, s31, v3
	v_mul_hi_u32 v5, v3, v5
	v_add_u32_e32 v3, v3, v5
	v_mul_hi_u32 v3, v19, v3
	v_mul_lo_u32 v5, v3, s59
	v_add_u32_e32 v8, 1, v3
	v_sub_u32_e32 v5, v19, v5
	v_subrev_u32_e32 v10, s59, v5
	v_cmp_le_u32_e32 vcc, s59, v5
	v_cndmask_b32_e32 v5, v5, v10, vcc
	v_cndmask_b32_e32 v3, v3, v8, vcc
	v_add_u32_e32 v8, 1, v3
	v_cmp_le_u32_e32 vcc, s59, v5
	v_cndmask_b32_e32 v21, v3, v8, vcc
.LBB0_51:                               ;   in Loop: Header=BB0_23 Depth=2
	s_or_b64 exec, exec, s[0:1]
	s_add_u32 s0, s4, s34
	s_mov_b32 s31, s17
	s_addc_u32 s1, s5, s35
	s_lshl_b64 s[34:35], s[30:31], 2
	s_add_u32 s36, s42, s34
	s_addc_u32 s37, s43, s35
	s_load_dword s60, s[36:37], 0x8
	s_load_dword s31, s[0:1], 0x6c
                                        ; implicit-def: $vgpr23_vgpr24
	s_waitcnt lgkmcnt(0)
	s_ashr_i32 s0, s60, 31
	v_or_b32_e32 v3, s0, v22
	v_cmp_ne_u64_e32 vcc, 0, v[2:3]
	s_and_saveexec_b64 s[36:37], vcc
	s_xor_b64 s[36:37], exec, s[36:37]
	s_cbranch_execz .LBB0_53
; %bb.52:                               ;   in Loop: Header=BB0_23 Depth=2
	s_ashr_i32 s38, s0, 31
	s_add_u32 s40, s60, s38
	s_mov_b32 s39, s38
	s_addc_u32 s41, s0, s38
	s_xor_b64 s[40:41], s[40:41], s[38:39]
	v_cvt_f32_u32_e32 v3, s40
	v_cvt_f32_u32_e32 v5, s41
	s_sub_u32 s39, 0, s40
	s_subb_u32 s61, 0, s41
	v_mov_b32_e32 v18, s41
	v_mac_f32_e32 v3, 0x4f800000, v5
	v_rcp_f32_e32 v3, v3
	v_mul_f32_e32 v3, 0x5f7ffffc, v3
	v_mul_f32_e32 v5, 0x2f800000, v3
	v_trunc_f32_e32 v5, v5
	v_mac_f32_e32 v3, 0xcf800000, v5
	v_cvt_u32_f32_e32 v5, v5
	v_cvt_u32_f32_e32 v3, v3
	v_readfirstlane_b32 s62, v5
	v_readfirstlane_b32 s0, v3
	s_mul_i32 s1, s39, s62
	s_mul_hi_u32 s64, s39, s0
	s_mul_i32 s63, s61, s0
	s_add_i32 s1, s64, s1
	s_add_i32 s1, s1, s63
	s_mul_i32 s65, s39, s0
	s_mul_i32 s64, s0, s1
	s_mul_hi_u32 s66, s0, s65
	s_mul_hi_u32 s63, s0, s1
	s_add_u32 s64, s66, s64
	s_addc_u32 s63, 0, s63
	s_mul_hi_u32 s67, s62, s65
	s_mul_i32 s65, s62, s65
	s_add_u32 s64, s64, s65
	s_mul_hi_u32 s66, s62, s1
	s_addc_u32 s63, s63, s67
	s_addc_u32 s64, s66, 0
	s_mul_i32 s1, s62, s1
	s_add_u32 s1, s63, s1
	s_addc_u32 s63, 0, s64
	s_add_u32 s64, s0, s1
	s_cselect_b64 s[0:1], -1, 0
	s_cmp_lg_u64 s[0:1], 0
	s_addc_u32 s62, s62, s63
	s_mul_i32 s0, s39, s62
	s_mul_hi_u32 s1, s39, s64
	s_add_i32 s0, s1, s0
	s_mul_i32 s61, s61, s64
	s_add_i32 s0, s0, s61
	s_mul_i32 s39, s39, s64
	s_mul_hi_u32 s61, s62, s39
	s_mul_i32 s63, s62, s39
	s_mul_i32 s66, s64, s0
	s_mul_hi_u32 s39, s64, s39
	s_mul_hi_u32 s65, s64, s0
	s_add_u32 s39, s39, s66
	s_addc_u32 s65, 0, s65
	s_add_u32 s39, s39, s63
	s_mul_hi_u32 s1, s62, s0
	s_addc_u32 s39, s65, s61
	s_addc_u32 s1, s1, 0
	s_mul_i32 s0, s62, s0
	s_add_u32 s0, s39, s0
	s_addc_u32 s39, 0, s1
	s_add_u32 s61, s64, s0
	s_cselect_b64 s[0:1], -1, 0
	v_ashrrev_i32_e32 v3, 31, v22
	s_cmp_lg_u64 s[0:1], 0
	v_add_co_u32_e32 v5, vcc, v21, v3
	s_addc_u32 s39, s62, s39
	v_xor_b32_e32 v5, v5, v3
	v_addc_co_u32_e32 v8, vcc, v22, v3, vcc
	v_mad_u64_u32 v[22:23], s[0:1], v5, s39, 0
	v_mul_hi_u32 v10, v5, s61
	v_xor_b32_e32 v8, v8, v3
	v_mad_u64_u32 v[27:28], s[0:1], v8, s39, 0
	v_add_co_u32_e32 v10, vcc, v10, v22
	v_addc_co_u32_e32 v12, vcc, 0, v23, vcc
	v_mad_u64_u32 v[22:23], s[0:1], v8, s61, 0
	v_xor_b32_e32 v3, s38, v3
	v_add_co_u32_e32 v10, vcc, v10, v22
	v_addc_co_u32_e32 v10, vcc, v12, v23, vcc
	v_addc_co_u32_e32 v12, vcc, 0, v28, vcc
	v_add_co_u32_e32 v10, vcc, v10, v27
	v_addc_co_u32_e32 v12, vcc, 0, v12, vcc
	v_mul_lo_u32 v14, s41, v10
	v_mul_lo_u32 v16, s40, v12
	v_mad_u64_u32 v[22:23], s[0:1], s40, v10, 0
	v_add3_u32 v14, v23, v16, v14
	v_sub_u32_e32 v16, v8, v14
	v_sub_co_u32_e32 v5, vcc, v5, v22
	v_subb_co_u32_e64 v16, s[0:1], v16, v18, vcc
	v_subrev_co_u32_e64 v18, s[0:1], s40, v5
	v_subbrev_co_u32_e64 v16, s[0:1], 0, v16, s[0:1]
	v_cmp_le_u32_e64 s[0:1], s41, v16
	v_cndmask_b32_e64 v20, 0, -1, s[0:1]
	v_cmp_le_u32_e64 s[0:1], s40, v18
	v_cndmask_b32_e64 v18, 0, -1, s[0:1]
	v_cmp_eq_u32_e64 s[0:1], s41, v16
	v_cndmask_b32_e64 v16, v20, v18, s[0:1]
	v_add_co_u32_e64 v18, s[0:1], 2, v10
	v_subb_co_u32_e32 v8, vcc, v8, v14, vcc
	v_addc_co_u32_e64 v20, s[0:1], 0, v12, s[0:1]
	v_cmp_le_u32_e32 vcc, s41, v8
	v_add_co_u32_e64 v22, s[0:1], 1, v10
	v_cndmask_b32_e64 v14, 0, -1, vcc
	v_cmp_le_u32_e32 vcc, s40, v5
	v_addc_co_u32_e64 v23, s[0:1], 0, v12, s[0:1]
	v_cndmask_b32_e64 v5, 0, -1, vcc
	v_cmp_eq_u32_e32 vcc, s41, v8
	v_cmp_ne_u32_e64 s[0:1], 0, v16
	v_cndmask_b32_e32 v5, v14, v5, vcc
	v_cmp_ne_u32_e32 vcc, 0, v5
	v_cndmask_b32_e64 v8, v22, v18, s[0:1]
	v_cndmask_b32_e64 v16, v23, v20, s[0:1]
	v_cndmask_b32_e32 v8, v10, v8, vcc
	v_cndmask_b32_e32 v5, v12, v16, vcc
	v_xor_b32_e32 v8, v8, v3
	v_xor_b32_e32 v5, v5, v3
	v_sub_co_u32_e32 v23, vcc, v8, v3
	v_subb_co_u32_e32 v24, vcc, v5, v3, vcc
.LBB0_53:                               ;   in Loop: Header=BB0_23 Depth=2
	s_andn2_saveexec_b64 s[0:1], s[36:37]
	s_cbranch_execz .LBB0_55
; %bb.54:                               ;   in Loop: Header=BB0_23 Depth=2
	v_cvt_f32_u32_e32 v3, s60
	s_sub_i32 s36, 0, s60
	v_mov_b32_e32 v24, v2
	v_rcp_iflag_f32_e32 v3, v3
	v_mul_f32_e32 v3, 0x4f7ffffe, v3
	v_cvt_u32_f32_e32 v3, v3
	v_mul_lo_u32 v5, s36, v3
	v_mul_hi_u32 v5, v3, v5
	v_add_u32_e32 v3, v3, v5
	v_mul_hi_u32 v3, v21, v3
	v_mul_lo_u32 v5, v3, s60
	v_add_u32_e32 v8, 1, v3
	v_sub_u32_e32 v5, v21, v5
	v_subrev_u32_e32 v10, s60, v5
	v_cmp_le_u32_e32 vcc, s60, v5
	v_cndmask_b32_e32 v5, v5, v10, vcc
	v_cndmask_b32_e32 v3, v3, v8, vcc
	v_add_u32_e32 v8, 1, v3
	v_cmp_le_u32_e32 vcc, s60, v5
	v_cndmask_b32_e32 v23, v3, v8, vcc
.LBB0_55:                               ;   in Loop: Header=BB0_23 Depth=2
	s_or_b64 exec, exec, s[0:1]
	v_mul_lo_u32 v3, v9, s25
	v_mul_lo_u32 v5, v11, s50
	;; [unrolled: 1-line block ×3, first 2 shown]
	s_add_u32 s0, s4, s34
	v_sub_u32_e32 v3, v7, v3
	v_mul_lo_u32 v7, v15, s54
	v_sub_u32_e32 v5, v9, v5
	v_mul_lo_u32 v3, s28, v3
	v_mul_lo_u32 v5, s51, v5
	v_sub_u32_e32 v8, v11, v8
	v_sub_u32_e32 v7, v13, v7
	v_mul_lo_u32 v8, s53, v8
	v_mul_lo_u32 v7, s56, v7
	v_mul_lo_u32 v9, v17, s55
	v_add3_u32 v3, v3, v4, v5
	v_mul_lo_u32 v4, v19, s58
	s_addc_u32 s1, s5, s35
	v_add3_u32 v3, v8, v3, v7
	v_mul_lo_u32 v7, v21, s59
	v_mul_lo_u32 v8, v23, s60
	s_load_dword s0, s[0:1], 0x6c
	v_sub_u32_e32 v5, v15, v9
	v_sub_u32_e32 v4, v17, v4
	v_mul_lo_u32 v5, s57, v5
	v_mul_lo_u32 v4, s16, v4
	v_sub_u32_e32 v7, v19, v7
	v_sub_u32_e32 v8, v21, v8
	v_mul_lo_u32 v7, s31, v7
	s_waitcnt lgkmcnt(0)
	v_mul_lo_u32 v8, s0, v8
	v_add3_u32 v3, v5, v3, v4
	s_add_i32 s30, s30, -8
	s_cmp_eq_u32 s30, -8
	v_add3_u32 v4, v7, v3, v8
	s_cbranch_scc1 .LBB0_57
; %bb.56:                               ;   in Loop: Header=BB0_23 Depth=2
	v_mov_b32_e32 v7, v23
	v_mov_b32_e32 v8, v24
	s_branch .LBB0_23
.LBB0_57:                               ;   in Loop: Header=BB0_3 Depth=1
	s_load_dword s16, s[2:3], 0x4
	s_waitcnt lgkmcnt(0)
	v_cmp_gt_i32_e32 vcc, s16, v26
	s_and_b64 exec, exec, vcc
	s_cbranch_execz .LBB0_2
; %bb.58:                               ;   in Loop: Header=BB0_3 Depth=1
	v_ashrrev_i32_e32 v7, 31, v6
	v_cmp_lt_i64_e32 vcc, s[8:9], v[6:7]
	s_and_saveexec_b64 s[0:1], vcc
	s_cbranch_execz .LBB0_60
; %bb.59:                               ;   in Loop: Header=BB0_3 Depth=1
	v_ashrrev_i32_e32 v3, 31, v4
	v_mov_b32_e32 v6, s13
	v_add_co_u32_e32 v5, vcc, s12, v4
	v_addc_co_u32_e32 v6, vcc, v6, v3, vcc
	global_store_byte v[5:6], v2, off
.LBB0_60:                               ;   in Loop: Header=BB0_3 Depth=1
	s_or_b64 exec, exec, s[0:1]
	v_add_u32_e32 v3, 1, v26
	v_cmp_gt_i32_e32 vcc, s16, v3
	s_and_b64 exec, exec, vcc
	s_cbranch_execz .LBB0_2
; %bb.61:                               ;   in Loop: Header=BB0_3 Depth=1
	v_sub_u32_e32 v5, v3, v25
	v_ashrrev_i32_e32 v6, 31, v5
	v_cmp_lt_i64_e32 vcc, s[8:9], v[5:6]
	s_and_saveexec_b64 s[0:1], vcc
	s_cbranch_execz .LBB0_63
; %bb.62:                               ;   in Loop: Header=BB0_3 Depth=1
	v_add_u32_e32 v3, s29, v4
	v_ashrrev_i32_e32 v6, 31, v3
	v_mov_b32_e32 v7, s13
	v_add_co_u32_e32 v5, vcc, s12, v3
	v_addc_co_u32_e32 v6, vcc, v7, v6, vcc
	global_store_byte v[5:6], v2, off
.LBB0_63:                               ;   in Loop: Header=BB0_3 Depth=1
	s_or_b64 exec, exec, s[0:1]
	v_add_u32_e32 v3, 2, v26
	v_cmp_gt_i32_e32 vcc, s16, v3
	s_and_b64 exec, exec, vcc
	s_cbranch_execz .LBB0_2
; %bb.64:                               ;   in Loop: Header=BB0_3 Depth=1
	v_sub_u32_e32 v5, v3, v25
	v_ashrrev_i32_e32 v6, 31, v5
	v_cmp_lt_i64_e32 vcc, s[8:9], v[5:6]
	s_and_saveexec_b64 s[0:1], vcc
	s_cbranch_execz .LBB0_66
; %bb.65:                               ;   in Loop: Header=BB0_3 Depth=1
	v_lshl_add_u32 v3, s29, 1, v4
	v_ashrrev_i32_e32 v6, 31, v3
	v_mov_b32_e32 v7, s13
	v_add_co_u32_e32 v5, vcc, s12, v3
	v_addc_co_u32_e32 v6, vcc, v7, v6, vcc
	global_store_byte v[5:6], v2, off
.LBB0_66:                               ;   in Loop: Header=BB0_3 Depth=1
	s_or_b64 exec, exec, s[0:1]
	v_add_u32_e32 v3, 3, v26
	v_cmp_gt_i32_e32 vcc, s16, v3
	s_and_b64 exec, exec, vcc
	s_cbranch_execz .LBB0_2
; %bb.67:                               ;   in Loop: Header=BB0_3 Depth=1
	v_sub_u32_e32 v5, v3, v25
	v_ashrrev_i32_e32 v6, 31, v5
	v_cmp_lt_i64_e32 vcc, s[8:9], v[5:6]
	s_and_b64 exec, exec, vcc
	s_cbranch_execz .LBB0_2
; %bb.68:                               ;   in Loop: Header=BB0_3 Depth=1
	v_mad_u64_u32 v[3:4], s[0:1], s29, 3, v[4:5]
	v_mov_b32_e32 v4, s13
	v_ashrrev_i32_e32 v5, 31, v3
	v_add_co_u32_e32 v3, vcc, s12, v3
	v_addc_co_u32_e32 v4, vcc, v4, v5, vcc
	global_store_byte v[3:4], v2, off
	s_branch .LBB0_2
.LBB0_69:
	s_endpgm
	.section	.rodata,"a",@progbits
	.p2align	6, 0x0
	.amdhsa_kernel _ZN2at6native16triu_tril_kernelIhiLb0ELi4ELb1EEEvNS_4cuda6detail10TensorInfoIT_T0_EENS4_IKS5_S6_EEllS6_
		.amdhsa_group_segment_fixed_size 0
		.amdhsa_private_segment_fixed_size 0
		.amdhsa_kernarg_size 712
		.amdhsa_user_sgpr_count 6
		.amdhsa_user_sgpr_private_segment_buffer 1
		.amdhsa_user_sgpr_dispatch_ptr 0
		.amdhsa_user_sgpr_queue_ptr 0
		.amdhsa_user_sgpr_kernarg_segment_ptr 1
		.amdhsa_user_sgpr_dispatch_id 0
		.amdhsa_user_sgpr_flat_scratch_init 0
		.amdhsa_user_sgpr_private_segment_size 0
		.amdhsa_uses_dynamic_stack 0
		.amdhsa_system_sgpr_private_segment_wavefront_offset 0
		.amdhsa_system_sgpr_workgroup_id_x 1
		.amdhsa_system_sgpr_workgroup_id_y 0
		.amdhsa_system_sgpr_workgroup_id_z 0
		.amdhsa_system_sgpr_workgroup_info 0
		.amdhsa_system_vgpr_workitem_id 0
		.amdhsa_next_free_vgpr 29
		.amdhsa_next_free_sgpr 68
		.amdhsa_reserve_vcc 1
		.amdhsa_reserve_flat_scratch 0
		.amdhsa_float_round_mode_32 0
		.amdhsa_float_round_mode_16_64 0
		.amdhsa_float_denorm_mode_32 3
		.amdhsa_float_denorm_mode_16_64 3
		.amdhsa_dx10_clamp 1
		.amdhsa_ieee_mode 1
		.amdhsa_fp16_overflow 0
		.amdhsa_exception_fp_ieee_invalid_op 0
		.amdhsa_exception_fp_denorm_src 0
		.amdhsa_exception_fp_ieee_div_zero 0
		.amdhsa_exception_fp_ieee_overflow 0
		.amdhsa_exception_fp_ieee_underflow 0
		.amdhsa_exception_fp_ieee_inexact 0
		.amdhsa_exception_int_div_zero 0
	.end_amdhsa_kernel
	.section	.text._ZN2at6native16triu_tril_kernelIhiLb0ELi4ELb1EEEvNS_4cuda6detail10TensorInfoIT_T0_EENS4_IKS5_S6_EEllS6_,"axG",@progbits,_ZN2at6native16triu_tril_kernelIhiLb0ELi4ELb1EEEvNS_4cuda6detail10TensorInfoIT_T0_EENS4_IKS5_S6_EEllS6_,comdat
.Lfunc_end0:
	.size	_ZN2at6native16triu_tril_kernelIhiLb0ELi4ELb1EEEvNS_4cuda6detail10TensorInfoIT_T0_EENS4_IKS5_S6_EEllS6_, .Lfunc_end0-_ZN2at6native16triu_tril_kernelIhiLb0ELi4ELb1EEEvNS_4cuda6detail10TensorInfoIT_T0_EENS4_IKS5_S6_EEllS6_
                                        ; -- End function
	.set _ZN2at6native16triu_tril_kernelIhiLb0ELi4ELb1EEEvNS_4cuda6detail10TensorInfoIT_T0_EENS4_IKS5_S6_EEllS6_.num_vgpr, 29
	.set _ZN2at6native16triu_tril_kernelIhiLb0ELi4ELb1EEEvNS_4cuda6detail10TensorInfoIT_T0_EENS4_IKS5_S6_EEllS6_.num_agpr, 0
	.set _ZN2at6native16triu_tril_kernelIhiLb0ELi4ELb1EEEvNS_4cuda6detail10TensorInfoIT_T0_EENS4_IKS5_S6_EEllS6_.numbered_sgpr, 68
	.set _ZN2at6native16triu_tril_kernelIhiLb0ELi4ELb1EEEvNS_4cuda6detail10TensorInfoIT_T0_EENS4_IKS5_S6_EEllS6_.num_named_barrier, 0
	.set _ZN2at6native16triu_tril_kernelIhiLb0ELi4ELb1EEEvNS_4cuda6detail10TensorInfoIT_T0_EENS4_IKS5_S6_EEllS6_.private_seg_size, 0
	.set _ZN2at6native16triu_tril_kernelIhiLb0ELi4ELb1EEEvNS_4cuda6detail10TensorInfoIT_T0_EENS4_IKS5_S6_EEllS6_.uses_vcc, 1
	.set _ZN2at6native16triu_tril_kernelIhiLb0ELi4ELb1EEEvNS_4cuda6detail10TensorInfoIT_T0_EENS4_IKS5_S6_EEllS6_.uses_flat_scratch, 0
	.set _ZN2at6native16triu_tril_kernelIhiLb0ELi4ELb1EEEvNS_4cuda6detail10TensorInfoIT_T0_EENS4_IKS5_S6_EEllS6_.has_dyn_sized_stack, 0
	.set _ZN2at6native16triu_tril_kernelIhiLb0ELi4ELb1EEEvNS_4cuda6detail10TensorInfoIT_T0_EENS4_IKS5_S6_EEllS6_.has_recursion, 0
	.set _ZN2at6native16triu_tril_kernelIhiLb0ELi4ELb1EEEvNS_4cuda6detail10TensorInfoIT_T0_EENS4_IKS5_S6_EEllS6_.has_indirect_call, 0
	.section	.AMDGPU.csdata,"",@progbits
; Kernel info:
; codeLenInByte = 9468
; TotalNumSgprs: 72
; NumVgprs: 29
; ScratchSize: 0
; MemoryBound: 0
; FloatMode: 240
; IeeeMode: 1
; LDSByteSize: 0 bytes/workgroup (compile time only)
; SGPRBlocks: 8
; VGPRBlocks: 7
; NumSGPRsForWavesPerEU: 72
; NumVGPRsForWavesPerEU: 29
; Occupancy: 8
; WaveLimiterHint : 0
; COMPUTE_PGM_RSRC2:SCRATCH_EN: 0
; COMPUTE_PGM_RSRC2:USER_SGPR: 6
; COMPUTE_PGM_RSRC2:TRAP_HANDLER: 0
; COMPUTE_PGM_RSRC2:TGID_X_EN: 1
; COMPUTE_PGM_RSRC2:TGID_Y_EN: 0
; COMPUTE_PGM_RSRC2:TGID_Z_EN: 0
; COMPUTE_PGM_RSRC2:TIDIG_COMP_CNT: 0
	.section	.text._ZN2at6native16triu_tril_kernelIhiLb0ELi4ELb0EEEvNS_4cuda6detail10TensorInfoIT_T0_EENS4_IKS5_S6_EEllS6_,"axG",@progbits,_ZN2at6native16triu_tril_kernelIhiLb0ELi4ELb0EEEvNS_4cuda6detail10TensorInfoIT_T0_EENS4_IKS5_S6_EEllS6_,comdat
	.protected	_ZN2at6native16triu_tril_kernelIhiLb0ELi4ELb0EEEvNS_4cuda6detail10TensorInfoIT_T0_EENS4_IKS5_S6_EEllS6_ ; -- Begin function _ZN2at6native16triu_tril_kernelIhiLb0ELi4ELb0EEEvNS_4cuda6detail10TensorInfoIT_T0_EENS4_IKS5_S6_EEllS6_
	.globl	_ZN2at6native16triu_tril_kernelIhiLb0ELi4ELb0EEEvNS_4cuda6detail10TensorInfoIT_T0_EENS4_IKS5_S6_EEllS6_
	.p2align	8
	.type	_ZN2at6native16triu_tril_kernelIhiLb0ELi4ELb0EEEvNS_4cuda6detail10TensorInfoIT_T0_EENS4_IKS5_S6_EEllS6_,@function
_ZN2at6native16triu_tril_kernelIhiLb0ELi4ELb0EEEvNS_4cuda6detail10TensorInfoIT_T0_EENS4_IKS5_S6_EEllS6_: ; @_ZN2at6native16triu_tril_kernelIhiLb0ELi4ELb0EEEvNS_4cuda6detail10TensorInfoIT_T0_EENS4_IKS5_S6_EEllS6_
; %bb.0:
	s_load_dword s2, s[4:5], 0x1d4
	s_load_dwordx4 s[8:11], s[4:5], 0x1b0
	s_add_u32 s0, s4, 0x1c8
	v_mov_b32_e32 v2, 0
	s_addc_u32 s1, s5, 0
	s_waitcnt lgkmcnt(0)
	s_and_b32 s12, s2, 0xffff
	v_mov_b32_e32 v1, v2
	v_mov_b32_e32 v3, s6
	v_mad_u64_u32 v[0:1], s[2:3], s12, v3, v[0:1]
	v_lshlrev_b64 v[0:1], 2, v[0:1]
	v_cmp_gt_i64_e32 vcc, s[10:11], v[0:1]
	s_and_saveexec_b64 s[2:3], vcc
	s_cbranch_execz .LBB1_54
; %bb.1:
	s_load_dword s33, s[4:5], 0x1c0
	s_load_dwordx2 s[2:3], s[4:5], 0xd8
	s_load_dwordx2 s[18:19], s[4:5], 0x0
	s_load_dword s20, s[4:5], 0x1a8
	s_load_dword s13, s[0:1], 0x0
	s_add_u32 s48, s4, 0xd8
	s_addc_u32 s49, s5, 0
	s_waitcnt lgkmcnt(0)
	s_ashr_i32 s50, s33, 31
	s_ashr_i32 s21, s20, 31
	s_lshl_b64 s[0:1], s[20:21], 2
	s_add_u32 s16, s48, s0
	s_addc_u32 s17, s49, s1
	s_load_dwordx2 s[6:7], s[16:17], 0x0
	s_load_dwordx2 s[14:15], s[16:17], 0x64
	s_mul_i32 s22, s13, s12
	v_cmp_gt_i64_e64 s[12:13], s[20:21], 2
	s_mov_b32 s21, 0
	s_waitcnt lgkmcnt(0)
	s_ashr_i32 s51, s6, 31
	s_add_u32 s0, s4, s0
	s_addc_u32 s1, s5, s1
	s_load_dwordx2 s[16:17], s[0:1], 0x64
	s_add_i32 s52, s20, -3
	s_lshl_b32 s53, s22, 2
	s_and_b32 s54, s20, 3
	s_cmp_lg_u32 s54, 2
	s_cselect_b64 s[30:31], -1, 0
	s_cmp_gt_u32 s52, 2
	s_mov_b32 s22, s8
	s_mov_b32 s23, s9
	;; [unrolled: 1-line block ×8, first 2 shown]
	s_cselect_b64 s[34:35], -1, 0
	s_ashr_i32 s55, s15, 31
	s_mov_b32 s56, s15
	s_add_i32 s15, s15, s15
	s_waitcnt lgkmcnt(0)
	s_ashr_i32 s57, s17, 31
	s_mov_b32 s58, s17
	s_add_i32 s17, s17, s17
	s_mov_b64 s[36:37], 0
	s_branch .LBB1_3
.LBB1_2:                                ;   in Loop: Header=BB1_3 Depth=1
	s_or_b64 exec, exec, s[0:1]
	v_add_co_u32_e32 v0, vcc, s53, v0
	v_addc_co_u32_e32 v1, vcc, 0, v1, vcc
	v_cmp_le_i64_e32 vcc, s[10:11], v[0:1]
	s_or_b64 s[36:37], vcc, s[36:37]
	s_andn2_b64 exec, exec, s[36:37]
	s_cbranch_execz .LBB1_54
.LBB1_3:                                ; =>This Loop Header: Depth=1
                                        ;     Child Loop BB1_13 Depth 2
                                        ;     Child Loop BB1_21 Depth 2
	v_or_b32_e32 v3, s50, v1
	v_cmp_ne_u64_e32 vcc, 0, v[2:3]
                                        ; implicit-def: $vgpr4_vgpr5
	s_and_saveexec_b64 s[0:1], vcc
	s_xor_b64 s[38:39], exec, s[0:1]
	s_cbranch_execz .LBB1_5
; %bb.4:                                ;   in Loop: Header=BB1_3 Depth=1
	s_ashr_i32 s40, s50, 31
	s_add_u32 s0, s33, s40
	s_mov_b32 s41, s40
	s_addc_u32 s1, s50, s40
	s_xor_b64 s[42:43], s[0:1], s[40:41]
	v_cvt_f32_u32_e32 v3, s42
	v_cvt_f32_u32_e32 v4, s43
	s_sub_u32 s20, 0, s42
	s_subb_u32 s41, 0, s43
	v_ashrrev_i32_e32 v7, 31, v1
	v_mac_f32_e32 v3, 0x4f800000, v4
	v_rcp_f32_e32 v3, v3
	v_mul_f32_e32 v3, 0x5f7ffffc, v3
	v_mul_f32_e32 v4, 0x2f800000, v3
	v_trunc_f32_e32 v4, v4
	v_mac_f32_e32 v3, 0xcf800000, v4
	v_cvt_u32_f32_e32 v4, v4
	v_cvt_u32_f32_e32 v3, v3
	v_readfirstlane_b32 s44, v4
	v_readfirstlane_b32 s0, v3
	s_mul_i32 s1, s20, s44
	s_mul_hi_u32 s46, s20, s0
	s_mul_i32 s45, s41, s0
	s_add_i32 s1, s46, s1
	s_add_i32 s1, s1, s45
	s_mul_i32 s47, s20, s0
	s_mul_i32 s46, s0, s1
	s_mul_hi_u32 s59, s0, s47
	s_mul_hi_u32 s45, s0, s1
	s_add_u32 s46, s59, s46
	s_addc_u32 s45, 0, s45
	s_mul_hi_u32 s60, s44, s47
	s_mul_i32 s47, s44, s47
	s_add_u32 s46, s46, s47
	s_mul_hi_u32 s59, s44, s1
	s_addc_u32 s45, s45, s60
	s_addc_u32 s46, s59, 0
	s_mul_i32 s1, s44, s1
	s_add_u32 s1, s45, s1
	s_addc_u32 s45, 0, s46
	s_add_u32 s46, s0, s1
	s_cselect_b64 s[0:1], -1, 0
	s_cmp_lg_u64 s[0:1], 0
	s_addc_u32 s44, s44, s45
	s_mul_i32 s0, s20, s44
	s_mul_hi_u32 s1, s20, s46
	s_add_i32 s0, s1, s0
	s_mul_i32 s41, s41, s46
	s_add_i32 s0, s0, s41
	s_mul_i32 s20, s20, s46
	s_mul_hi_u32 s41, s44, s20
	s_mul_i32 s45, s44, s20
	s_mul_i32 s59, s46, s0
	s_mul_hi_u32 s20, s46, s20
	s_mul_hi_u32 s47, s46, s0
	s_add_u32 s20, s20, s59
	s_addc_u32 s47, 0, s47
	s_add_u32 s20, s20, s45
	s_mul_hi_u32 s1, s44, s0
	s_addc_u32 s20, s47, s41
	s_addc_u32 s1, s1, 0
	s_mul_i32 s0, s44, s0
	s_add_u32 s0, s20, s0
	s_addc_u32 s20, 0, s1
	s_add_u32 s41, s46, s0
	s_cselect_b64 s[0:1], -1, 0
	s_cmp_lg_u64 s[0:1], 0
	v_add_co_u32_e32 v3, vcc, v0, v7
	s_addc_u32 s20, s44, s20
	v_xor_b32_e32 v8, v3, v7
	v_mad_u64_u32 v[3:4], s[0:1], v8, s20, 0
	v_mul_hi_u32 v6, v8, s41
	v_addc_co_u32_e32 v5, vcc, v1, v7, vcc
	v_xor_b32_e32 v9, v5, v7
	v_add_co_u32_e32 v10, vcc, v6, v3
	v_addc_co_u32_e32 v11, vcc, 0, v4, vcc
	v_mad_u64_u32 v[3:4], s[0:1], v9, s41, 0
	v_mad_u64_u32 v[5:6], s[0:1], v9, s20, 0
	v_add_co_u32_e32 v3, vcc, v10, v3
	v_addc_co_u32_e32 v3, vcc, v11, v4, vcc
	v_addc_co_u32_e32 v4, vcc, 0, v6, vcc
	v_add_co_u32_e32 v5, vcc, v3, v5
	v_addc_co_u32_e32 v6, vcc, 0, v4, vcc
	v_mul_lo_u32 v10, s43, v5
	v_mul_lo_u32 v11, s42, v6
	v_mad_u64_u32 v[3:4], s[0:1], s42, v5, 0
	v_add3_u32 v4, v4, v11, v10
	v_sub_u32_e32 v10, v9, v4
	v_mov_b32_e32 v11, s43
	v_sub_co_u32_e32 v3, vcc, v8, v3
	v_subb_co_u32_e64 v8, s[0:1], v10, v11, vcc
	v_subrev_co_u32_e64 v10, s[0:1], s42, v3
	v_subbrev_co_u32_e64 v8, s[0:1], 0, v8, s[0:1]
	v_cmp_le_u32_e64 s[0:1], s43, v8
	v_cndmask_b32_e64 v11, 0, -1, s[0:1]
	v_cmp_le_u32_e64 s[0:1], s42, v10
	v_cndmask_b32_e64 v10, 0, -1, s[0:1]
	v_cmp_eq_u32_e64 s[0:1], s43, v8
	v_cndmask_b32_e64 v8, v11, v10, s[0:1]
	v_add_co_u32_e64 v10, s[0:1], 2, v5
	v_subb_co_u32_e32 v4, vcc, v9, v4, vcc
	v_addc_co_u32_e64 v11, s[0:1], 0, v6, s[0:1]
	v_cmp_le_u32_e32 vcc, s43, v4
	v_add_co_u32_e64 v12, s[0:1], 1, v5
	v_cndmask_b32_e64 v9, 0, -1, vcc
	v_cmp_le_u32_e32 vcc, s42, v3
	v_addc_co_u32_e64 v13, s[0:1], 0, v6, s[0:1]
	v_cndmask_b32_e64 v3, 0, -1, vcc
	v_cmp_eq_u32_e32 vcc, s43, v4
	v_cmp_ne_u32_e64 s[0:1], 0, v8
	v_cndmask_b32_e32 v3, v9, v3, vcc
	v_cmp_ne_u32_e32 vcc, 0, v3
	v_cndmask_b32_e64 v4, v12, v10, s[0:1]
	v_cndmask_b32_e64 v8, v13, v11, s[0:1]
	v_cndmask_b32_e32 v4, v5, v4, vcc
	v_xor_b32_e32 v5, s40, v7
	v_cndmask_b32_e32 v3, v6, v8, vcc
	v_xor_b32_e32 v4, v4, v5
	v_xor_b32_e32 v3, v3, v5
	v_sub_co_u32_e32 v4, vcc, v4, v5
	v_subb_co_u32_e32 v5, vcc, v3, v5, vcc
.LBB1_5:                                ;   in Loop: Header=BB1_3 Depth=1
	s_andn2_saveexec_b64 s[0:1], s[38:39]
	s_cbranch_execz .LBB1_7
; %bb.6:                                ;   in Loop: Header=BB1_3 Depth=1
	v_cvt_f32_u32_e32 v3, s33
	s_sub_i32 s20, 0, s33
	v_rcp_iflag_f32_e32 v3, v3
	v_mul_f32_e32 v3, 0x4f7ffffe, v3
	v_cvt_u32_f32_e32 v3, v3
	v_mul_lo_u32 v4, s20, v3
	v_mul_hi_u32 v4, v3, v4
	v_add_u32_e32 v3, v3, v4
	v_mul_hi_u32 v3, v0, v3
	v_mul_lo_u32 v4, v3, s33
	v_add_u32_e32 v5, 1, v3
	v_sub_u32_e32 v4, v0, v4
	v_subrev_u32_e32 v6, s33, v4
	v_cmp_le_u32_e32 vcc, s33, v4
	v_cndmask_b32_e32 v4, v4, v6, vcc
	v_cndmask_b32_e32 v3, v3, v5, vcc
	v_add_u32_e32 v5, 1, v3
	v_cmp_le_u32_e32 vcc, s33, v4
	v_cndmask_b32_e32 v4, v3, v5, vcc
	v_mov_b32_e32 v5, v2
.LBB1_7:                                ;   in Loop: Header=BB1_3 Depth=1
	s_or_b64 exec, exec, s[0:1]
	v_or_b32_e32 v3, s51, v5
	v_cmp_ne_u64_e32 vcc, 0, v[2:3]
                                        ; implicit-def: $vgpr8_vgpr9
	s_and_saveexec_b64 s[0:1], vcc
	s_xor_b64 s[38:39], exec, s[0:1]
	s_cbranch_execz .LBB1_9
; %bb.8:                                ;   in Loop: Header=BB1_3 Depth=1
	s_ashr_i32 s40, s51, 31
	s_add_u32 s0, s6, s40
	s_mov_b32 s41, s40
	s_addc_u32 s1, s51, s40
	s_xor_b64 s[42:43], s[0:1], s[40:41]
	v_cvt_f32_u32_e32 v3, s42
	v_cvt_f32_u32_e32 v6, s43
	s_sub_u32 s20, 0, s42
	s_subb_u32 s41, 0, s43
	v_mac_f32_e32 v3, 0x4f800000, v6
	v_rcp_f32_e32 v3, v3
	v_mul_f32_e32 v3, 0x5f7ffffc, v3
	v_mul_f32_e32 v6, 0x2f800000, v3
	v_trunc_f32_e32 v6, v6
	v_mac_f32_e32 v3, 0xcf800000, v6
	v_cvt_u32_f32_e32 v6, v6
	v_cvt_u32_f32_e32 v3, v3
	v_readfirstlane_b32 s44, v6
	v_readfirstlane_b32 s0, v3
	s_mul_i32 s1, s20, s44
	s_mul_hi_u32 s46, s20, s0
	s_mul_i32 s45, s41, s0
	s_add_i32 s1, s46, s1
	s_add_i32 s1, s1, s45
	s_mul_i32 s47, s20, s0
	s_mul_i32 s46, s0, s1
	s_mul_hi_u32 s59, s0, s47
	s_mul_hi_u32 s45, s0, s1
	s_add_u32 s46, s59, s46
	s_addc_u32 s45, 0, s45
	s_mul_hi_u32 s60, s44, s47
	s_mul_i32 s47, s44, s47
	s_add_u32 s46, s46, s47
	s_mul_hi_u32 s59, s44, s1
	s_addc_u32 s45, s45, s60
	s_addc_u32 s46, s59, 0
	s_mul_i32 s1, s44, s1
	s_add_u32 s1, s45, s1
	s_addc_u32 s45, 0, s46
	s_add_u32 s46, s0, s1
	s_cselect_b64 s[0:1], -1, 0
	s_cmp_lg_u64 s[0:1], 0
	s_addc_u32 s44, s44, s45
	s_mul_i32 s0, s20, s44
	s_mul_hi_u32 s1, s20, s46
	s_add_i32 s0, s1, s0
	s_mul_i32 s41, s41, s46
	s_add_i32 s0, s0, s41
	s_mul_i32 s20, s20, s46
	s_mul_hi_u32 s41, s44, s20
	s_mul_i32 s45, s44, s20
	s_mul_i32 s59, s46, s0
	s_mul_hi_u32 s20, s46, s20
	s_mul_hi_u32 s47, s46, s0
	s_add_u32 s20, s20, s59
	s_addc_u32 s47, 0, s47
	s_add_u32 s20, s20, s45
	s_mul_hi_u32 s1, s44, s0
	s_addc_u32 s20, s47, s41
	s_addc_u32 s1, s1, 0
	s_mul_i32 s0, s44, s0
	s_add_u32 s0, s20, s0
	s_addc_u32 s20, 0, s1
	s_add_u32 s41, s46, s0
	s_cselect_b64 s[0:1], -1, 0
	v_ashrrev_i32_e32 v3, 31, v5
	s_cmp_lg_u64 s[0:1], 0
	v_add_co_u32_e32 v6, vcc, v4, v3
	s_addc_u32 s20, s44, s20
	v_xor_b32_e32 v9, v6, v3
	v_addc_co_u32_e32 v7, vcc, v5, v3, vcc
	v_mad_u64_u32 v[5:6], s[0:1], v9, s20, 0
	v_mul_hi_u32 v8, v9, s41
	v_xor_b32_e32 v10, v7, v3
	v_xor_b32_e32 v3, s40, v3
	v_add_co_u32_e32 v11, vcc, v8, v5
	v_addc_co_u32_e32 v12, vcc, 0, v6, vcc
	v_mad_u64_u32 v[5:6], s[0:1], v10, s41, 0
	v_mad_u64_u32 v[7:8], s[0:1], v10, s20, 0
	v_add_co_u32_e32 v5, vcc, v11, v5
	v_addc_co_u32_e32 v5, vcc, v12, v6, vcc
	v_addc_co_u32_e32 v6, vcc, 0, v8, vcc
	v_add_co_u32_e32 v7, vcc, v5, v7
	v_addc_co_u32_e32 v8, vcc, 0, v6, vcc
	v_mul_lo_u32 v11, s43, v7
	v_mul_lo_u32 v12, s42, v8
	v_mad_u64_u32 v[5:6], s[0:1], s42, v7, 0
	v_add3_u32 v6, v6, v12, v11
	v_sub_u32_e32 v11, v10, v6
	v_mov_b32_e32 v12, s43
	v_sub_co_u32_e32 v5, vcc, v9, v5
	v_subb_co_u32_e64 v9, s[0:1], v11, v12, vcc
	v_subrev_co_u32_e64 v11, s[0:1], s42, v5
	v_subbrev_co_u32_e64 v9, s[0:1], 0, v9, s[0:1]
	v_cmp_le_u32_e64 s[0:1], s43, v9
	v_cndmask_b32_e64 v12, 0, -1, s[0:1]
	v_cmp_le_u32_e64 s[0:1], s42, v11
	v_cndmask_b32_e64 v11, 0, -1, s[0:1]
	v_cmp_eq_u32_e64 s[0:1], s43, v9
	v_cndmask_b32_e64 v9, v12, v11, s[0:1]
	v_add_co_u32_e64 v11, s[0:1], 2, v7
	v_subb_co_u32_e32 v6, vcc, v10, v6, vcc
	v_addc_co_u32_e64 v12, s[0:1], 0, v8, s[0:1]
	v_cmp_le_u32_e32 vcc, s43, v6
	v_add_co_u32_e64 v13, s[0:1], 1, v7
	v_cndmask_b32_e64 v10, 0, -1, vcc
	v_cmp_le_u32_e32 vcc, s42, v5
	v_addc_co_u32_e64 v14, s[0:1], 0, v8, s[0:1]
	v_cndmask_b32_e64 v5, 0, -1, vcc
	v_cmp_eq_u32_e32 vcc, s43, v6
	v_cmp_ne_u32_e64 s[0:1], 0, v9
	v_cndmask_b32_e32 v5, v10, v5, vcc
	v_cmp_ne_u32_e32 vcc, 0, v5
	v_cndmask_b32_e64 v6, v13, v11, s[0:1]
	v_cndmask_b32_e64 v9, v14, v12, s[0:1]
	v_cndmask_b32_e32 v6, v7, v6, vcc
	v_cndmask_b32_e32 v5, v8, v9, vcc
	v_xor_b32_e32 v6, v6, v3
	v_xor_b32_e32 v5, v5, v3
	v_sub_co_u32_e32 v8, vcc, v6, v3
	v_subb_co_u32_e32 v9, vcc, v5, v3, vcc
.LBB1_9:                                ;   in Loop: Header=BB1_3 Depth=1
	s_andn2_saveexec_b64 s[0:1], s[38:39]
	s_cbranch_execz .LBB1_11
; %bb.10:                               ;   in Loop: Header=BB1_3 Depth=1
	v_cvt_f32_u32_e32 v3, s6
	s_sub_i32 s20, 0, s6
	v_mov_b32_e32 v9, v2
	v_rcp_iflag_f32_e32 v3, v3
	v_mul_f32_e32 v3, 0x4f7ffffe, v3
	v_cvt_u32_f32_e32 v3, v3
	v_mul_lo_u32 v5, s20, v3
	v_mul_hi_u32 v5, v3, v5
	v_add_u32_e32 v3, v3, v5
	v_mul_hi_u32 v3, v4, v3
	v_mul_lo_u32 v5, v3, s6
	v_add_u32_e32 v6, 1, v3
	v_sub_u32_e32 v5, v4, v5
	v_subrev_u32_e32 v7, s6, v5
	v_cmp_le_u32_e32 vcc, s6, v5
	v_cndmask_b32_e32 v5, v5, v7, vcc
	v_cndmask_b32_e32 v3, v3, v6, vcc
	v_add_u32_e32 v6, 1, v3
	v_cmp_le_u32_e32 vcc, s6, v5
	v_cndmask_b32_e32 v8, v3, v6, vcc
.LBB1_11:                               ;   in Loop: Header=BB1_3 Depth=1
	s_or_b64 exec, exec, s[0:1]
	v_mad_u64_u32 v[5:6], s[0:1], v4, s33, 0
	v_mad_u64_u32 v[6:7], s[0:1], v8, s6, 0
	v_sub_co_u32_e32 v18, vcc, v0, v5
	v_mul_lo_u32 v3, s56, v18
	v_sub_co_u32_e32 v19, vcc, v4, v6
	v_mul_lo_u32 v4, s58, v18
	s_andn2_b64 vcc, exec, s[12:13]
	v_mad_u64_u32 v[6:7], s[0:1], s14, v19, v[3:4]
	v_mad_u64_u32 v[4:5], s[0:1], s16, v19, v[4:5]
	s_cbranch_vccnz .LBB1_39
; %bb.12:                               ;   in Loop: Header=BB1_3 Depth=1
	s_mov_b32 s59, 1
	s_andn2_b64 vcc, exec, s[30:31]
	s_mov_b32 s20, s52
	s_mov_b32 s0, s52
	s_cbranch_vccnz .LBB1_20
.LBB1_13:                               ;   Parent Loop BB1_3 Depth=1
                                        ; =>  This Inner Loop Header: Depth=2
	s_lshl_b64 s[38:39], s[20:21], 2
	s_add_u32 s40, s48, s38
	s_addc_u32 s41, s49, s39
	s_load_dword s60, s[40:41], 0x8
                                        ; implicit-def: $vgpr10_vgpr11
	s_waitcnt lgkmcnt(0)
	s_ashr_i32 s0, s60, 31
	v_or_b32_e32 v3, s0, v9
	v_cmp_ne_u64_e32 vcc, 0, v[2:3]
	s_and_saveexec_b64 s[42:43], vcc
	s_xor_b64 s[42:43], exec, s[42:43]
	s_cbranch_execz .LBB1_15
; %bb.14:                               ;   in Loop: Header=BB1_13 Depth=2
	s_ashr_i32 s44, s0, 31
	s_add_u32 s46, s60, s44
	s_mov_b32 s45, s44
	s_addc_u32 s47, s0, s44
	s_xor_b64 s[46:47], s[46:47], s[44:45]
	v_cvt_f32_u32_e32 v3, s46
	v_cvt_f32_u32_e32 v5, s47
	s_sub_u32 s45, 0, s46
	s_subb_u32 s61, 0, s47
	v_mac_f32_e32 v3, 0x4f800000, v5
	v_rcp_f32_e32 v3, v3
	v_mul_f32_e32 v3, 0x5f7ffffc, v3
	v_mul_f32_e32 v5, 0x2f800000, v3
	v_trunc_f32_e32 v5, v5
	v_mac_f32_e32 v3, 0xcf800000, v5
	v_cvt_u32_f32_e32 v5, v5
	v_cvt_u32_f32_e32 v3, v3
	v_readfirstlane_b32 s62, v5
	v_readfirstlane_b32 s0, v3
	s_mul_i32 s1, s45, s62
	s_mul_hi_u32 s64, s45, s0
	s_mul_i32 s63, s61, s0
	s_add_i32 s1, s64, s1
	s_add_i32 s1, s1, s63
	s_mul_i32 s65, s45, s0
	s_mul_i32 s64, s0, s1
	s_mul_hi_u32 s66, s0, s65
	s_mul_hi_u32 s63, s0, s1
	s_add_u32 s64, s66, s64
	s_addc_u32 s63, 0, s63
	s_mul_hi_u32 s67, s62, s65
	s_mul_i32 s65, s62, s65
	s_add_u32 s64, s64, s65
	s_mul_hi_u32 s66, s62, s1
	s_addc_u32 s63, s63, s67
	s_addc_u32 s64, s66, 0
	s_mul_i32 s1, s62, s1
	s_add_u32 s1, s63, s1
	s_addc_u32 s63, 0, s64
	s_add_u32 s64, s0, s1
	s_cselect_b64 s[0:1], -1, 0
	s_cmp_lg_u64 s[0:1], 0
	s_addc_u32 s62, s62, s63
	s_mul_i32 s0, s45, s62
	s_mul_hi_u32 s1, s45, s64
	s_add_i32 s0, s1, s0
	s_mul_i32 s61, s61, s64
	s_add_i32 s0, s0, s61
	s_mul_i32 s45, s45, s64
	s_mul_hi_u32 s61, s62, s45
	s_mul_i32 s63, s62, s45
	s_mul_i32 s66, s64, s0
	s_mul_hi_u32 s45, s64, s45
	s_mul_hi_u32 s65, s64, s0
	s_add_u32 s45, s45, s66
	s_addc_u32 s65, 0, s65
	s_add_u32 s45, s45, s63
	s_mul_hi_u32 s1, s62, s0
	s_addc_u32 s45, s65, s61
	s_addc_u32 s1, s1, 0
	s_mul_i32 s0, s62, s0
	s_add_u32 s0, s45, s0
	s_addc_u32 s45, 0, s1
	s_add_u32 s61, s64, s0
	s_cselect_b64 s[0:1], -1, 0
	v_ashrrev_i32_e32 v3, 31, v9
	s_cmp_lg_u64 s[0:1], 0
	v_add_co_u32_e32 v5, vcc, v8, v3
	s_addc_u32 s45, s62, s45
	v_xor_b32_e32 v5, v5, v3
	v_addc_co_u32_e32 v7, vcc, v9, v3, vcc
	v_mad_u64_u32 v[9:10], s[0:1], v5, s45, 0
	v_mul_hi_u32 v11, v5, s61
	v_xor_b32_e32 v7, v7, v3
	v_xor_b32_e32 v3, s44, v3
	v_add_co_u32_e32 v13, vcc, v11, v9
	v_addc_co_u32_e32 v14, vcc, 0, v10, vcc
	v_mad_u64_u32 v[9:10], s[0:1], v7, s61, 0
	v_mad_u64_u32 v[11:12], s[0:1], v7, s45, 0
	v_add_co_u32_e32 v9, vcc, v13, v9
	v_addc_co_u32_e32 v9, vcc, v14, v10, vcc
	v_addc_co_u32_e32 v10, vcc, 0, v12, vcc
	v_add_co_u32_e32 v11, vcc, v9, v11
	v_addc_co_u32_e32 v12, vcc, 0, v10, vcc
	v_mul_lo_u32 v13, s47, v11
	v_mul_lo_u32 v14, s46, v12
	v_mad_u64_u32 v[9:10], s[0:1], s46, v11, 0
	v_add3_u32 v10, v10, v14, v13
	v_sub_u32_e32 v13, v7, v10
	v_mov_b32_e32 v14, s47
	v_sub_co_u32_e32 v5, vcc, v5, v9
	v_subb_co_u32_e64 v9, s[0:1], v13, v14, vcc
	v_subrev_co_u32_e64 v13, s[0:1], s46, v5
	v_subbrev_co_u32_e64 v9, s[0:1], 0, v9, s[0:1]
	v_cmp_le_u32_e64 s[0:1], s47, v9
	v_cndmask_b32_e64 v14, 0, -1, s[0:1]
	v_cmp_le_u32_e64 s[0:1], s46, v13
	v_cndmask_b32_e64 v13, 0, -1, s[0:1]
	v_cmp_eq_u32_e64 s[0:1], s47, v9
	v_cndmask_b32_e64 v9, v14, v13, s[0:1]
	v_add_co_u32_e64 v13, s[0:1], 2, v11
	v_subb_co_u32_e32 v7, vcc, v7, v10, vcc
	v_addc_co_u32_e64 v14, s[0:1], 0, v12, s[0:1]
	v_cmp_le_u32_e32 vcc, s47, v7
	v_add_co_u32_e64 v15, s[0:1], 1, v11
	v_cndmask_b32_e64 v10, 0, -1, vcc
	v_cmp_le_u32_e32 vcc, s46, v5
	v_addc_co_u32_e64 v16, s[0:1], 0, v12, s[0:1]
	v_cndmask_b32_e64 v5, 0, -1, vcc
	v_cmp_eq_u32_e32 vcc, s47, v7
	v_cmp_ne_u32_e64 s[0:1], 0, v9
	v_cndmask_b32_e32 v5, v10, v5, vcc
	v_cmp_ne_u32_e32 vcc, 0, v5
	v_cndmask_b32_e64 v7, v15, v13, s[0:1]
	v_cndmask_b32_e64 v9, v16, v14, s[0:1]
	v_cndmask_b32_e32 v7, v11, v7, vcc
	v_cndmask_b32_e32 v5, v12, v9, vcc
	v_xor_b32_e32 v7, v7, v3
	v_xor_b32_e32 v5, v5, v3
	v_sub_co_u32_e32 v10, vcc, v7, v3
	v_subb_co_u32_e32 v11, vcc, v5, v3, vcc
.LBB1_15:                               ;   in Loop: Header=BB1_13 Depth=2
	s_andn2_saveexec_b64 s[0:1], s[42:43]
	s_cbranch_execz .LBB1_17
; %bb.16:                               ;   in Loop: Header=BB1_13 Depth=2
	v_cvt_f32_u32_e32 v3, s60
	s_sub_i32 s42, 0, s60
	v_mov_b32_e32 v11, v2
	v_rcp_iflag_f32_e32 v3, v3
	v_mul_f32_e32 v3, 0x4f7ffffe, v3
	v_cvt_u32_f32_e32 v3, v3
	v_mul_lo_u32 v5, s42, v3
	v_mul_hi_u32 v5, v3, v5
	v_add_u32_e32 v3, v3, v5
	v_mul_hi_u32 v3, v8, v3
	v_mul_lo_u32 v5, v3, s60
	v_add_u32_e32 v7, 1, v3
	v_sub_u32_e32 v5, v8, v5
	v_subrev_u32_e32 v9, s60, v5
	v_cmp_le_u32_e32 vcc, s60, v5
	v_cndmask_b32_e32 v5, v5, v9, vcc
	v_cndmask_b32_e32 v3, v3, v7, vcc
	v_add_u32_e32 v7, 1, v3
	v_cmp_le_u32_e32 vcc, s60, v5
	v_cndmask_b32_e32 v10, v3, v7, vcc
.LBB1_17:                               ;   in Loop: Header=BB1_13 Depth=2
	s_or_b64 exec, exec, s[0:1]
	s_add_u32 s0, s4, s38
	s_addc_u32 s1, s5, s39
	v_mul_lo_u32 v3, v10, s60
	s_load_dword s40, s[40:41], 0x6c
	s_add_i32 s20, s20, -1
	s_load_dword s38, s[0:1], 0x6c
	v_sub_u32_e32 v3, v8, v3
	s_waitcnt lgkmcnt(0)
	v_mad_u64_u32 v[6:7], s[0:1], s40, v3, v[6:7]
	v_mad_u64_u32 v[4:5], s[0:1], s38, v3, v[4:5]
	s_xor_b32 s0, s54, s59
	s_add_i32 s59, s59, 1
	s_cmp_lg_u32 s0, 2
	s_cbranch_scc0 .LBB1_19
; %bb.18:                               ;   in Loop: Header=BB1_13 Depth=2
	v_mov_b32_e32 v8, v10
	v_mov_b32_e32 v9, v11
	s_branch .LBB1_13
.LBB1_19:                               ;   in Loop: Header=BB1_3 Depth=1
	v_mov_b32_e32 v8, v10
	s_mov_b32 s0, s20
	v_mov_b32_e32 v9, v11
.LBB1_20:                               ;   in Loop: Header=BB1_3 Depth=1
	s_and_b64 vcc, exec, s[34:35]
	s_mov_b32 s20, s0
	s_cbranch_vccz .LBB1_39
.LBB1_21:                               ;   Parent Loop BB1_3 Depth=1
                                        ; =>  This Inner Loop Header: Depth=2
	s_lshl_b64 s[38:39], s[20:21], 2
	s_add_u32 s40, s48, s38
	s_addc_u32 s41, s49, s39
	s_load_dword s59, s[40:41], 0x8
                                        ; implicit-def: $vgpr10_vgpr11
	s_waitcnt lgkmcnt(0)
	s_ashr_i32 s0, s59, 31
	v_or_b32_e32 v3, s0, v9
	v_cmp_ne_u64_e32 vcc, 0, v[2:3]
	s_and_saveexec_b64 s[42:43], vcc
	s_xor_b64 s[42:43], exec, s[42:43]
	s_cbranch_execz .LBB1_23
; %bb.22:                               ;   in Loop: Header=BB1_21 Depth=2
	s_ashr_i32 s44, s0, 31
	s_add_u32 s46, s59, s44
	s_mov_b32 s45, s44
	s_addc_u32 s47, s0, s44
	s_xor_b64 s[46:47], s[46:47], s[44:45]
	v_cvt_f32_u32_e32 v3, s46
	v_cvt_f32_u32_e32 v5, s47
	s_sub_u32 s45, 0, s46
	s_subb_u32 s60, 0, s47
	v_mac_f32_e32 v3, 0x4f800000, v5
	v_rcp_f32_e32 v3, v3
	v_mul_f32_e32 v3, 0x5f7ffffc, v3
	v_mul_f32_e32 v5, 0x2f800000, v3
	v_trunc_f32_e32 v5, v5
	v_mac_f32_e32 v3, 0xcf800000, v5
	v_cvt_u32_f32_e32 v5, v5
	v_cvt_u32_f32_e32 v3, v3
	v_readfirstlane_b32 s61, v5
	v_readfirstlane_b32 s0, v3
	s_mul_i32 s1, s45, s61
	s_mul_hi_u32 s63, s45, s0
	s_mul_i32 s62, s60, s0
	s_add_i32 s1, s63, s1
	s_add_i32 s1, s1, s62
	s_mul_i32 s64, s45, s0
	s_mul_i32 s63, s0, s1
	s_mul_hi_u32 s65, s0, s64
	s_mul_hi_u32 s62, s0, s1
	s_add_u32 s63, s65, s63
	s_addc_u32 s62, 0, s62
	s_mul_hi_u32 s66, s61, s64
	s_mul_i32 s64, s61, s64
	s_add_u32 s63, s63, s64
	s_mul_hi_u32 s65, s61, s1
	s_addc_u32 s62, s62, s66
	s_addc_u32 s63, s65, 0
	s_mul_i32 s1, s61, s1
	s_add_u32 s1, s62, s1
	s_addc_u32 s62, 0, s63
	s_add_u32 s63, s0, s1
	s_cselect_b64 s[0:1], -1, 0
	s_cmp_lg_u64 s[0:1], 0
	s_addc_u32 s61, s61, s62
	s_mul_i32 s0, s45, s61
	s_mul_hi_u32 s1, s45, s63
	s_add_i32 s0, s1, s0
	s_mul_i32 s60, s60, s63
	s_add_i32 s0, s0, s60
	s_mul_i32 s45, s45, s63
	s_mul_hi_u32 s60, s61, s45
	s_mul_i32 s62, s61, s45
	s_mul_i32 s65, s63, s0
	s_mul_hi_u32 s45, s63, s45
	s_mul_hi_u32 s64, s63, s0
	s_add_u32 s45, s45, s65
	s_addc_u32 s64, 0, s64
	s_add_u32 s45, s45, s62
	s_mul_hi_u32 s1, s61, s0
	s_addc_u32 s45, s64, s60
	s_addc_u32 s1, s1, 0
	s_mul_i32 s0, s61, s0
	s_add_u32 s0, s45, s0
	s_addc_u32 s45, 0, s1
	s_add_u32 s60, s63, s0
	s_cselect_b64 s[0:1], -1, 0
	v_ashrrev_i32_e32 v3, 31, v9
	s_cmp_lg_u64 s[0:1], 0
	v_add_co_u32_e32 v5, vcc, v8, v3
	s_addc_u32 s45, s61, s45
	v_xor_b32_e32 v5, v5, v3
	v_addc_co_u32_e32 v7, vcc, v9, v3, vcc
	v_mad_u64_u32 v[9:10], s[0:1], v5, s45, 0
	v_mul_hi_u32 v11, v5, s60
	v_xor_b32_e32 v7, v7, v3
	v_xor_b32_e32 v3, s44, v3
	v_add_co_u32_e32 v13, vcc, v11, v9
	v_addc_co_u32_e32 v14, vcc, 0, v10, vcc
	v_mad_u64_u32 v[9:10], s[0:1], v7, s60, 0
	v_mad_u64_u32 v[11:12], s[0:1], v7, s45, 0
	v_add_co_u32_e32 v9, vcc, v13, v9
	v_addc_co_u32_e32 v9, vcc, v14, v10, vcc
	v_addc_co_u32_e32 v10, vcc, 0, v12, vcc
	v_add_co_u32_e32 v11, vcc, v9, v11
	v_addc_co_u32_e32 v12, vcc, 0, v10, vcc
	v_mul_lo_u32 v13, s47, v11
	v_mul_lo_u32 v14, s46, v12
	v_mad_u64_u32 v[9:10], s[0:1], s46, v11, 0
	v_add3_u32 v10, v10, v14, v13
	v_sub_u32_e32 v13, v7, v10
	v_mov_b32_e32 v14, s47
	v_sub_co_u32_e32 v5, vcc, v5, v9
	v_subb_co_u32_e64 v9, s[0:1], v13, v14, vcc
	v_subrev_co_u32_e64 v13, s[0:1], s46, v5
	v_subbrev_co_u32_e64 v9, s[0:1], 0, v9, s[0:1]
	v_cmp_le_u32_e64 s[0:1], s47, v9
	v_cndmask_b32_e64 v14, 0, -1, s[0:1]
	v_cmp_le_u32_e64 s[0:1], s46, v13
	v_cndmask_b32_e64 v13, 0, -1, s[0:1]
	v_cmp_eq_u32_e64 s[0:1], s47, v9
	v_cndmask_b32_e64 v9, v14, v13, s[0:1]
	v_add_co_u32_e64 v13, s[0:1], 2, v11
	v_subb_co_u32_e32 v7, vcc, v7, v10, vcc
	v_addc_co_u32_e64 v14, s[0:1], 0, v12, s[0:1]
	v_cmp_le_u32_e32 vcc, s47, v7
	v_add_co_u32_e64 v15, s[0:1], 1, v11
	v_cndmask_b32_e64 v10, 0, -1, vcc
	v_cmp_le_u32_e32 vcc, s46, v5
	v_addc_co_u32_e64 v16, s[0:1], 0, v12, s[0:1]
	v_cndmask_b32_e64 v5, 0, -1, vcc
	v_cmp_eq_u32_e32 vcc, s47, v7
	v_cmp_ne_u32_e64 s[0:1], 0, v9
	v_cndmask_b32_e32 v5, v10, v5, vcc
	v_cmp_ne_u32_e32 vcc, 0, v5
	v_cndmask_b32_e64 v7, v15, v13, s[0:1]
	v_cndmask_b32_e64 v9, v16, v14, s[0:1]
	v_cndmask_b32_e32 v7, v11, v7, vcc
	v_cndmask_b32_e32 v5, v12, v9, vcc
	v_xor_b32_e32 v7, v7, v3
	v_xor_b32_e32 v5, v5, v3
	v_sub_co_u32_e32 v10, vcc, v7, v3
	v_subb_co_u32_e32 v11, vcc, v5, v3, vcc
.LBB1_23:                               ;   in Loop: Header=BB1_21 Depth=2
	s_andn2_saveexec_b64 s[0:1], s[42:43]
	s_cbranch_execz .LBB1_25
; %bb.24:                               ;   in Loop: Header=BB1_21 Depth=2
	v_cvt_f32_u32_e32 v3, s59
	s_sub_i32 s42, 0, s59
	v_mov_b32_e32 v11, v2
	v_rcp_iflag_f32_e32 v3, v3
	v_mul_f32_e32 v3, 0x4f7ffffe, v3
	v_cvt_u32_f32_e32 v3, v3
	v_mul_lo_u32 v5, s42, v3
	v_mul_hi_u32 v5, v3, v5
	v_add_u32_e32 v3, v3, v5
	v_mul_hi_u32 v3, v8, v3
	v_mul_lo_u32 v5, v3, s59
	v_add_u32_e32 v7, 1, v3
	v_sub_u32_e32 v5, v8, v5
	v_subrev_u32_e32 v9, s59, v5
	v_cmp_le_u32_e32 vcc, s59, v5
	v_cndmask_b32_e32 v5, v5, v9, vcc
	v_cndmask_b32_e32 v3, v3, v7, vcc
	v_add_u32_e32 v7, 1, v3
	v_cmp_le_u32_e32 vcc, s59, v5
	v_cndmask_b32_e32 v10, v3, v7, vcc
.LBB1_25:                               ;   in Loop: Header=BB1_21 Depth=2
	s_or_b64 exec, exec, s[0:1]
	s_add_u32 s0, s4, s38
	s_addc_u32 s1, s5, s39
	s_add_i32 s38, s20, -1
	s_mov_b32 s39, s21
	s_lshl_b64 s[42:43], s[38:39], 2
	s_add_u32 s38, s48, s42
	s_addc_u32 s39, s49, s43
	s_load_dword s62, s[38:39], 0x8
	s_load_dword s61, s[40:41], 0x6c
	s_load_dword s60, s[0:1], 0x6c
                                        ; implicit-def: $vgpr12_vgpr13
	s_waitcnt lgkmcnt(0)
	s_ashr_i32 s0, s62, 31
	v_or_b32_e32 v3, s0, v11
	v_cmp_ne_u64_e32 vcc, 0, v[2:3]
	s_and_saveexec_b64 s[40:41], vcc
	s_xor_b64 s[40:41], exec, s[40:41]
	s_cbranch_execz .LBB1_27
; %bb.26:                               ;   in Loop: Header=BB1_21 Depth=2
	s_ashr_i32 s44, s0, 31
	s_add_u32 s46, s62, s44
	s_mov_b32 s45, s44
	s_addc_u32 s47, s0, s44
	s_xor_b64 s[46:47], s[46:47], s[44:45]
	v_cvt_f32_u32_e32 v3, s46
	v_cvt_f32_u32_e32 v5, s47
	s_sub_u32 s45, 0, s46
	s_subb_u32 s63, 0, s47
	v_mac_f32_e32 v3, 0x4f800000, v5
	v_rcp_f32_e32 v3, v3
	v_mul_f32_e32 v3, 0x5f7ffffc, v3
	v_mul_f32_e32 v5, 0x2f800000, v3
	v_trunc_f32_e32 v5, v5
	v_mac_f32_e32 v3, 0xcf800000, v5
	v_cvt_u32_f32_e32 v5, v5
	v_cvt_u32_f32_e32 v3, v3
	v_readfirstlane_b32 s64, v5
	v_readfirstlane_b32 s0, v3
	s_mul_i32 s1, s45, s64
	s_mul_hi_u32 s66, s45, s0
	s_mul_i32 s65, s63, s0
	s_add_i32 s1, s66, s1
	s_add_i32 s1, s1, s65
	s_mul_i32 s67, s45, s0
	s_mul_i32 s66, s0, s1
	s_mul_hi_u32 s68, s0, s67
	s_mul_hi_u32 s65, s0, s1
	s_add_u32 s66, s68, s66
	s_addc_u32 s65, 0, s65
	s_mul_hi_u32 s69, s64, s67
	s_mul_i32 s67, s64, s67
	s_add_u32 s66, s66, s67
	s_mul_hi_u32 s68, s64, s1
	s_addc_u32 s65, s65, s69
	s_addc_u32 s66, s68, 0
	s_mul_i32 s1, s64, s1
	s_add_u32 s1, s65, s1
	s_addc_u32 s65, 0, s66
	s_add_u32 s66, s0, s1
	s_cselect_b64 s[0:1], -1, 0
	s_cmp_lg_u64 s[0:1], 0
	s_addc_u32 s64, s64, s65
	s_mul_i32 s0, s45, s64
	s_mul_hi_u32 s1, s45, s66
	s_add_i32 s0, s1, s0
	s_mul_i32 s63, s63, s66
	s_add_i32 s0, s0, s63
	s_mul_i32 s45, s45, s66
	s_mul_hi_u32 s63, s64, s45
	s_mul_i32 s65, s64, s45
	s_mul_i32 s68, s66, s0
	s_mul_hi_u32 s45, s66, s45
	s_mul_hi_u32 s67, s66, s0
	s_add_u32 s45, s45, s68
	s_addc_u32 s67, 0, s67
	s_add_u32 s45, s45, s65
	s_mul_hi_u32 s1, s64, s0
	s_addc_u32 s45, s67, s63
	s_addc_u32 s1, s1, 0
	s_mul_i32 s0, s64, s0
	s_add_u32 s0, s45, s0
	s_addc_u32 s45, 0, s1
	s_add_u32 s63, s66, s0
	s_cselect_b64 s[0:1], -1, 0
	v_ashrrev_i32_e32 v3, 31, v11
	s_cmp_lg_u64 s[0:1], 0
	v_add_co_u32_e32 v5, vcc, v10, v3
	s_addc_u32 s45, s64, s45
	v_xor_b32_e32 v5, v5, v3
	v_addc_co_u32_e32 v7, vcc, v11, v3, vcc
	v_mad_u64_u32 v[11:12], s[0:1], v5, s45, 0
	v_mul_hi_u32 v9, v5, s63
	v_xor_b32_e32 v7, v7, v3
	v_mad_u64_u32 v[13:14], s[0:1], v7, s45, 0
	v_add_co_u32_e32 v9, vcc, v9, v11
	v_addc_co_u32_e32 v15, vcc, 0, v12, vcc
	v_mad_u64_u32 v[11:12], s[0:1], v7, s63, 0
	v_xor_b32_e32 v3, s44, v3
	v_add_co_u32_e32 v9, vcc, v9, v11
	v_addc_co_u32_e32 v9, vcc, v15, v12, vcc
	v_addc_co_u32_e32 v11, vcc, 0, v14, vcc
	v_add_co_u32_e32 v9, vcc, v9, v13
	v_addc_co_u32_e32 v13, vcc, 0, v11, vcc
	v_mul_lo_u32 v14, s47, v9
	v_mul_lo_u32 v15, s46, v13
	v_mad_u64_u32 v[11:12], s[0:1], s46, v9, 0
	v_add3_u32 v12, v12, v15, v14
	v_sub_u32_e32 v14, v7, v12
	v_mov_b32_e32 v15, s47
	v_sub_co_u32_e32 v5, vcc, v5, v11
	v_subb_co_u32_e64 v11, s[0:1], v14, v15, vcc
	v_subrev_co_u32_e64 v14, s[0:1], s46, v5
	v_subbrev_co_u32_e64 v11, s[0:1], 0, v11, s[0:1]
	v_cmp_le_u32_e64 s[0:1], s47, v11
	v_cndmask_b32_e64 v15, 0, -1, s[0:1]
	v_cmp_le_u32_e64 s[0:1], s46, v14
	v_cndmask_b32_e64 v14, 0, -1, s[0:1]
	v_cmp_eq_u32_e64 s[0:1], s47, v11
	v_cndmask_b32_e64 v11, v15, v14, s[0:1]
	v_add_co_u32_e64 v14, s[0:1], 2, v9
	v_subb_co_u32_e32 v7, vcc, v7, v12, vcc
	v_addc_co_u32_e64 v15, s[0:1], 0, v13, s[0:1]
	v_cmp_le_u32_e32 vcc, s47, v7
	v_add_co_u32_e64 v16, s[0:1], 1, v9
	v_cndmask_b32_e64 v12, 0, -1, vcc
	v_cmp_le_u32_e32 vcc, s46, v5
	v_addc_co_u32_e64 v17, s[0:1], 0, v13, s[0:1]
	v_cndmask_b32_e64 v5, 0, -1, vcc
	v_cmp_eq_u32_e32 vcc, s47, v7
	v_cmp_ne_u32_e64 s[0:1], 0, v11
	v_cndmask_b32_e32 v5, v12, v5, vcc
	v_cmp_ne_u32_e32 vcc, 0, v5
	v_cndmask_b32_e64 v7, v16, v14, s[0:1]
	v_cndmask_b32_e64 v11, v17, v15, s[0:1]
	v_cndmask_b32_e32 v7, v9, v7, vcc
	v_cndmask_b32_e32 v5, v13, v11, vcc
	v_xor_b32_e32 v7, v7, v3
	v_xor_b32_e32 v5, v5, v3
	v_sub_co_u32_e32 v12, vcc, v7, v3
	v_subb_co_u32_e32 v13, vcc, v5, v3, vcc
.LBB1_27:                               ;   in Loop: Header=BB1_21 Depth=2
	s_andn2_saveexec_b64 s[0:1], s[40:41]
	s_cbranch_execz .LBB1_29
; %bb.28:                               ;   in Loop: Header=BB1_21 Depth=2
	v_cvt_f32_u32_e32 v3, s62
	s_sub_i32 s40, 0, s62
	v_mov_b32_e32 v13, v2
	v_rcp_iflag_f32_e32 v3, v3
	v_mul_f32_e32 v3, 0x4f7ffffe, v3
	v_cvt_u32_f32_e32 v3, v3
	v_mul_lo_u32 v5, s40, v3
	v_mul_hi_u32 v5, v3, v5
	v_add_u32_e32 v3, v3, v5
	v_mul_hi_u32 v3, v10, v3
	v_mul_lo_u32 v5, v3, s62
	v_add_u32_e32 v7, 1, v3
	v_sub_u32_e32 v5, v10, v5
	v_subrev_u32_e32 v9, s62, v5
	v_cmp_le_u32_e32 vcc, s62, v5
	v_cndmask_b32_e32 v5, v5, v9, vcc
	v_cndmask_b32_e32 v3, v3, v7, vcc
	v_add_u32_e32 v7, 1, v3
	v_cmp_le_u32_e32 vcc, s62, v5
	v_cndmask_b32_e32 v12, v3, v7, vcc
.LBB1_29:                               ;   in Loop: Header=BB1_21 Depth=2
	s_or_b64 exec, exec, s[0:1]
	s_add_u32 s0, s4, s42
	s_addc_u32 s1, s5, s43
	s_add_i32 s40, s20, -2
	s_mov_b32 s41, s21
	s_lshl_b64 s[40:41], s[40:41], 2
	s_add_u32 s42, s48, s40
	s_addc_u32 s43, s49, s41
	s_load_dword s64, s[42:43], 0x8
	s_load_dword s65, s[38:39], 0x6c
	;; [unrolled: 1-line block ×3, first 2 shown]
                                        ; implicit-def: $vgpr14_vgpr15
	s_waitcnt lgkmcnt(0)
	s_ashr_i32 s0, s64, 31
	v_or_b32_e32 v3, s0, v13
	v_cmp_ne_u64_e32 vcc, 0, v[2:3]
	s_and_saveexec_b64 s[38:39], vcc
	s_xor_b64 s[38:39], exec, s[38:39]
	s_cbranch_execz .LBB1_31
; %bb.30:                               ;   in Loop: Header=BB1_21 Depth=2
	s_ashr_i32 s44, s0, 31
	s_add_u32 s46, s64, s44
	s_mov_b32 s45, s44
	s_addc_u32 s47, s0, s44
	s_xor_b64 s[46:47], s[46:47], s[44:45]
	v_cvt_f32_u32_e32 v3, s46
	v_cvt_f32_u32_e32 v5, s47
	s_sub_u32 s45, 0, s46
	s_subb_u32 s66, 0, s47
	v_mac_f32_e32 v3, 0x4f800000, v5
	v_rcp_f32_e32 v3, v3
	v_mul_f32_e32 v3, 0x5f7ffffc, v3
	v_mul_f32_e32 v5, 0x2f800000, v3
	v_trunc_f32_e32 v5, v5
	v_mac_f32_e32 v3, 0xcf800000, v5
	v_cvt_u32_f32_e32 v5, v5
	v_cvt_u32_f32_e32 v3, v3
	v_readfirstlane_b32 s67, v5
	v_readfirstlane_b32 s0, v3
	s_mul_i32 s1, s45, s67
	s_mul_hi_u32 s69, s45, s0
	s_mul_i32 s68, s66, s0
	s_add_i32 s1, s69, s1
	s_add_i32 s1, s1, s68
	s_mul_i32 s70, s45, s0
	s_mul_i32 s69, s0, s1
	s_mul_hi_u32 s71, s0, s70
	s_mul_hi_u32 s68, s0, s1
	s_add_u32 s69, s71, s69
	s_addc_u32 s68, 0, s68
	s_mul_hi_u32 s72, s67, s70
	s_mul_i32 s70, s67, s70
	s_add_u32 s69, s69, s70
	s_mul_hi_u32 s71, s67, s1
	s_addc_u32 s68, s68, s72
	s_addc_u32 s69, s71, 0
	s_mul_i32 s1, s67, s1
	s_add_u32 s1, s68, s1
	s_addc_u32 s68, 0, s69
	s_add_u32 s69, s0, s1
	s_cselect_b64 s[0:1], -1, 0
	s_cmp_lg_u64 s[0:1], 0
	s_addc_u32 s67, s67, s68
	s_mul_i32 s0, s45, s67
	s_mul_hi_u32 s1, s45, s69
	s_add_i32 s0, s1, s0
	s_mul_i32 s66, s66, s69
	s_add_i32 s0, s0, s66
	s_mul_i32 s45, s45, s69
	s_mul_hi_u32 s66, s67, s45
	s_mul_i32 s68, s67, s45
	s_mul_i32 s71, s69, s0
	s_mul_hi_u32 s45, s69, s45
	s_mul_hi_u32 s70, s69, s0
	s_add_u32 s45, s45, s71
	s_addc_u32 s70, 0, s70
	s_add_u32 s45, s45, s68
	s_mul_hi_u32 s1, s67, s0
	s_addc_u32 s45, s70, s66
	s_addc_u32 s1, s1, 0
	s_mul_i32 s0, s67, s0
	s_add_u32 s0, s45, s0
	s_addc_u32 s45, 0, s1
	s_add_u32 s66, s69, s0
	s_cselect_b64 s[0:1], -1, 0
	v_ashrrev_i32_e32 v3, 31, v13
	s_cmp_lg_u64 s[0:1], 0
	v_add_co_u32_e32 v5, vcc, v12, v3
	s_addc_u32 s45, s67, s45
	v_xor_b32_e32 v5, v5, v3
	v_addc_co_u32_e32 v7, vcc, v13, v3, vcc
	v_mad_u64_u32 v[13:14], s[0:1], v5, s45, 0
	v_mul_hi_u32 v9, v5, s66
	v_xor_b32_e32 v7, v7, v3
	v_mad_u64_u32 v[15:16], s[0:1], v7, s45, 0
	v_add_co_u32_e32 v9, vcc, v9, v13
	v_addc_co_u32_e32 v11, vcc, 0, v14, vcc
	v_mad_u64_u32 v[13:14], s[0:1], v7, s66, 0
	v_xor_b32_e32 v3, s44, v3
	v_add_co_u32_e32 v9, vcc, v9, v13
	v_addc_co_u32_e32 v9, vcc, v11, v14, vcc
	v_addc_co_u32_e32 v11, vcc, 0, v16, vcc
	v_add_co_u32_e32 v9, vcc, v9, v15
	v_addc_co_u32_e32 v11, vcc, 0, v11, vcc
	v_mul_lo_u32 v15, s47, v9
	v_mul_lo_u32 v16, s46, v11
	v_mad_u64_u32 v[13:14], s[0:1], s46, v9, 0
	v_add3_u32 v14, v14, v16, v15
	v_sub_u32_e32 v15, v7, v14
	v_mov_b32_e32 v16, s47
	v_sub_co_u32_e32 v5, vcc, v5, v13
	v_subb_co_u32_e64 v13, s[0:1], v15, v16, vcc
	v_subrev_co_u32_e64 v15, s[0:1], s46, v5
	v_subbrev_co_u32_e64 v13, s[0:1], 0, v13, s[0:1]
	v_cmp_le_u32_e64 s[0:1], s47, v13
	v_cndmask_b32_e64 v16, 0, -1, s[0:1]
	v_cmp_le_u32_e64 s[0:1], s46, v15
	v_cndmask_b32_e64 v15, 0, -1, s[0:1]
	v_cmp_eq_u32_e64 s[0:1], s47, v13
	v_cndmask_b32_e64 v13, v16, v15, s[0:1]
	v_add_co_u32_e64 v15, s[0:1], 2, v9
	v_subb_co_u32_e32 v7, vcc, v7, v14, vcc
	v_addc_co_u32_e64 v16, s[0:1], 0, v11, s[0:1]
	v_cmp_le_u32_e32 vcc, s47, v7
	v_add_co_u32_e64 v17, s[0:1], 1, v9
	v_cndmask_b32_e64 v14, 0, -1, vcc
	v_cmp_le_u32_e32 vcc, s46, v5
	v_addc_co_u32_e64 v20, s[0:1], 0, v11, s[0:1]
	v_cndmask_b32_e64 v5, 0, -1, vcc
	v_cmp_eq_u32_e32 vcc, s47, v7
	v_cmp_ne_u32_e64 s[0:1], 0, v13
	v_cndmask_b32_e32 v5, v14, v5, vcc
	v_cmp_ne_u32_e32 vcc, 0, v5
	v_cndmask_b32_e64 v7, v17, v15, s[0:1]
	v_cndmask_b32_e64 v13, v20, v16, s[0:1]
	v_cndmask_b32_e32 v7, v9, v7, vcc
	v_cndmask_b32_e32 v5, v11, v13, vcc
	v_xor_b32_e32 v7, v7, v3
	v_xor_b32_e32 v5, v5, v3
	v_sub_co_u32_e32 v14, vcc, v7, v3
	v_subb_co_u32_e32 v15, vcc, v5, v3, vcc
.LBB1_31:                               ;   in Loop: Header=BB1_21 Depth=2
	s_andn2_saveexec_b64 s[0:1], s[38:39]
	s_cbranch_execz .LBB1_33
; %bb.32:                               ;   in Loop: Header=BB1_21 Depth=2
	v_cvt_f32_u32_e32 v3, s64
	s_sub_i32 s38, 0, s64
	v_mov_b32_e32 v15, v2
	v_rcp_iflag_f32_e32 v3, v3
	v_mul_f32_e32 v3, 0x4f7ffffe, v3
	v_cvt_u32_f32_e32 v3, v3
	v_mul_lo_u32 v5, s38, v3
	v_mul_hi_u32 v5, v3, v5
	v_add_u32_e32 v3, v3, v5
	v_mul_hi_u32 v3, v12, v3
	v_mul_lo_u32 v5, v3, s64
	v_add_u32_e32 v7, 1, v3
	v_sub_u32_e32 v5, v12, v5
	v_subrev_u32_e32 v9, s64, v5
	v_cmp_le_u32_e32 vcc, s64, v5
	v_cndmask_b32_e32 v5, v5, v9, vcc
	v_cndmask_b32_e32 v3, v3, v7, vcc
	v_add_u32_e32 v7, 1, v3
	v_cmp_le_u32_e32 vcc, s64, v5
	v_cndmask_b32_e32 v14, v3, v7, vcc
.LBB1_33:                               ;   in Loop: Header=BB1_21 Depth=2
	s_or_b64 exec, exec, s[0:1]
	s_add_u32 s0, s4, s40
	s_addc_u32 s1, s5, s41
	s_add_i32 s38, s20, -3
	s_mov_b32 s39, s21
	s_lshl_b64 s[38:39], s[38:39], 2
	s_add_u32 s40, s48, s38
	s_addc_u32 s41, s49, s39
	s_load_dword s67, s[40:41], 0x8
	s_load_dword s68, s[42:43], 0x6c
	;; [unrolled: 1-line block ×3, first 2 shown]
                                        ; implicit-def: $vgpr16_vgpr17
	s_waitcnt lgkmcnt(0)
	s_ashr_i32 s0, s67, 31
	v_or_b32_e32 v3, s0, v15
	v_cmp_ne_u64_e32 vcc, 0, v[2:3]
	s_and_saveexec_b64 s[42:43], vcc
	s_xor_b64 s[42:43], exec, s[42:43]
	s_cbranch_execz .LBB1_35
; %bb.34:                               ;   in Loop: Header=BB1_21 Depth=2
	s_ashr_i32 s44, s0, 31
	s_add_u32 s46, s67, s44
	s_mov_b32 s45, s44
	s_addc_u32 s47, s0, s44
	s_xor_b64 s[46:47], s[46:47], s[44:45]
	v_cvt_f32_u32_e32 v3, s46
	v_cvt_f32_u32_e32 v5, s47
	s_sub_u32 s45, 0, s46
	s_subb_u32 s69, 0, s47
	v_mac_f32_e32 v3, 0x4f800000, v5
	v_rcp_f32_e32 v3, v3
	v_mul_f32_e32 v3, 0x5f7ffffc, v3
	v_mul_f32_e32 v5, 0x2f800000, v3
	v_trunc_f32_e32 v5, v5
	v_mac_f32_e32 v3, 0xcf800000, v5
	v_cvt_u32_f32_e32 v5, v5
	v_cvt_u32_f32_e32 v3, v3
	v_readfirstlane_b32 s70, v5
	v_readfirstlane_b32 s0, v3
	s_mul_i32 s1, s45, s70
	s_mul_hi_u32 s72, s45, s0
	s_mul_i32 s71, s69, s0
	s_add_i32 s1, s72, s1
	s_add_i32 s1, s1, s71
	s_mul_i32 s73, s45, s0
	s_mul_i32 s72, s0, s1
	s_mul_hi_u32 s74, s0, s73
	s_mul_hi_u32 s71, s0, s1
	s_add_u32 s72, s74, s72
	s_addc_u32 s71, 0, s71
	s_mul_hi_u32 s75, s70, s73
	s_mul_i32 s73, s70, s73
	s_add_u32 s72, s72, s73
	s_mul_hi_u32 s74, s70, s1
	s_addc_u32 s71, s71, s75
	s_addc_u32 s72, s74, 0
	s_mul_i32 s1, s70, s1
	s_add_u32 s1, s71, s1
	s_addc_u32 s71, 0, s72
	s_add_u32 s72, s0, s1
	s_cselect_b64 s[0:1], -1, 0
	s_cmp_lg_u64 s[0:1], 0
	s_addc_u32 s70, s70, s71
	s_mul_i32 s0, s45, s70
	s_mul_hi_u32 s1, s45, s72
	s_add_i32 s0, s1, s0
	s_mul_i32 s69, s69, s72
	s_add_i32 s0, s0, s69
	s_mul_i32 s45, s45, s72
	s_mul_hi_u32 s69, s70, s45
	s_mul_i32 s71, s70, s45
	s_mul_i32 s74, s72, s0
	s_mul_hi_u32 s45, s72, s45
	s_mul_hi_u32 s73, s72, s0
	s_add_u32 s45, s45, s74
	s_addc_u32 s73, 0, s73
	s_add_u32 s45, s45, s71
	s_mul_hi_u32 s1, s70, s0
	s_addc_u32 s45, s73, s69
	s_addc_u32 s1, s1, 0
	s_mul_i32 s0, s70, s0
	s_add_u32 s0, s45, s0
	s_addc_u32 s45, 0, s1
	s_add_u32 s69, s72, s0
	s_cselect_b64 s[0:1], -1, 0
	v_ashrrev_i32_e32 v3, 31, v15
	s_cmp_lg_u64 s[0:1], 0
	v_add_co_u32_e32 v5, vcc, v14, v3
	s_addc_u32 s45, s70, s45
	v_xor_b32_e32 v5, v5, v3
	v_addc_co_u32_e32 v7, vcc, v15, v3, vcc
	v_mad_u64_u32 v[15:16], s[0:1], v5, s45, 0
	v_mul_hi_u32 v9, v5, s69
	v_xor_b32_e32 v7, v7, v3
	v_mad_u64_u32 v[20:21], s[0:1], v7, s45, 0
	v_add_co_u32_e32 v9, vcc, v9, v15
	v_addc_co_u32_e32 v11, vcc, 0, v16, vcc
	v_mad_u64_u32 v[15:16], s[0:1], v7, s69, 0
	v_xor_b32_e32 v3, s44, v3
	v_add_co_u32_e32 v9, vcc, v9, v15
	v_addc_co_u32_e32 v9, vcc, v11, v16, vcc
	v_addc_co_u32_e32 v11, vcc, 0, v21, vcc
	v_add_co_u32_e32 v9, vcc, v9, v20
	v_addc_co_u32_e32 v11, vcc, 0, v11, vcc
	v_mul_lo_u32 v13, s47, v9
	v_mul_lo_u32 v17, s46, v11
	v_mad_u64_u32 v[15:16], s[0:1], s46, v9, 0
	v_add3_u32 v13, v16, v17, v13
	v_sub_u32_e32 v16, v7, v13
	v_mov_b32_e32 v17, s47
	v_sub_co_u32_e32 v5, vcc, v5, v15
	v_subb_co_u32_e64 v15, s[0:1], v16, v17, vcc
	v_subrev_co_u32_e64 v16, s[0:1], s46, v5
	v_subbrev_co_u32_e64 v15, s[0:1], 0, v15, s[0:1]
	v_cmp_le_u32_e64 s[0:1], s47, v15
	v_cndmask_b32_e64 v17, 0, -1, s[0:1]
	v_cmp_le_u32_e64 s[0:1], s46, v16
	v_cndmask_b32_e64 v16, 0, -1, s[0:1]
	v_cmp_eq_u32_e64 s[0:1], s47, v15
	v_cndmask_b32_e64 v15, v17, v16, s[0:1]
	v_add_co_u32_e64 v16, s[0:1], 2, v9
	v_subb_co_u32_e32 v7, vcc, v7, v13, vcc
	v_addc_co_u32_e64 v17, s[0:1], 0, v11, s[0:1]
	v_cmp_le_u32_e32 vcc, s47, v7
	v_add_co_u32_e64 v20, s[0:1], 1, v9
	v_cndmask_b32_e64 v13, 0, -1, vcc
	v_cmp_le_u32_e32 vcc, s46, v5
	v_addc_co_u32_e64 v21, s[0:1], 0, v11, s[0:1]
	v_cndmask_b32_e64 v5, 0, -1, vcc
	v_cmp_eq_u32_e32 vcc, s47, v7
	v_cmp_ne_u32_e64 s[0:1], 0, v15
	v_cndmask_b32_e32 v5, v13, v5, vcc
	v_cmp_ne_u32_e32 vcc, 0, v5
	v_cndmask_b32_e64 v7, v20, v16, s[0:1]
	v_cndmask_b32_e64 v15, v21, v17, s[0:1]
	v_cndmask_b32_e32 v7, v9, v7, vcc
	v_cndmask_b32_e32 v5, v11, v15, vcc
	v_xor_b32_e32 v7, v7, v3
	v_xor_b32_e32 v5, v5, v3
	v_sub_co_u32_e32 v16, vcc, v7, v3
	v_subb_co_u32_e32 v17, vcc, v5, v3, vcc
.LBB1_35:                               ;   in Loop: Header=BB1_21 Depth=2
	s_andn2_saveexec_b64 s[0:1], s[42:43]
	s_cbranch_execz .LBB1_37
; %bb.36:                               ;   in Loop: Header=BB1_21 Depth=2
	v_cvt_f32_u32_e32 v3, s67
	s_sub_i32 s42, 0, s67
	v_mov_b32_e32 v17, v2
	v_rcp_iflag_f32_e32 v3, v3
	v_mul_f32_e32 v3, 0x4f7ffffe, v3
	v_cvt_u32_f32_e32 v3, v3
	v_mul_lo_u32 v5, s42, v3
	v_mul_hi_u32 v5, v3, v5
	v_add_u32_e32 v3, v3, v5
	v_mul_hi_u32 v3, v14, v3
	v_mul_lo_u32 v5, v3, s67
	v_add_u32_e32 v7, 1, v3
	v_sub_u32_e32 v5, v14, v5
	v_subrev_u32_e32 v9, s67, v5
	v_cmp_le_u32_e32 vcc, s67, v5
	v_cndmask_b32_e32 v5, v5, v9, vcc
	v_cndmask_b32_e32 v3, v3, v7, vcc
	v_add_u32_e32 v7, 1, v3
	v_cmp_le_u32_e32 vcc, s67, v5
	v_cndmask_b32_e32 v16, v3, v7, vcc
.LBB1_37:                               ;   in Loop: Header=BB1_21 Depth=2
	s_or_b64 exec, exec, s[0:1]
	v_mul_lo_u32 v3, v10, s59
	v_mul_lo_u32 v5, v12, s62
	;; [unrolled: 1-line block ×3, first 2 shown]
	s_add_u32 s0, s4, s38
	v_sub_u32_e32 v3, v8, v3
	v_sub_u32_e32 v5, v10, v5
	v_mul_lo_u32 v7, s61, v3
	v_mul_lo_u32 v8, s65, v5
	s_addc_u32 s1, s5, s39
	s_load_dword s40, s[40:41], 0x6c
	v_mul_lo_u32 v3, s60, v3
	v_add3_u32 v6, v7, v6, v8
	v_sub_u32_e32 v7, v12, v9
	v_mul_lo_u32 v9, v16, s67
	s_load_dword s0, s[0:1], 0x6c
	v_mul_lo_u32 v5, s63, v5
	v_mul_lo_u32 v8, s68, v7
	v_sub_u32_e32 v9, v14, v9
	s_waitcnt lgkmcnt(0)
	v_mul_lo_u32 v10, s40, v9
	v_add3_u32 v3, v3, v4, v5
	v_mul_lo_u32 v4, s66, v7
	v_mul_lo_u32 v5, s0, v9
	s_add_i32 s20, s20, -4
	v_add3_u32 v6, v8, v6, v10
	s_cmp_eq_u32 s20, -1
	v_add3_u32 v4, v4, v3, v5
	s_cbranch_scc1 .LBB1_39
; %bb.38:                               ;   in Loop: Header=BB1_21 Depth=2
	v_mov_b32_e32 v8, v16
	v_mov_b32_e32 v9, v17
	s_branch .LBB1_21
.LBB1_39:                               ;   in Loop: Header=BB1_3 Depth=1
	v_sub_u32_e32 v7, v18, v19
	v_ashrrev_i32_e32 v8, 31, v7
	v_cmp_ge_i64_e32 vcc, s[8:9], v[7:8]
	v_mov_b32_e32 v3, 0
	s_and_saveexec_b64 s[38:39], vcc
	s_cbranch_execz .LBB1_49
; %bb.40:                               ;   in Loop: Header=BB1_3 Depth=1
	v_cmp_gt_i32_e32 vcc, s7, v18
	v_mov_b32_e32 v3, 0
	v_mov_b32_e32 v5, 0
	;; [unrolled: 1-line block ×4, first 2 shown]
	s_and_saveexec_b64 s[0:1], vcc
	s_cbranch_execz .LBB1_48
; %bb.41:                               ;   in Loop: Header=BB1_3 Depth=1
	v_ashrrev_i32_e32 v3, 31, v6
	v_mov_b32_e32 v5, s3
	v_add_co_u32_e32 v9, vcc, s2, v6
	v_addc_co_u32_e32 v10, vcc, v5, v3, vcc
	global_load_ubyte v3, v[9:10], off
	v_add_u32_e32 v11, 1, v18
	v_mov_b32_e32 v5, 0
	v_cmp_gt_i32_e32 vcc, s7, v11
	v_mov_b32_e32 v11, 0
	v_mov_b32_e32 v12, 0
	s_and_saveexec_b64 s[40:41], vcc
	s_xor_b64 s[40:41], exec, s[40:41]
	s_cbranch_execz .LBB1_47
; %bb.42:                               ;   in Loop: Header=BB1_3 Depth=1
	v_mov_b32_e32 v5, s55
	v_add_co_u32_e32 v9, vcc, s56, v9
	v_addc_co_u32_e32 v10, vcc, v10, v5, vcc
	global_load_ubyte v5, v[9:10], off
	v_add_u32_e32 v9, 2, v18
	v_mov_b32_e32 v11, 0
	v_cmp_gt_i32_e32 vcc, s7, v9
	v_mov_b32_e32 v12, 0
	s_and_saveexec_b64 s[42:43], vcc
	s_xor_b64 s[42:43], exec, s[42:43]
	s_cbranch_execz .LBB1_46
; %bb.43:                               ;   in Loop: Header=BB1_3 Depth=1
	v_add_u32_e32 v6, s15, v6
	v_ashrrev_i32_e32 v10, 31, v6
	v_mov_b32_e32 v11, s3
	v_add_co_u32_e32 v9, vcc, s2, v6
	v_addc_co_u32_e32 v10, vcc, v11, v10, vcc
	global_load_ubyte v11, v[9:10], off
	v_add_u32_e32 v9, 3, v18
	v_mov_b32_e32 v12, 0
	v_cmp_gt_i32_e32 vcc, s7, v9
	s_and_saveexec_b64 s[44:45], vcc
	s_xor_b64 s[44:45], exec, s[44:45]
	s_cbranch_execz .LBB1_45
; %bb.44:                               ;   in Loop: Header=BB1_3 Depth=1
	v_add_u32_e32 v6, s56, v6
	v_ashrrev_i32_e32 v10, 31, v6
	v_mov_b32_e32 v12, s3
	v_add_co_u32_e32 v9, vcc, s2, v6
	v_addc_co_u32_e32 v10, vcc, v12, v10, vcc
	global_load_ubyte v12, v[9:10], off
.LBB1_45:                               ;   in Loop: Header=BB1_3 Depth=1
	s_or_b64 exec, exec, s[44:45]
.LBB1_46:                               ;   in Loop: Header=BB1_3 Depth=1
	s_or_b64 exec, exec, s[42:43]
.LBB1_47:                               ;   in Loop: Header=BB1_3 Depth=1
	s_or_b64 exec, exec, s[40:41]
.LBB1_48:                               ;   in Loop: Header=BB1_3 Depth=1
	s_or_b64 exec, exec, s[0:1]
	v_add_u32_e32 v9, 1, v7
	v_ashrrev_i32_e32 v10, 31, v9
	v_add_u32_e32 v13, 3, v7
	v_cmp_ge_i64_e32 vcc, s[24:25], v[9:10]
	v_ashrrev_i32_e32 v14, 31, v13
	v_cmp_ge_i64_e64 s[0:1], s[22:23], v[7:8]
	v_add_u32_e32 v15, 2, v7
	s_waitcnt vmcnt(0)
	v_cndmask_b32_sdwa v5, v2, v5, vcc dst_sel:BYTE_1 dst_unused:UNUSED_PAD src0_sel:DWORD src1_sel:DWORD
	v_cmp_ge_i64_e32 vcc, s[28:29], v[13:14]
	v_ashrrev_i32_e32 v16, 31, v15
	v_cndmask_b32_e64 v3, 0, v3, s[0:1]
	v_or_b32_sdwa v3, v3, v5 dst_sel:DWORD dst_unused:UNUSED_PAD src0_sel:BYTE_0 src1_sel:DWORD
	v_cndmask_b32_sdwa v5, v2, v12, vcc dst_sel:BYTE_1 dst_unused:UNUSED_PAD src0_sel:DWORD src1_sel:DWORD
	v_cmp_ge_i64_e32 vcc, s[26:27], v[15:16]
	v_cndmask_b32_e32 v6, 0, v11, vcc
	v_or_b32_sdwa v5, v6, v5 dst_sel:WORD_1 dst_unused:UNUSED_PAD src0_sel:BYTE_0 src1_sel:DWORD
	v_or_b32_sdwa v3, v3, v5 dst_sel:DWORD dst_unused:UNUSED_PAD src0_sel:WORD_0 src1_sel:DWORD
.LBB1_49:                               ;   in Loop: Header=BB1_3 Depth=1
	s_or_b64 exec, exec, s[38:39]
	v_cmp_gt_i32_e32 vcc, s7, v18
	s_and_saveexec_b64 s[0:1], vcc
	s_cbranch_execz .LBB1_2
; %bb.50:                               ;   in Loop: Header=BB1_3 Depth=1
	v_ashrrev_i32_e32 v6, 31, v4
	v_mov_b32_e32 v7, s19
	v_add_co_u32_e32 v5, vcc, s18, v4
	v_addc_co_u32_e32 v6, vcc, v7, v6, vcc
	v_add_u32_e32 v7, 1, v18
	v_cmp_gt_i32_e32 vcc, s7, v7
	global_store_byte v[5:6], v3, off
	s_and_saveexec_b64 s[38:39], vcc
	s_xor_b64 s[38:39], exec, s[38:39]
	s_cbranch_execz .LBB1_2
; %bb.51:                               ;   in Loop: Header=BB1_3 Depth=1
	v_mov_b32_e32 v8, s57
	v_add_co_u32_e32 v5, vcc, s58, v5
	v_lshrrev_b32_e32 v7, 8, v3
	v_addc_co_u32_e32 v6, vcc, v6, v8, vcc
	global_store_byte v[5:6], v7, off
	v_add_u32_e32 v5, 2, v18
	v_cmp_gt_i32_e32 vcc, s7, v5
	s_and_saveexec_b64 s[38:39], vcc
	s_xor_b64 s[38:39], exec, s[38:39]
	s_cbranch_execz .LBB1_2
; %bb.52:                               ;   in Loop: Header=BB1_3 Depth=1
	v_add_u32_e32 v4, s17, v4
	v_ashrrev_i32_e32 v6, 31, v4
	v_mov_b32_e32 v7, s19
	v_add_co_u32_e32 v5, vcc, s18, v4
	v_addc_co_u32_e32 v6, vcc, v7, v6, vcc
	global_store_byte_d16_hi v[5:6], v3, off
	v_add_u32_e32 v5, 3, v18
	v_cmp_gt_i32_e32 vcc, s7, v5
	s_and_saveexec_b64 s[38:39], vcc
	s_xor_b64 s[38:39], exec, s[38:39]
	s_cbranch_execz .LBB1_2
; %bb.53:                               ;   in Loop: Header=BB1_3 Depth=1
	v_lshrrev_b32_e32 v5, 24, v3
	v_add_u32_e32 v3, s58, v4
	v_ashrrev_i32_e32 v4, 31, v3
	v_mov_b32_e32 v6, s19
	v_add_co_u32_e32 v3, vcc, s18, v3
	v_addc_co_u32_e32 v4, vcc, v6, v4, vcc
	global_store_byte v[3:4], v5, off
	s_branch .LBB1_2
.LBB1_54:
	s_endpgm
	.section	.rodata,"a",@progbits
	.p2align	6, 0x0
	.amdhsa_kernel _ZN2at6native16triu_tril_kernelIhiLb0ELi4ELb0EEEvNS_4cuda6detail10TensorInfoIT_T0_EENS4_IKS5_S6_EEllS6_
		.amdhsa_group_segment_fixed_size 0
		.amdhsa_private_segment_fixed_size 0
		.amdhsa_kernarg_size 712
		.amdhsa_user_sgpr_count 6
		.amdhsa_user_sgpr_private_segment_buffer 1
		.amdhsa_user_sgpr_dispatch_ptr 0
		.amdhsa_user_sgpr_queue_ptr 0
		.amdhsa_user_sgpr_kernarg_segment_ptr 1
		.amdhsa_user_sgpr_dispatch_id 0
		.amdhsa_user_sgpr_flat_scratch_init 0
		.amdhsa_user_sgpr_private_segment_size 0
		.amdhsa_uses_dynamic_stack 0
		.amdhsa_system_sgpr_private_segment_wavefront_offset 0
		.amdhsa_system_sgpr_workgroup_id_x 1
		.amdhsa_system_sgpr_workgroup_id_y 0
		.amdhsa_system_sgpr_workgroup_id_z 0
		.amdhsa_system_sgpr_workgroup_info 0
		.amdhsa_system_vgpr_workitem_id 0
		.amdhsa_next_free_vgpr 22
		.amdhsa_next_free_sgpr 76
		.amdhsa_reserve_vcc 1
		.amdhsa_reserve_flat_scratch 0
		.amdhsa_float_round_mode_32 0
		.amdhsa_float_round_mode_16_64 0
		.amdhsa_float_denorm_mode_32 3
		.amdhsa_float_denorm_mode_16_64 3
		.amdhsa_dx10_clamp 1
		.amdhsa_ieee_mode 1
		.amdhsa_fp16_overflow 0
		.amdhsa_exception_fp_ieee_invalid_op 0
		.amdhsa_exception_fp_denorm_src 0
		.amdhsa_exception_fp_ieee_div_zero 0
		.amdhsa_exception_fp_ieee_overflow 0
		.amdhsa_exception_fp_ieee_underflow 0
		.amdhsa_exception_fp_ieee_inexact 0
		.amdhsa_exception_int_div_zero 0
	.end_amdhsa_kernel
	.section	.text._ZN2at6native16triu_tril_kernelIhiLb0ELi4ELb0EEEvNS_4cuda6detail10TensorInfoIT_T0_EENS4_IKS5_S6_EEllS6_,"axG",@progbits,_ZN2at6native16triu_tril_kernelIhiLb0ELi4ELb0EEEvNS_4cuda6detail10TensorInfoIT_T0_EENS4_IKS5_S6_EEllS6_,comdat
.Lfunc_end1:
	.size	_ZN2at6native16triu_tril_kernelIhiLb0ELi4ELb0EEEvNS_4cuda6detail10TensorInfoIT_T0_EENS4_IKS5_S6_EEllS6_, .Lfunc_end1-_ZN2at6native16triu_tril_kernelIhiLb0ELi4ELb0EEEvNS_4cuda6detail10TensorInfoIT_T0_EENS4_IKS5_S6_EEllS6_
                                        ; -- End function
	.set _ZN2at6native16triu_tril_kernelIhiLb0ELi4ELb0EEEvNS_4cuda6detail10TensorInfoIT_T0_EENS4_IKS5_S6_EEllS6_.num_vgpr, 22
	.set _ZN2at6native16triu_tril_kernelIhiLb0ELi4ELb0EEEvNS_4cuda6detail10TensorInfoIT_T0_EENS4_IKS5_S6_EEllS6_.num_agpr, 0
	.set _ZN2at6native16triu_tril_kernelIhiLb0ELi4ELb0EEEvNS_4cuda6detail10TensorInfoIT_T0_EENS4_IKS5_S6_EEllS6_.numbered_sgpr, 76
	.set _ZN2at6native16triu_tril_kernelIhiLb0ELi4ELb0EEEvNS_4cuda6detail10TensorInfoIT_T0_EENS4_IKS5_S6_EEllS6_.num_named_barrier, 0
	.set _ZN2at6native16triu_tril_kernelIhiLb0ELi4ELb0EEEvNS_4cuda6detail10TensorInfoIT_T0_EENS4_IKS5_S6_EEllS6_.private_seg_size, 0
	.set _ZN2at6native16triu_tril_kernelIhiLb0ELi4ELb0EEEvNS_4cuda6detail10TensorInfoIT_T0_EENS4_IKS5_S6_EEllS6_.uses_vcc, 1
	.set _ZN2at6native16triu_tril_kernelIhiLb0ELi4ELb0EEEvNS_4cuda6detail10TensorInfoIT_T0_EENS4_IKS5_S6_EEllS6_.uses_flat_scratch, 0
	.set _ZN2at6native16triu_tril_kernelIhiLb0ELi4ELb0EEEvNS_4cuda6detail10TensorInfoIT_T0_EENS4_IKS5_S6_EEllS6_.has_dyn_sized_stack, 0
	.set _ZN2at6native16triu_tril_kernelIhiLb0ELi4ELb0EEEvNS_4cuda6detail10TensorInfoIT_T0_EENS4_IKS5_S6_EEllS6_.has_recursion, 0
	.set _ZN2at6native16triu_tril_kernelIhiLb0ELi4ELb0EEEvNS_4cuda6detail10TensorInfoIT_T0_EENS4_IKS5_S6_EEllS6_.has_indirect_call, 0
	.section	.AMDGPU.csdata,"",@progbits
; Kernel info:
; codeLenInByte = 6660
; TotalNumSgprs: 80
; NumVgprs: 22
; ScratchSize: 0
; MemoryBound: 0
; FloatMode: 240
; IeeeMode: 1
; LDSByteSize: 0 bytes/workgroup (compile time only)
; SGPRBlocks: 9
; VGPRBlocks: 5
; NumSGPRsForWavesPerEU: 80
; NumVGPRsForWavesPerEU: 22
; Occupancy: 10
; WaveLimiterHint : 1
; COMPUTE_PGM_RSRC2:SCRATCH_EN: 0
; COMPUTE_PGM_RSRC2:USER_SGPR: 6
; COMPUTE_PGM_RSRC2:TRAP_HANDLER: 0
; COMPUTE_PGM_RSRC2:TGID_X_EN: 1
; COMPUTE_PGM_RSRC2:TGID_Y_EN: 0
; COMPUTE_PGM_RSRC2:TGID_Z_EN: 0
; COMPUTE_PGM_RSRC2:TIDIG_COMP_CNT: 0
	.section	.text._ZN2at6native16triu_tril_kernelIhlLb0ELi4ELb1EEEvNS_4cuda6detail10TensorInfoIT_T0_EENS4_IKS5_S6_EEllS6_,"axG",@progbits,_ZN2at6native16triu_tril_kernelIhlLb0ELi4ELb1EEEvNS_4cuda6detail10TensorInfoIT_T0_EENS4_IKS5_S6_EEllS6_,comdat
	.protected	_ZN2at6native16triu_tril_kernelIhlLb0ELi4ELb1EEEvNS_4cuda6detail10TensorInfoIT_T0_EENS4_IKS5_S6_EEllS6_ ; -- Begin function _ZN2at6native16triu_tril_kernelIhlLb0ELi4ELb1EEEvNS_4cuda6detail10TensorInfoIT_T0_EENS4_IKS5_S6_EEllS6_
	.globl	_ZN2at6native16triu_tril_kernelIhlLb0ELi4ELb1EEEvNS_4cuda6detail10TensorInfoIT_T0_EENS4_IKS5_S6_EEllS6_
	.p2align	8
	.type	_ZN2at6native16triu_tril_kernelIhlLb0ELi4ELb1EEEvNS_4cuda6detail10TensorInfoIT_T0_EENS4_IKS5_S6_EEllS6_,@function
_ZN2at6native16triu_tril_kernelIhlLb0ELi4ELb1EEEvNS_4cuda6detail10TensorInfoIT_T0_EENS4_IKS5_S6_EEllS6_: ; @_ZN2at6native16triu_tril_kernelIhlLb0ELi4ELb1EEEvNS_4cuda6detail10TensorInfoIT_T0_EENS4_IKS5_S6_EEllS6_
; %bb.0:
	s_load_dword s2, s[4:5], 0x364
	s_load_dwordx4 s[8:11], s[4:5], 0x340
	s_add_u32 s0, s4, 0x358
	v_mov_b32_e32 v2, 0
	s_addc_u32 s1, s5, 0
	s_waitcnt lgkmcnt(0)
	s_and_b32 s2, s2, 0xffff
	v_mov_b32_e32 v1, v2
	v_mov_b32_e32 v3, s6
	v_mad_u64_u32 v[0:1], s[6:7], s2, v3, v[0:1]
	v_lshlrev_b64 v[0:1], 2, v[0:1]
	v_cmp_gt_i64_e32 vcc, s[10:11], v[0:1]
	s_and_saveexec_b64 s[6:7], vcc
	s_cbranch_execz .LBB2_49
; %bb.1:
	s_load_dword s1, s[0:1], 0x0
	s_add_u32 s34, s4, 0x1a0
	s_load_dword s0, s[4:5], 0x338
	s_addc_u32 s35, s5, 0
	s_load_dwordx2 s[6:7], s[4:5], 0x350
	s_load_dwordx2 s[12:13], s[4:5], 0x0
	s_waitcnt lgkmcnt(0)
	s_mul_i32 s24, s1, s2
	s_mov_b32 s25, 0
	s_add_i32 s2, s0, -2
	s_ashr_i32 s3, s2, 31
	s_ashr_i32 s1, s0, 31
	s_lshl_b64 s[16:17], s[2:3], 3
	s_add_u32 s16, s34, s16
	s_addc_u32 s17, s35, s17
	s_lshl_b64 s[22:23], s[0:1], 3
	s_add_u32 s18, s4, s22
	s_addc_u32 s19, s5, s23
	s_add_i32 s20, s0, -3
	s_ashr_i32 s21, s20, 31
	s_add_u32 s22, s34, s22
	v_cmp_gt_i64_e64 s[14:15], s[0:1], 2
	s_addc_u32 s23, s35, s23
	s_lshl_b32 s33, s24, 2
	s_and_b32 s24, s2, 3
	s_and_b32 s0, s20, 3
	s_cmp_lg_u32 s0, 3
	s_cselect_b64 s[26:27], -1, 0
	s_cmp_gt_u32 s20, 2
	s_cselect_b64 s[28:29], -1, 0
	s_lshl_b64 s[0:1], s[20:21], 3
	s_add_u32 s2, s4, s0
	s_addc_u32 s3, s5, s1
	s_add_u32 s30, s2, 0xd0
	s_addc_u32 s31, s3, 0
	;; [unrolled: 2-line block ×3, first 2 shown]
	s_add_u32 s34, s0, 8
	s_load_dwordx2 s[16:17], s[16:17], 0x8
	s_addc_u32 s35, s1, 0
	s_add_u32 s64, s4, 0xb8
	s_addc_u32 s65, s5, 0
	s_add_u32 s66, s4, 0x190
	s_addc_u32 s67, s5, 0
	s_mov_b64 s[4:5], 0
	s_branch .LBB2_3
.LBB2_2:                                ;   in Loop: Header=BB2_3 Depth=1
	s_or_b64 exec, exec, s[36:37]
	v_add_co_u32_e32 v0, vcc, s33, v0
	v_addc_co_u32_e32 v1, vcc, 0, v1, vcc
	v_cmp_le_i64_e32 vcc, s[10:11], v[0:1]
	s_or_b64 s[4:5], vcc, s[4:5]
	s_andn2_b64 exec, exec, s[4:5]
	s_cbranch_execz .LBB2_49
.LBB2_3:                                ; =>This Loop Header: Depth=1
                                        ;     Child Loop BB2_17 Depth 2
                                        ;     Child Loop BB2_22 Depth 2
	v_or_b32_e32 v3, s7, v1
	v_cmp_ne_u64_e32 vcc, 0, v[2:3]
                                        ; implicit-def: $vgpr6_vgpr7
	s_and_saveexec_b64 s[0:1], vcc
	s_xor_b64 s[2:3], exec, s[0:1]
	s_cbranch_execz .LBB2_5
; %bb.4:                                ;   in Loop: Header=BB2_3 Depth=1
	s_ashr_i32 s36, s7, 31
	s_add_u32 s0, s6, s36
	s_mov_b32 s37, s36
	s_addc_u32 s1, s7, s36
	s_xor_b64 s[38:39], s[0:1], s[36:37]
	v_cvt_f32_u32_e32 v3, s38
	v_cvt_f32_u32_e32 v4, s39
	s_sub_u32 s37, 0, s38
	s_subb_u32 s40, 0, s39
	v_ashrrev_i32_e32 v7, 31, v1
	v_mac_f32_e32 v3, 0x4f800000, v4
	v_rcp_f32_e32 v3, v3
	v_mul_f32_e32 v3, 0x5f7ffffc, v3
	v_mul_f32_e32 v4, 0x2f800000, v3
	v_trunc_f32_e32 v4, v4
	v_mac_f32_e32 v3, 0xcf800000, v4
	v_cvt_u32_f32_e32 v4, v4
	v_cvt_u32_f32_e32 v3, v3
	v_readfirstlane_b32 s41, v4
	v_readfirstlane_b32 s0, v3
	s_mul_i32 s1, s37, s41
	s_mul_hi_u32 s43, s37, s0
	s_mul_i32 s42, s40, s0
	s_add_i32 s1, s43, s1
	s_add_i32 s1, s1, s42
	s_mul_i32 s44, s37, s0
	s_mul_i32 s43, s0, s1
	s_mul_hi_u32 s45, s0, s44
	s_mul_hi_u32 s42, s0, s1
	s_add_u32 s43, s45, s43
	s_addc_u32 s42, 0, s42
	s_mul_hi_u32 s46, s41, s44
	s_mul_i32 s44, s41, s44
	s_add_u32 s43, s43, s44
	s_mul_hi_u32 s45, s41, s1
	s_addc_u32 s42, s42, s46
	s_addc_u32 s43, s45, 0
	s_mul_i32 s1, s41, s1
	s_add_u32 s1, s42, s1
	s_addc_u32 s42, 0, s43
	s_add_u32 s43, s0, s1
	s_cselect_b64 s[0:1], -1, 0
	s_cmp_lg_u64 s[0:1], 0
	s_addc_u32 s41, s41, s42
	s_mul_i32 s0, s37, s41
	s_mul_hi_u32 s1, s37, s43
	s_add_i32 s0, s1, s0
	s_mul_i32 s40, s40, s43
	s_add_i32 s0, s0, s40
	s_mul_i32 s37, s37, s43
	s_mul_hi_u32 s40, s41, s37
	s_mul_i32 s42, s41, s37
	s_mul_i32 s45, s43, s0
	s_mul_hi_u32 s37, s43, s37
	s_mul_hi_u32 s44, s43, s0
	s_add_u32 s37, s37, s45
	s_addc_u32 s44, 0, s44
	s_add_u32 s37, s37, s42
	s_mul_hi_u32 s1, s41, s0
	s_addc_u32 s37, s44, s40
	s_addc_u32 s1, s1, 0
	s_mul_i32 s0, s41, s0
	s_add_u32 s0, s37, s0
	s_addc_u32 s37, 0, s1
	s_add_u32 s40, s43, s0
	s_cselect_b64 s[0:1], -1, 0
	s_cmp_lg_u64 s[0:1], 0
	v_add_co_u32_e32 v3, vcc, v0, v7
	s_addc_u32 s37, s41, s37
	v_xor_b32_e32 v8, v3, v7
	v_mad_u64_u32 v[3:4], s[0:1], v8, s37, 0
	v_mul_hi_u32 v6, v8, s40
	v_addc_co_u32_e32 v5, vcc, v1, v7, vcc
	v_xor_b32_e32 v9, v5, v7
	v_add_co_u32_e32 v10, vcc, v6, v3
	v_addc_co_u32_e32 v11, vcc, 0, v4, vcc
	v_mad_u64_u32 v[3:4], s[0:1], v9, s40, 0
	v_mad_u64_u32 v[5:6], s[0:1], v9, s37, 0
	v_add_co_u32_e32 v3, vcc, v10, v3
	v_addc_co_u32_e32 v3, vcc, v11, v4, vcc
	v_addc_co_u32_e32 v4, vcc, 0, v6, vcc
	v_add_co_u32_e32 v5, vcc, v3, v5
	v_addc_co_u32_e32 v6, vcc, 0, v4, vcc
	v_mul_lo_u32 v10, s39, v5
	v_mul_lo_u32 v11, s38, v6
	v_mad_u64_u32 v[3:4], s[0:1], s38, v5, 0
	v_add3_u32 v4, v4, v11, v10
	v_sub_u32_e32 v10, v9, v4
	v_mov_b32_e32 v11, s39
	v_sub_co_u32_e32 v3, vcc, v8, v3
	v_subb_co_u32_e64 v8, s[0:1], v10, v11, vcc
	v_subrev_co_u32_e64 v10, s[0:1], s38, v3
	v_subbrev_co_u32_e64 v8, s[0:1], 0, v8, s[0:1]
	v_cmp_le_u32_e64 s[0:1], s39, v8
	v_cndmask_b32_e64 v11, 0, -1, s[0:1]
	v_cmp_le_u32_e64 s[0:1], s38, v10
	v_cndmask_b32_e64 v10, 0, -1, s[0:1]
	v_cmp_eq_u32_e64 s[0:1], s39, v8
	v_cndmask_b32_e64 v8, v11, v10, s[0:1]
	v_add_co_u32_e64 v10, s[0:1], 2, v5
	v_subb_co_u32_e32 v4, vcc, v9, v4, vcc
	v_addc_co_u32_e64 v11, s[0:1], 0, v6, s[0:1]
	v_cmp_le_u32_e32 vcc, s39, v4
	v_add_co_u32_e64 v12, s[0:1], 1, v5
	v_cndmask_b32_e64 v9, 0, -1, vcc
	v_cmp_le_u32_e32 vcc, s38, v3
	v_addc_co_u32_e64 v13, s[0:1], 0, v6, s[0:1]
	v_cndmask_b32_e64 v3, 0, -1, vcc
	v_cmp_eq_u32_e32 vcc, s39, v4
	v_cmp_ne_u32_e64 s[0:1], 0, v8
	v_cndmask_b32_e32 v3, v9, v3, vcc
	v_cmp_ne_u32_e32 vcc, 0, v3
	v_cndmask_b32_e64 v4, v12, v10, s[0:1]
	v_cndmask_b32_e64 v8, v13, v11, s[0:1]
	v_cndmask_b32_e32 v4, v5, v4, vcc
	v_xor_b32_e32 v5, s36, v7
	v_cndmask_b32_e32 v3, v6, v8, vcc
	v_xor_b32_e32 v4, v4, v5
	v_xor_b32_e32 v3, v3, v5
	v_sub_co_u32_e32 v6, vcc, v4, v5
	v_subb_co_u32_e32 v7, vcc, v3, v5, vcc
.LBB2_5:                                ;   in Loop: Header=BB2_3 Depth=1
	s_andn2_saveexec_b64 s[0:1], s[2:3]
	s_cbranch_execz .LBB2_7
; %bb.6:                                ;   in Loop: Header=BB2_3 Depth=1
	v_cvt_f32_u32_e32 v3, s6
	s_sub_i32 s2, 0, s6
	v_mov_b32_e32 v7, v2
	v_rcp_iflag_f32_e32 v3, v3
	v_mul_f32_e32 v3, 0x4f7ffffe, v3
	v_cvt_u32_f32_e32 v3, v3
	v_mul_lo_u32 v4, s2, v3
	v_mul_hi_u32 v4, v3, v4
	v_add_u32_e32 v3, v3, v4
	v_mul_hi_u32 v3, v0, v3
	v_mul_lo_u32 v4, v3, s6
	v_add_u32_e32 v5, 1, v3
	v_sub_u32_e32 v4, v0, v4
	v_subrev_u32_e32 v6, s6, v4
	v_cmp_le_u32_e32 vcc, s6, v4
	v_cndmask_b32_e32 v4, v4, v6, vcc
	v_cndmask_b32_e32 v3, v3, v5, vcc
	v_add_u32_e32 v5, 1, v3
	v_cmp_le_u32_e32 vcc, s6, v4
	v_cndmask_b32_e32 v6, v3, v5, vcc
.LBB2_7:                                ;   in Loop: Header=BB2_3 Depth=1
	s_or_b64 exec, exec, s[0:1]
	s_waitcnt lgkmcnt(0)
	v_or_b32_e32 v3, s17, v7
	v_cmp_ne_u64_e32 vcc, 0, v[2:3]
                                        ; implicit-def: $vgpr10_vgpr11
	s_and_saveexec_b64 s[0:1], vcc
	s_xor_b64 s[2:3], exec, s[0:1]
	s_cbranch_execz .LBB2_9
; %bb.8:                                ;   in Loop: Header=BB2_3 Depth=1
	s_ashr_i32 s36, s17, 31
	s_add_u32 s0, s16, s36
	s_mov_b32 s37, s36
	s_addc_u32 s1, s17, s36
	s_xor_b64 s[38:39], s[0:1], s[36:37]
	v_cvt_f32_u32_e32 v3, s38
	v_cvt_f32_u32_e32 v4, s39
	s_sub_u32 s37, 0, s38
	s_subb_u32 s40, 0, s39
	v_ashrrev_i32_e32 v5, 31, v7
	v_mac_f32_e32 v3, 0x4f800000, v4
	v_rcp_f32_e32 v3, v3
	v_mul_f32_e32 v3, 0x5f7ffffc, v3
	v_mul_f32_e32 v4, 0x2f800000, v3
	v_trunc_f32_e32 v4, v4
	v_mac_f32_e32 v3, 0xcf800000, v4
	v_cvt_u32_f32_e32 v4, v4
	v_cvt_u32_f32_e32 v3, v3
	v_readfirstlane_b32 s41, v4
	v_readfirstlane_b32 s0, v3
	s_mul_i32 s1, s37, s41
	s_mul_hi_u32 s43, s37, s0
	s_mul_i32 s42, s40, s0
	s_add_i32 s1, s43, s1
	s_add_i32 s1, s1, s42
	s_mul_i32 s44, s37, s0
	s_mul_i32 s43, s0, s1
	s_mul_hi_u32 s45, s0, s44
	s_mul_hi_u32 s42, s0, s1
	s_add_u32 s43, s45, s43
	s_addc_u32 s42, 0, s42
	s_mul_hi_u32 s46, s41, s44
	s_mul_i32 s44, s41, s44
	s_add_u32 s43, s43, s44
	s_mul_hi_u32 s45, s41, s1
	s_addc_u32 s42, s42, s46
	s_addc_u32 s43, s45, 0
	s_mul_i32 s1, s41, s1
	s_add_u32 s1, s42, s1
	s_addc_u32 s42, 0, s43
	s_add_u32 s43, s0, s1
	s_cselect_b64 s[0:1], -1, 0
	s_cmp_lg_u64 s[0:1], 0
	s_addc_u32 s41, s41, s42
	s_mul_i32 s0, s37, s41
	s_mul_hi_u32 s1, s37, s43
	s_add_i32 s0, s1, s0
	s_mul_i32 s40, s40, s43
	s_add_i32 s0, s0, s40
	s_mul_i32 s37, s37, s43
	s_mul_hi_u32 s40, s41, s37
	s_mul_i32 s42, s41, s37
	s_mul_i32 s45, s43, s0
	s_mul_hi_u32 s37, s43, s37
	s_mul_hi_u32 s44, s43, s0
	s_add_u32 s37, s37, s45
	s_addc_u32 s44, 0, s44
	s_add_u32 s37, s37, s42
	s_mul_hi_u32 s1, s41, s0
	s_addc_u32 s37, s44, s40
	s_addc_u32 s1, s1, 0
	s_mul_i32 s0, s41, s0
	s_add_u32 s0, s37, s0
	s_addc_u32 s37, 0, s1
	s_add_u32 s40, s43, s0
	s_cselect_b64 s[0:1], -1, 0
	s_cmp_lg_u64 s[0:1], 0
	v_add_co_u32_e32 v3, vcc, v6, v5
	s_addc_u32 s37, s41, s37
	v_xor_b32_e32 v10, v3, v5
	v_mad_u64_u32 v[3:4], s[0:1], v10, s37, 0
	v_mul_hi_u32 v9, v10, s40
	v_addc_co_u32_e32 v8, vcc, v7, v5, vcc
	v_xor_b32_e32 v11, v8, v5
	v_add_co_u32_e32 v12, vcc, v9, v3
	v_addc_co_u32_e32 v13, vcc, 0, v4, vcc
	v_mad_u64_u32 v[3:4], s[0:1], v11, s40, 0
	v_mad_u64_u32 v[8:9], s[0:1], v11, s37, 0
	v_add_co_u32_e32 v3, vcc, v12, v3
	v_addc_co_u32_e32 v3, vcc, v13, v4, vcc
	v_addc_co_u32_e32 v4, vcc, 0, v9, vcc
	v_add_co_u32_e32 v8, vcc, v3, v8
	v_addc_co_u32_e32 v9, vcc, 0, v4, vcc
	v_mul_lo_u32 v12, s39, v8
	v_mul_lo_u32 v13, s38, v9
	v_mad_u64_u32 v[3:4], s[0:1], s38, v8, 0
	v_xor_b32_e32 v5, s36, v5
	v_add3_u32 v4, v4, v13, v12
	v_sub_u32_e32 v12, v11, v4
	v_mov_b32_e32 v13, s39
	v_sub_co_u32_e32 v3, vcc, v10, v3
	v_subb_co_u32_e64 v10, s[0:1], v12, v13, vcc
	v_subrev_co_u32_e64 v12, s[0:1], s38, v3
	v_subbrev_co_u32_e64 v10, s[0:1], 0, v10, s[0:1]
	v_cmp_le_u32_e64 s[0:1], s39, v10
	v_cndmask_b32_e64 v13, 0, -1, s[0:1]
	v_cmp_le_u32_e64 s[0:1], s38, v12
	v_cndmask_b32_e64 v12, 0, -1, s[0:1]
	v_cmp_eq_u32_e64 s[0:1], s39, v10
	v_cndmask_b32_e64 v10, v13, v12, s[0:1]
	v_add_co_u32_e64 v12, s[0:1], 2, v8
	v_subb_co_u32_e32 v4, vcc, v11, v4, vcc
	v_addc_co_u32_e64 v13, s[0:1], 0, v9, s[0:1]
	v_cmp_le_u32_e32 vcc, s39, v4
	v_add_co_u32_e64 v14, s[0:1], 1, v8
	v_cndmask_b32_e64 v11, 0, -1, vcc
	v_cmp_le_u32_e32 vcc, s38, v3
	v_addc_co_u32_e64 v15, s[0:1], 0, v9, s[0:1]
	v_cndmask_b32_e64 v3, 0, -1, vcc
	v_cmp_eq_u32_e32 vcc, s39, v4
	v_cmp_ne_u32_e64 s[0:1], 0, v10
	v_cndmask_b32_e32 v3, v11, v3, vcc
	v_cmp_ne_u32_e32 vcc, 0, v3
	v_cndmask_b32_e64 v4, v14, v12, s[0:1]
	v_cndmask_b32_e64 v10, v15, v13, s[0:1]
	v_cndmask_b32_e32 v4, v8, v4, vcc
	v_cndmask_b32_e32 v3, v9, v10, vcc
	v_xor_b32_e32 v4, v4, v5
	v_xor_b32_e32 v3, v3, v5
	v_sub_co_u32_e32 v10, vcc, v4, v5
	v_subb_co_u32_e32 v11, vcc, v3, v5, vcc
.LBB2_9:                                ;   in Loop: Header=BB2_3 Depth=1
	s_andn2_saveexec_b64 s[0:1], s[2:3]
	s_cbranch_execz .LBB2_11
; %bb.10:                               ;   in Loop: Header=BB2_3 Depth=1
	v_cvt_f32_u32_e32 v3, s16
	s_sub_i32 s2, 0, s16
	v_mov_b32_e32 v11, v2
	v_rcp_iflag_f32_e32 v3, v3
	v_mul_f32_e32 v3, 0x4f7ffffe, v3
	v_cvt_u32_f32_e32 v3, v3
	v_mul_lo_u32 v4, s2, v3
	v_mul_hi_u32 v4, v3, v4
	v_add_u32_e32 v3, v3, v4
	v_mul_hi_u32 v3, v6, v3
	v_mul_lo_u32 v4, v3, s16
	v_add_u32_e32 v5, 1, v3
	v_sub_u32_e32 v4, v6, v4
	v_subrev_u32_e32 v8, s16, v4
	v_cmp_le_u32_e32 vcc, s16, v4
	v_cndmask_b32_e32 v4, v4, v8, vcc
	v_cndmask_b32_e32 v3, v3, v5, vcc
	v_add_u32_e32 v5, 1, v3
	v_cmp_le_u32_e32 vcc, s16, v4
	v_cndmask_b32_e32 v10, v3, v5, vcc
.LBB2_11:                               ;   in Loop: Header=BB2_3 Depth=1
	s_or_b64 exec, exec, s[0:1]
	v_mul_lo_u32 v5, v7, s6
	v_mul_lo_u32 v8, v6, s7
	v_mad_u64_u32 v[3:4], s[0:1], v6, s6, 0
	v_mul_lo_u32 v12, v11, s16
	v_mul_lo_u32 v13, v10, s17
	v_add3_u32 v5, v4, v8, v5
	v_mad_u64_u32 v[8:9], s[0:1], v10, s16, 0
	v_sub_co_u32_e32 v4, vcc, v0, v3
	v_subb_co_u32_e32 v5, vcc, v1, v5, vcc
	v_add3_u32 v3, v9, v13, v12
	v_sub_co_u32_e32 v20, vcc, v6, v8
	v_subb_co_u32_e32 v21, vcc, v7, v3, vcc
	v_sub_co_u32_e32 v6, vcc, v4, v20
	v_subb_co_u32_e32 v7, vcc, v5, v21, vcc
	v_add_co_u32_e32 v8, vcc, 4, v6
	v_addc_co_u32_e32 v9, vcc, 0, v7, vcc
	v_cmp_lt_i64_e32 vcc, s[8:9], v[8:9]
	s_and_saveexec_b64 s[36:37], vcc
	s_cbranch_execz .LBB2_2
; %bb.12:                               ;   in Loop: Header=BB2_3 Depth=1
	s_load_dwordx4 s[0:3], s[18:19], 0xc0
	s_andn2_b64 vcc, exec, s[14:15]
	s_waitcnt lgkmcnt(0)
	v_mul_lo_u32 v3, s3, v4
	v_mul_lo_u32 v12, s2, v5
	v_mad_u64_u32 v[8:9], s[38:39], s2, v4, 0
	v_mul_lo_u32 v13, s0, v21
	v_add3_u32 v9, v9, v12, v3
	v_mad_u64_u32 v[8:9], s[38:39], s0, v20, v[8:9]
	v_mul_lo_u32 v3, s1, v20
	v_add3_u32 v9, v3, v9, v13
	s_cbranch_vccnz .LBB2_38
; %bb.13:                               ;   in Loop: Header=BB2_3 Depth=1
	s_andn2_b64 vcc, exec, s[26:27]
	s_mov_b64 s[38:39], s[24:25]
	s_mov_b64 s[40:41], s[34:35]
	;; [unrolled: 1-line block ×4, first 2 shown]
	s_cbranch_vccz .LBB2_17
.LBB2_14:                               ;   in Loop: Header=BB2_3 Depth=1
	s_andn2_b64 vcc, exec, s[28:29]
	s_cbranch_vccnz .LBB2_38
; %bb.15:                               ;   in Loop: Header=BB2_3 Depth=1
	s_lshl_b64 s[0:1], s[42:43], 3
	s_add_u32 s38, s64, s0
	s_addc_u32 s39, s65, s1
	s_add_u32 s40, s66, s0
	s_addc_u32 s41, s67, s1
	;; [unrolled: 2-line block ×3, first 2 shown]
	s_branch .LBB2_22
.LBB2_16:                               ;   in Loop: Header=BB2_17 Depth=2
	s_or_b64 exec, exec, s[0:1]
	v_mul_lo_u32 v3, v13, s46
	v_mul_lo_u32 v16, v12, s47
	v_mad_u64_u32 v[14:15], s[0:1], v12, s46, 0
	s_load_dwordx2 s[0:1], s[44:45], 0x0
	s_add_u32 s42, s42, -1
	v_add3_u32 v3, v15, v16, v3
	v_sub_co_u32_e32 v10, vcc, v10, v14
	s_addc_u32 s43, s43, -1
	v_subb_co_u32_e32 v3, vcc, v11, v3, vcc
	s_add_u32 s44, s44, -8
	s_waitcnt lgkmcnt(0)
	v_mul_lo_u32 v3, s0, v3
	v_mul_lo_u32 v11, s1, v10
	v_mad_u64_u32 v[8:9], s[0:1], s0, v10, v[8:9]
	s_addc_u32 s45, s45, -1
	s_add_u32 s40, s40, -8
	s_addc_u32 s41, s41, -1
	s_add_u32 s38, s38, -1
	s_addc_u32 s39, s39, -1
	v_add3_u32 v9, v11, v9, v3
	v_mov_b32_e32 v10, v12
	s_cmp_lg_u64 s[38:39], 0
	v_mov_b32_e32 v11, v13
	s_cbranch_scc0 .LBB2_14
.LBB2_17:                               ;   Parent Loop BB2_3 Depth=1
                                        ; =>  This Inner Loop Header: Depth=2
	s_load_dwordx2 s[46:47], s[40:41], 0x0
                                        ; implicit-def: $vgpr12_vgpr13
	s_waitcnt lgkmcnt(0)
	v_or_b32_e32 v3, s47, v11
	v_cmp_ne_u64_e32 vcc, 0, v[2:3]
	s_and_saveexec_b64 s[0:1], vcc
	s_xor_b64 s[48:49], exec, s[0:1]
	s_cbranch_execz .LBB2_19
; %bb.18:                               ;   in Loop: Header=BB2_17 Depth=2
	s_ashr_i32 s50, s47, 31
	s_add_u32 s0, s46, s50
	s_mov_b32 s51, s50
	s_addc_u32 s1, s47, s50
	s_xor_b64 s[52:53], s[0:1], s[50:51]
	v_cvt_f32_u32_e32 v3, s52
	v_cvt_f32_u32_e32 v12, s53
	s_sub_u32 s51, 0, s52
	s_subb_u32 s54, 0, s53
	v_mac_f32_e32 v3, 0x4f800000, v12
	v_rcp_f32_e32 v3, v3
	v_mul_f32_e32 v3, 0x5f7ffffc, v3
	v_mul_f32_e32 v12, 0x2f800000, v3
	v_trunc_f32_e32 v12, v12
	v_mac_f32_e32 v3, 0xcf800000, v12
	v_cvt_u32_f32_e32 v12, v12
	v_cvt_u32_f32_e32 v3, v3
	v_readfirstlane_b32 s55, v12
	v_readfirstlane_b32 s0, v3
	s_mul_i32 s1, s51, s55
	s_mul_hi_u32 s57, s51, s0
	s_mul_i32 s56, s54, s0
	s_add_i32 s1, s57, s1
	s_add_i32 s1, s1, s56
	s_mul_i32 s58, s51, s0
	s_mul_i32 s57, s0, s1
	s_mul_hi_u32 s59, s0, s58
	s_mul_hi_u32 s56, s0, s1
	s_add_u32 s57, s59, s57
	s_addc_u32 s56, 0, s56
	s_mul_hi_u32 s60, s55, s58
	s_mul_i32 s58, s55, s58
	s_add_u32 s57, s57, s58
	s_mul_hi_u32 s59, s55, s1
	s_addc_u32 s56, s56, s60
	s_addc_u32 s57, s59, 0
	s_mul_i32 s1, s55, s1
	s_add_u32 s1, s56, s1
	s_addc_u32 s56, 0, s57
	s_add_u32 s57, s0, s1
	s_cselect_b64 s[0:1], -1, 0
	s_cmp_lg_u64 s[0:1], 0
	s_addc_u32 s55, s55, s56
	s_mul_i32 s0, s51, s55
	s_mul_hi_u32 s1, s51, s57
	s_add_i32 s0, s1, s0
	s_mul_i32 s54, s54, s57
	s_add_i32 s0, s0, s54
	s_mul_i32 s51, s51, s57
	s_mul_hi_u32 s54, s55, s51
	s_mul_i32 s56, s55, s51
	s_mul_i32 s59, s57, s0
	s_mul_hi_u32 s51, s57, s51
	s_mul_hi_u32 s58, s57, s0
	s_add_u32 s51, s51, s59
	s_addc_u32 s58, 0, s58
	s_add_u32 s51, s51, s56
	s_mul_hi_u32 s1, s55, s0
	s_addc_u32 s51, s58, s54
	s_addc_u32 s1, s1, 0
	s_mul_i32 s0, s55, s0
	s_add_u32 s0, s51, s0
	s_addc_u32 s51, 0, s1
	s_add_u32 s54, s57, s0
	s_cselect_b64 s[0:1], -1, 0
	v_ashrrev_i32_e32 v3, 31, v11
	s_cmp_lg_u64 s[0:1], 0
	v_add_co_u32_e32 v12, vcc, v10, v3
	s_addc_u32 s51, s55, s51
	v_xor_b32_e32 v16, v12, v3
	v_mad_u64_u32 v[12:13], s[0:1], v16, s51, 0
	v_mul_hi_u32 v15, v16, s54
	v_addc_co_u32_e32 v14, vcc, v11, v3, vcc
	v_xor_b32_e32 v17, v14, v3
	v_add_co_u32_e32 v18, vcc, v15, v12
	v_addc_co_u32_e32 v19, vcc, 0, v13, vcc
	v_mad_u64_u32 v[12:13], s[0:1], v17, s54, 0
	v_mad_u64_u32 v[14:15], s[0:1], v17, s51, 0
	v_add_co_u32_e32 v12, vcc, v18, v12
	v_addc_co_u32_e32 v12, vcc, v19, v13, vcc
	v_addc_co_u32_e32 v13, vcc, 0, v15, vcc
	v_add_co_u32_e32 v14, vcc, v12, v14
	v_addc_co_u32_e32 v15, vcc, 0, v13, vcc
	v_mul_lo_u32 v18, s53, v14
	v_mul_lo_u32 v19, s52, v15
	v_mad_u64_u32 v[12:13], s[0:1], s52, v14, 0
	v_xor_b32_e32 v3, s50, v3
	v_add3_u32 v13, v13, v19, v18
	v_sub_u32_e32 v18, v17, v13
	v_mov_b32_e32 v19, s53
	v_sub_co_u32_e32 v12, vcc, v16, v12
	v_subb_co_u32_e64 v16, s[0:1], v18, v19, vcc
	v_subrev_co_u32_e64 v18, s[0:1], s52, v12
	v_subbrev_co_u32_e64 v16, s[0:1], 0, v16, s[0:1]
	v_cmp_le_u32_e64 s[0:1], s53, v16
	v_cndmask_b32_e64 v19, 0, -1, s[0:1]
	v_cmp_le_u32_e64 s[0:1], s52, v18
	v_cndmask_b32_e64 v18, 0, -1, s[0:1]
	v_cmp_eq_u32_e64 s[0:1], s53, v16
	v_cndmask_b32_e64 v16, v19, v18, s[0:1]
	v_add_co_u32_e64 v18, s[0:1], 2, v14
	v_subb_co_u32_e32 v13, vcc, v17, v13, vcc
	v_addc_co_u32_e64 v19, s[0:1], 0, v15, s[0:1]
	v_cmp_le_u32_e32 vcc, s53, v13
	v_add_co_u32_e64 v22, s[0:1], 1, v14
	v_cndmask_b32_e64 v17, 0, -1, vcc
	v_cmp_le_u32_e32 vcc, s52, v12
	v_addc_co_u32_e64 v23, s[0:1], 0, v15, s[0:1]
	v_cndmask_b32_e64 v12, 0, -1, vcc
	v_cmp_eq_u32_e32 vcc, s53, v13
	v_cmp_ne_u32_e64 s[0:1], 0, v16
	v_cndmask_b32_e32 v12, v17, v12, vcc
	v_cndmask_b32_e64 v16, v23, v19, s[0:1]
	v_cmp_ne_u32_e32 vcc, 0, v12
	v_cndmask_b32_e64 v13, v22, v18, s[0:1]
	v_cndmask_b32_e32 v12, v15, v16, vcc
	v_cndmask_b32_e32 v13, v14, v13, vcc
	v_xor_b32_e32 v14, v12, v3
	v_xor_b32_e32 v12, v13, v3
	v_sub_co_u32_e32 v12, vcc, v12, v3
	v_subb_co_u32_e32 v13, vcc, v14, v3, vcc
.LBB2_19:                               ;   in Loop: Header=BB2_17 Depth=2
	s_andn2_saveexec_b64 s[0:1], s[48:49]
	s_cbranch_execz .LBB2_16
; %bb.20:                               ;   in Loop: Header=BB2_17 Depth=2
	v_cvt_f32_u32_e32 v3, s46
	s_sub_i32 s48, 0, s46
	v_rcp_iflag_f32_e32 v3, v3
	v_mul_f32_e32 v3, 0x4f7ffffe, v3
	v_cvt_u32_f32_e32 v3, v3
	v_mul_lo_u32 v12, s48, v3
	v_mul_hi_u32 v12, v3, v12
	v_add_u32_e32 v3, v3, v12
	v_mul_hi_u32 v3, v10, v3
	v_mul_lo_u32 v12, v3, s46
	v_add_u32_e32 v13, 1, v3
	v_sub_u32_e32 v12, v10, v12
	v_subrev_u32_e32 v14, s46, v12
	v_cmp_le_u32_e32 vcc, s46, v12
	v_cndmask_b32_e32 v12, v12, v14, vcc
	v_cndmask_b32_e32 v3, v3, v13, vcc
	v_add_u32_e32 v13, 1, v3
	v_cmp_le_u32_e32 vcc, s46, v12
	v_cndmask_b32_e32 v12, v3, v13, vcc
	v_mov_b32_e32 v13, v2
	s_branch .LBB2_16
.LBB2_21:                               ;   in Loop: Header=BB2_22 Depth=2
	s_or_b64 exec, exec, s[0:1]
	v_mul_lo_u32 v3, v13, s44
	v_mul_lo_u32 v24, v12, s45
	v_mad_u64_u32 v[22:23], s[0:1], v12, s44, 0
	v_add3_u32 v3, v23, v24, v3
	v_sub_co_u32_e32 v10, vcc, v10, v22
	v_subb_co_u32_e32 v3, vcc, v11, v3, vcc
	v_mul_lo_u32 v3, s48, v3
	v_mul_lo_u32 v22, s49, v10
	v_mad_u64_u32 v[8:9], s[0:1], s48, v10, v[8:9]
	v_mul_lo_u32 v23, v15, s46
	v_mul_lo_u32 v24, v14, s47
	v_mad_u64_u32 v[10:11], s[0:1], v14, s46, 0
	v_add3_u32 v9, v22, v9, v3
	v_mul_lo_u32 v22, v16, s51
	v_add3_u32 v3, v11, v24, v23
	v_sub_co_u32_e32 v10, vcc, v12, v10
	v_subb_co_u32_e32 v3, vcc, v13, v3, vcc
	v_mad_u64_u32 v[8:9], s[0:1], s52, v10, v[8:9]
	v_mul_lo_u32 v3, s52, v3
	v_mul_lo_u32 v12, s53, v10
	;; [unrolled: 1-line block ×3, first 2 shown]
	v_mad_u64_u32 v[10:11], s[0:1], v16, s50, 0
	v_add3_u32 v9, v12, v9, v3
	v_add3_u32 v3, v11, v22, v13
	v_sub_co_u32_e32 v10, vcc, v14, v10
	v_subb_co_u32_e32 v3, vcc, v15, v3, vcc
	v_mad_u64_u32 v[8:9], s[0:1], s56, v10, v[8:9]
	v_mul_lo_u32 v3, s56, v3
	v_mul_lo_u32 v12, s57, v10
	;; [unrolled: 1-line block ×4, first 2 shown]
	v_mad_u64_u32 v[10:11], s[0:1], v18, s54, 0
	s_load_dwordx2 s[0:1], s[38:39], 0x0
	v_add3_u32 v9, v12, v9, v3
	v_add3_u32 v3, v11, v14, v13
	v_sub_co_u32_e32 v10, vcc, v16, v10
	v_subb_co_u32_e32 v3, vcc, v17, v3, vcc
	s_add_u32 s38, s38, 0xffffffe0
	s_waitcnt lgkmcnt(0)
	v_mad_u64_u32 v[8:9], s[44:45], s0, v10, v[8:9]
	v_mul_lo_u32 v3, s0, v3
	v_mul_lo_u32 v10, s1, v10
	s_addc_u32 s39, s39, -1
	s_add_u32 s40, s40, 0xffffffe0
	s_addc_u32 s41, s41, -1
	s_add_u32 s42, s42, -4
	v_add3_u32 v9, v10, v9, v3
	s_addc_u32 s43, s43, -1
	v_mov_b32_e32 v10, v18
	s_cmp_eq_u64 s[42:43], 0
	v_mov_b32_e32 v11, v19
	s_cbranch_scc1 .LBB2_38
.LBB2_22:                               ;   Parent Loop BB2_3 Depth=1
                                        ; =>  This Inner Loop Header: Depth=2
	s_load_dwordx2 s[44:45], s[40:41], 0x18
                                        ; implicit-def: $vgpr12_vgpr13
	s_waitcnt lgkmcnt(0)
	v_or_b32_e32 v3, s45, v11
	v_cmp_ne_u64_e32 vcc, 0, v[2:3]
	s_and_saveexec_b64 s[0:1], vcc
	s_xor_b64 s[46:47], exec, s[0:1]
	s_cbranch_execz .LBB2_24
; %bb.23:                               ;   in Loop: Header=BB2_22 Depth=2
	s_ashr_i32 s48, s45, 31
	s_add_u32 s0, s44, s48
	s_mov_b32 s49, s48
	s_addc_u32 s1, s45, s48
	s_xor_b64 s[50:51], s[0:1], s[48:49]
	v_cvt_f32_u32_e32 v3, s50
	v_cvt_f32_u32_e32 v12, s51
	s_sub_u32 s49, 0, s50
	s_subb_u32 s52, 0, s51
	v_mac_f32_e32 v3, 0x4f800000, v12
	v_rcp_f32_e32 v3, v3
	v_mul_f32_e32 v3, 0x5f7ffffc, v3
	v_mul_f32_e32 v12, 0x2f800000, v3
	v_trunc_f32_e32 v12, v12
	v_mac_f32_e32 v3, 0xcf800000, v12
	v_cvt_u32_f32_e32 v12, v12
	v_cvt_u32_f32_e32 v3, v3
	v_readfirstlane_b32 s53, v12
	v_readfirstlane_b32 s0, v3
	s_mul_i32 s1, s49, s53
	s_mul_hi_u32 s55, s49, s0
	s_mul_i32 s54, s52, s0
	s_add_i32 s1, s55, s1
	s_add_i32 s1, s1, s54
	s_mul_i32 s56, s49, s0
	s_mul_i32 s55, s0, s1
	s_mul_hi_u32 s57, s0, s56
	s_mul_hi_u32 s54, s0, s1
	s_add_u32 s55, s57, s55
	s_addc_u32 s54, 0, s54
	s_mul_hi_u32 s58, s53, s56
	s_mul_i32 s56, s53, s56
	s_add_u32 s55, s55, s56
	s_mul_hi_u32 s57, s53, s1
	s_addc_u32 s54, s54, s58
	s_addc_u32 s55, s57, 0
	s_mul_i32 s1, s53, s1
	s_add_u32 s1, s54, s1
	s_addc_u32 s54, 0, s55
	s_add_u32 s55, s0, s1
	s_cselect_b64 s[0:1], -1, 0
	s_cmp_lg_u64 s[0:1], 0
	s_addc_u32 s53, s53, s54
	s_mul_i32 s0, s49, s53
	s_mul_hi_u32 s1, s49, s55
	s_add_i32 s0, s1, s0
	s_mul_i32 s52, s52, s55
	s_add_i32 s0, s0, s52
	s_mul_i32 s49, s49, s55
	s_mul_hi_u32 s52, s53, s49
	s_mul_i32 s54, s53, s49
	s_mul_i32 s57, s55, s0
	s_mul_hi_u32 s49, s55, s49
	s_mul_hi_u32 s56, s55, s0
	s_add_u32 s49, s49, s57
	s_addc_u32 s56, 0, s56
	s_add_u32 s49, s49, s54
	s_mul_hi_u32 s1, s53, s0
	s_addc_u32 s49, s56, s52
	s_addc_u32 s1, s1, 0
	s_mul_i32 s0, s53, s0
	s_add_u32 s0, s49, s0
	s_addc_u32 s49, 0, s1
	s_add_u32 s52, s55, s0
	s_cselect_b64 s[0:1], -1, 0
	v_ashrrev_i32_e32 v3, 31, v11
	s_cmp_lg_u64 s[0:1], 0
	v_add_co_u32_e32 v12, vcc, v10, v3
	s_addc_u32 s49, s53, s49
	v_xor_b32_e32 v16, v12, v3
	v_mad_u64_u32 v[12:13], s[0:1], v16, s49, 0
	v_mul_hi_u32 v15, v16, s52
	v_addc_co_u32_e32 v14, vcc, v11, v3, vcc
	v_xor_b32_e32 v17, v14, v3
	v_add_co_u32_e32 v18, vcc, v15, v12
	v_addc_co_u32_e32 v19, vcc, 0, v13, vcc
	v_mad_u64_u32 v[12:13], s[0:1], v17, s52, 0
	v_mad_u64_u32 v[14:15], s[0:1], v17, s49, 0
	v_add_co_u32_e32 v12, vcc, v18, v12
	v_addc_co_u32_e32 v12, vcc, v19, v13, vcc
	v_addc_co_u32_e32 v13, vcc, 0, v15, vcc
	v_add_co_u32_e32 v14, vcc, v12, v14
	v_addc_co_u32_e32 v15, vcc, 0, v13, vcc
	v_mul_lo_u32 v18, s51, v14
	v_mul_lo_u32 v19, s50, v15
	v_mad_u64_u32 v[12:13], s[0:1], s50, v14, 0
	v_xor_b32_e32 v3, s48, v3
	v_add3_u32 v13, v13, v19, v18
	v_sub_u32_e32 v18, v17, v13
	v_mov_b32_e32 v19, s51
	v_sub_co_u32_e32 v12, vcc, v16, v12
	v_subb_co_u32_e64 v16, s[0:1], v18, v19, vcc
	v_subrev_co_u32_e64 v18, s[0:1], s50, v12
	v_subbrev_co_u32_e64 v16, s[0:1], 0, v16, s[0:1]
	v_cmp_le_u32_e64 s[0:1], s51, v16
	v_cndmask_b32_e64 v19, 0, -1, s[0:1]
	v_cmp_le_u32_e64 s[0:1], s50, v18
	v_cndmask_b32_e64 v18, 0, -1, s[0:1]
	v_cmp_eq_u32_e64 s[0:1], s51, v16
	v_cndmask_b32_e64 v16, v19, v18, s[0:1]
	v_add_co_u32_e64 v18, s[0:1], 2, v14
	v_subb_co_u32_e32 v13, vcc, v17, v13, vcc
	v_addc_co_u32_e64 v19, s[0:1], 0, v15, s[0:1]
	v_cmp_le_u32_e32 vcc, s51, v13
	v_add_co_u32_e64 v22, s[0:1], 1, v14
	v_cndmask_b32_e64 v17, 0, -1, vcc
	v_cmp_le_u32_e32 vcc, s50, v12
	v_addc_co_u32_e64 v23, s[0:1], 0, v15, s[0:1]
	v_cndmask_b32_e64 v12, 0, -1, vcc
	v_cmp_eq_u32_e32 vcc, s51, v13
	v_cmp_ne_u32_e64 s[0:1], 0, v16
	v_cndmask_b32_e32 v12, v17, v12, vcc
	v_cndmask_b32_e64 v16, v23, v19, s[0:1]
	v_cmp_ne_u32_e32 vcc, 0, v12
	v_cndmask_b32_e64 v13, v22, v18, s[0:1]
	v_cndmask_b32_e32 v12, v15, v16, vcc
	v_cndmask_b32_e32 v13, v14, v13, vcc
	v_xor_b32_e32 v14, v12, v3
	v_xor_b32_e32 v12, v13, v3
	v_sub_co_u32_e32 v12, vcc, v12, v3
	v_subb_co_u32_e32 v13, vcc, v14, v3, vcc
.LBB2_24:                               ;   in Loop: Header=BB2_22 Depth=2
	s_andn2_saveexec_b64 s[0:1], s[46:47]
	s_cbranch_execz .LBB2_26
; %bb.25:                               ;   in Loop: Header=BB2_22 Depth=2
	v_cvt_f32_u32_e32 v3, s44
	s_sub_i32 s46, 0, s44
	v_rcp_iflag_f32_e32 v3, v3
	v_mul_f32_e32 v3, 0x4f7ffffe, v3
	v_cvt_u32_f32_e32 v3, v3
	v_mul_lo_u32 v12, s46, v3
	v_mul_hi_u32 v12, v3, v12
	v_add_u32_e32 v3, v3, v12
	v_mul_hi_u32 v3, v10, v3
	v_mul_lo_u32 v12, v3, s44
	v_add_u32_e32 v13, 1, v3
	v_sub_u32_e32 v12, v10, v12
	v_subrev_u32_e32 v14, s44, v12
	v_cmp_le_u32_e32 vcc, s44, v12
	v_cndmask_b32_e32 v12, v12, v14, vcc
	v_cndmask_b32_e32 v3, v3, v13, vcc
	v_add_u32_e32 v13, 1, v3
	v_cmp_le_u32_e32 vcc, s44, v12
	v_cndmask_b32_e32 v12, v3, v13, vcc
	v_mov_b32_e32 v13, v2
.LBB2_26:                               ;   in Loop: Header=BB2_22 Depth=2
	s_or_b64 exec, exec, s[0:1]
	s_load_dwordx2 s[46:47], s[40:41], 0x10
	s_load_dwordx2 s[48:49], s[38:39], 0x18
                                        ; implicit-def: $vgpr14_vgpr15
	s_waitcnt lgkmcnt(0)
	v_or_b32_e32 v3, s47, v13
	v_cmp_ne_u64_e32 vcc, 0, v[2:3]
	s_and_saveexec_b64 s[0:1], vcc
	s_xor_b64 s[50:51], exec, s[0:1]
	s_cbranch_execz .LBB2_28
; %bb.27:                               ;   in Loop: Header=BB2_22 Depth=2
	s_ashr_i32 s52, s47, 31
	s_add_u32 s0, s46, s52
	s_mov_b32 s53, s52
	s_addc_u32 s1, s47, s52
	s_xor_b64 s[54:55], s[0:1], s[52:53]
	v_cvt_f32_u32_e32 v3, s54
	v_cvt_f32_u32_e32 v14, s55
	s_sub_u32 s53, 0, s54
	s_subb_u32 s56, 0, s55
	v_mac_f32_e32 v3, 0x4f800000, v14
	v_rcp_f32_e32 v3, v3
	v_mul_f32_e32 v3, 0x5f7ffffc, v3
	v_mul_f32_e32 v14, 0x2f800000, v3
	v_trunc_f32_e32 v14, v14
	v_mac_f32_e32 v3, 0xcf800000, v14
	v_cvt_u32_f32_e32 v14, v14
	v_cvt_u32_f32_e32 v3, v3
	v_readfirstlane_b32 s57, v14
	v_readfirstlane_b32 s0, v3
	s_mul_i32 s1, s53, s57
	s_mul_hi_u32 s59, s53, s0
	s_mul_i32 s58, s56, s0
	s_add_i32 s1, s59, s1
	s_add_i32 s1, s1, s58
	s_mul_i32 s60, s53, s0
	s_mul_i32 s59, s0, s1
	s_mul_hi_u32 s61, s0, s60
	s_mul_hi_u32 s58, s0, s1
	s_add_u32 s59, s61, s59
	s_addc_u32 s58, 0, s58
	s_mul_hi_u32 s62, s57, s60
	s_mul_i32 s60, s57, s60
	s_add_u32 s59, s59, s60
	s_mul_hi_u32 s61, s57, s1
	s_addc_u32 s58, s58, s62
	s_addc_u32 s59, s61, 0
	s_mul_i32 s1, s57, s1
	s_add_u32 s1, s58, s1
	s_addc_u32 s58, 0, s59
	s_add_u32 s59, s0, s1
	s_cselect_b64 s[0:1], -1, 0
	s_cmp_lg_u64 s[0:1], 0
	s_addc_u32 s57, s57, s58
	s_mul_i32 s0, s53, s57
	s_mul_hi_u32 s1, s53, s59
	s_add_i32 s0, s1, s0
	s_mul_i32 s56, s56, s59
	s_add_i32 s0, s0, s56
	s_mul_i32 s53, s53, s59
	s_mul_hi_u32 s56, s57, s53
	s_mul_i32 s58, s57, s53
	s_mul_i32 s61, s59, s0
	s_mul_hi_u32 s53, s59, s53
	s_mul_hi_u32 s60, s59, s0
	s_add_u32 s53, s53, s61
	s_addc_u32 s60, 0, s60
	s_add_u32 s53, s53, s58
	s_mul_hi_u32 s1, s57, s0
	s_addc_u32 s53, s60, s56
	s_addc_u32 s1, s1, 0
	s_mul_i32 s0, s57, s0
	s_add_u32 s0, s53, s0
	s_addc_u32 s53, 0, s1
	s_add_u32 s56, s59, s0
	s_cselect_b64 s[0:1], -1, 0
	v_ashrrev_i32_e32 v3, 31, v13
	s_cmp_lg_u64 s[0:1], 0
	v_add_co_u32_e32 v14, vcc, v12, v3
	s_addc_u32 s53, s57, s53
	v_xor_b32_e32 v18, v14, v3
	v_mad_u64_u32 v[14:15], s[0:1], v18, s53, 0
	v_mul_hi_u32 v17, v18, s56
	v_addc_co_u32_e32 v16, vcc, v13, v3, vcc
	v_xor_b32_e32 v19, v16, v3
	v_add_co_u32_e32 v22, vcc, v17, v14
	v_addc_co_u32_e32 v23, vcc, 0, v15, vcc
	v_mad_u64_u32 v[14:15], s[0:1], v19, s56, 0
	v_mad_u64_u32 v[16:17], s[0:1], v19, s53, 0
	v_add_co_u32_e32 v14, vcc, v22, v14
	v_addc_co_u32_e32 v14, vcc, v23, v15, vcc
	v_addc_co_u32_e32 v15, vcc, 0, v17, vcc
	v_add_co_u32_e32 v16, vcc, v14, v16
	v_addc_co_u32_e32 v17, vcc, 0, v15, vcc
	v_mul_lo_u32 v22, s55, v16
	v_mul_lo_u32 v23, s54, v17
	v_mad_u64_u32 v[14:15], s[0:1], s54, v16, 0
	v_xor_b32_e32 v3, s52, v3
	v_add3_u32 v15, v15, v23, v22
	v_sub_u32_e32 v22, v19, v15
	v_mov_b32_e32 v23, s55
	v_sub_co_u32_e32 v14, vcc, v18, v14
	v_subb_co_u32_e64 v18, s[0:1], v22, v23, vcc
	v_subrev_co_u32_e64 v22, s[0:1], s54, v14
	v_subbrev_co_u32_e64 v18, s[0:1], 0, v18, s[0:1]
	v_cmp_le_u32_e64 s[0:1], s55, v18
	v_cndmask_b32_e64 v23, 0, -1, s[0:1]
	v_cmp_le_u32_e64 s[0:1], s54, v22
	v_cndmask_b32_e64 v22, 0, -1, s[0:1]
	v_cmp_eq_u32_e64 s[0:1], s55, v18
	v_cndmask_b32_e64 v18, v23, v22, s[0:1]
	v_add_co_u32_e64 v22, s[0:1], 2, v16
	v_subb_co_u32_e32 v15, vcc, v19, v15, vcc
	v_addc_co_u32_e64 v23, s[0:1], 0, v17, s[0:1]
	v_cmp_le_u32_e32 vcc, s55, v15
	v_add_co_u32_e64 v24, s[0:1], 1, v16
	v_cndmask_b32_e64 v19, 0, -1, vcc
	v_cmp_le_u32_e32 vcc, s54, v14
	v_addc_co_u32_e64 v25, s[0:1], 0, v17, s[0:1]
	v_cndmask_b32_e64 v14, 0, -1, vcc
	v_cmp_eq_u32_e32 vcc, s55, v15
	v_cmp_ne_u32_e64 s[0:1], 0, v18
	v_cndmask_b32_e32 v14, v19, v14, vcc
	v_cndmask_b32_e64 v18, v25, v23, s[0:1]
	v_cmp_ne_u32_e32 vcc, 0, v14
	v_cndmask_b32_e64 v15, v24, v22, s[0:1]
	v_cndmask_b32_e32 v14, v17, v18, vcc
	v_cndmask_b32_e32 v15, v16, v15, vcc
	v_xor_b32_e32 v16, v14, v3
	v_xor_b32_e32 v14, v15, v3
	v_sub_co_u32_e32 v14, vcc, v14, v3
	v_subb_co_u32_e32 v15, vcc, v16, v3, vcc
.LBB2_28:                               ;   in Loop: Header=BB2_22 Depth=2
	s_andn2_saveexec_b64 s[0:1], s[50:51]
	s_cbranch_execz .LBB2_30
; %bb.29:                               ;   in Loop: Header=BB2_22 Depth=2
	v_cvt_f32_u32_e32 v3, s46
	s_sub_i32 s50, 0, s46
	v_rcp_iflag_f32_e32 v3, v3
	v_mul_f32_e32 v3, 0x4f7ffffe, v3
	v_cvt_u32_f32_e32 v3, v3
	v_mul_lo_u32 v14, s50, v3
	v_mul_hi_u32 v14, v3, v14
	v_add_u32_e32 v3, v3, v14
	v_mul_hi_u32 v3, v12, v3
	v_mul_lo_u32 v14, v3, s46
	v_add_u32_e32 v15, 1, v3
	v_sub_u32_e32 v14, v12, v14
	v_subrev_u32_e32 v16, s46, v14
	v_cmp_le_u32_e32 vcc, s46, v14
	v_cndmask_b32_e32 v14, v14, v16, vcc
	v_cndmask_b32_e32 v3, v3, v15, vcc
	v_add_u32_e32 v15, 1, v3
	v_cmp_le_u32_e32 vcc, s46, v14
	v_cndmask_b32_e32 v14, v3, v15, vcc
	v_mov_b32_e32 v15, v2
.LBB2_30:                               ;   in Loop: Header=BB2_22 Depth=2
	s_or_b64 exec, exec, s[0:1]
	s_load_dwordx2 s[50:51], s[40:41], 0x8
	s_load_dwordx2 s[52:53], s[38:39], 0x10
                                        ; implicit-def: $vgpr16_vgpr17
	s_waitcnt lgkmcnt(0)
	v_or_b32_e32 v3, s51, v15
	v_cmp_ne_u64_e32 vcc, 0, v[2:3]
	s_and_saveexec_b64 s[0:1], vcc
	s_xor_b64 s[54:55], exec, s[0:1]
	s_cbranch_execz .LBB2_32
; %bb.31:                               ;   in Loop: Header=BB2_22 Depth=2
	s_ashr_i32 s56, s51, 31
	s_add_u32 s0, s50, s56
	s_mov_b32 s57, s56
	s_addc_u32 s1, s51, s56
	s_xor_b64 s[58:59], s[0:1], s[56:57]
	v_cvt_f32_u32_e32 v3, s58
	v_cvt_f32_u32_e32 v16, s59
	s_sub_u32 s57, 0, s58
	s_subb_u32 s60, 0, s59
	v_mac_f32_e32 v3, 0x4f800000, v16
	v_rcp_f32_e32 v3, v3
	v_mul_f32_e32 v3, 0x5f7ffffc, v3
	v_mul_f32_e32 v16, 0x2f800000, v3
	v_trunc_f32_e32 v16, v16
	v_mac_f32_e32 v3, 0xcf800000, v16
	v_cvt_u32_f32_e32 v16, v16
	v_cvt_u32_f32_e32 v3, v3
	v_readfirstlane_b32 s61, v16
	v_readfirstlane_b32 s0, v3
	s_mul_i32 s1, s57, s61
	s_mul_hi_u32 s63, s57, s0
	s_mul_i32 s62, s60, s0
	s_add_i32 s1, s63, s1
	s_add_i32 s1, s1, s62
	s_mul_i32 s68, s57, s0
	s_mul_i32 s63, s0, s1
	s_mul_hi_u32 s69, s0, s68
	s_mul_hi_u32 s62, s0, s1
	s_add_u32 s63, s69, s63
	s_addc_u32 s62, 0, s62
	s_mul_hi_u32 s70, s61, s68
	s_mul_i32 s68, s61, s68
	s_add_u32 s63, s63, s68
	s_mul_hi_u32 s69, s61, s1
	s_addc_u32 s62, s62, s70
	s_addc_u32 s63, s69, 0
	s_mul_i32 s1, s61, s1
	s_add_u32 s1, s62, s1
	s_addc_u32 s62, 0, s63
	s_add_u32 s63, s0, s1
	s_cselect_b64 s[0:1], -1, 0
	s_cmp_lg_u64 s[0:1], 0
	s_addc_u32 s61, s61, s62
	s_mul_i32 s0, s57, s61
	s_mul_hi_u32 s1, s57, s63
	s_add_i32 s0, s1, s0
	s_mul_i32 s60, s60, s63
	s_add_i32 s0, s0, s60
	s_mul_i32 s57, s57, s63
	s_mul_hi_u32 s60, s61, s57
	s_mul_i32 s62, s61, s57
	s_mul_i32 s69, s63, s0
	s_mul_hi_u32 s57, s63, s57
	s_mul_hi_u32 s68, s63, s0
	s_add_u32 s57, s57, s69
	s_addc_u32 s68, 0, s68
	s_add_u32 s57, s57, s62
	s_mul_hi_u32 s1, s61, s0
	s_addc_u32 s57, s68, s60
	s_addc_u32 s1, s1, 0
	s_mul_i32 s0, s61, s0
	s_add_u32 s0, s57, s0
	s_addc_u32 s57, 0, s1
	s_add_u32 s60, s63, s0
	s_cselect_b64 s[0:1], -1, 0
	v_ashrrev_i32_e32 v3, 31, v15
	s_cmp_lg_u64 s[0:1], 0
	v_add_co_u32_e32 v16, vcc, v14, v3
	s_addc_u32 s57, s61, s57
	v_xor_b32_e32 v22, v16, v3
	v_mad_u64_u32 v[16:17], s[0:1], v22, s57, 0
	v_mul_hi_u32 v19, v22, s60
	v_addc_co_u32_e32 v18, vcc, v15, v3, vcc
	v_xor_b32_e32 v23, v18, v3
	v_add_co_u32_e32 v24, vcc, v19, v16
	v_addc_co_u32_e32 v25, vcc, 0, v17, vcc
	v_mad_u64_u32 v[16:17], s[0:1], v23, s60, 0
	v_mad_u64_u32 v[18:19], s[0:1], v23, s57, 0
	v_add_co_u32_e32 v16, vcc, v24, v16
	v_addc_co_u32_e32 v16, vcc, v25, v17, vcc
	v_addc_co_u32_e32 v17, vcc, 0, v19, vcc
	v_add_co_u32_e32 v18, vcc, v16, v18
	v_addc_co_u32_e32 v19, vcc, 0, v17, vcc
	v_mul_lo_u32 v24, s59, v18
	v_mul_lo_u32 v25, s58, v19
	v_mad_u64_u32 v[16:17], s[0:1], s58, v18, 0
	v_xor_b32_e32 v3, s56, v3
	v_add3_u32 v17, v17, v25, v24
	v_sub_u32_e32 v24, v23, v17
	v_mov_b32_e32 v25, s59
	v_sub_co_u32_e32 v16, vcc, v22, v16
	v_subb_co_u32_e64 v22, s[0:1], v24, v25, vcc
	v_subrev_co_u32_e64 v24, s[0:1], s58, v16
	v_subbrev_co_u32_e64 v22, s[0:1], 0, v22, s[0:1]
	v_cmp_le_u32_e64 s[0:1], s59, v22
	v_cndmask_b32_e64 v25, 0, -1, s[0:1]
	v_cmp_le_u32_e64 s[0:1], s58, v24
	v_cndmask_b32_e64 v24, 0, -1, s[0:1]
	v_cmp_eq_u32_e64 s[0:1], s59, v22
	v_cndmask_b32_e64 v22, v25, v24, s[0:1]
	v_add_co_u32_e64 v24, s[0:1], 2, v18
	v_subb_co_u32_e32 v17, vcc, v23, v17, vcc
	v_addc_co_u32_e64 v25, s[0:1], 0, v19, s[0:1]
	v_cmp_le_u32_e32 vcc, s59, v17
	v_add_co_u32_e64 v26, s[0:1], 1, v18
	v_cndmask_b32_e64 v23, 0, -1, vcc
	v_cmp_le_u32_e32 vcc, s58, v16
	v_addc_co_u32_e64 v27, s[0:1], 0, v19, s[0:1]
	v_cndmask_b32_e64 v16, 0, -1, vcc
	v_cmp_eq_u32_e32 vcc, s59, v17
	v_cmp_ne_u32_e64 s[0:1], 0, v22
	v_cndmask_b32_e32 v16, v23, v16, vcc
	v_cndmask_b32_e64 v22, v27, v25, s[0:1]
	v_cmp_ne_u32_e32 vcc, 0, v16
	v_cndmask_b32_e64 v17, v26, v24, s[0:1]
	v_cndmask_b32_e32 v16, v19, v22, vcc
	v_cndmask_b32_e32 v17, v18, v17, vcc
	v_xor_b32_e32 v18, v16, v3
	v_xor_b32_e32 v16, v17, v3
	v_sub_co_u32_e32 v16, vcc, v16, v3
	v_subb_co_u32_e32 v17, vcc, v18, v3, vcc
.LBB2_32:                               ;   in Loop: Header=BB2_22 Depth=2
	s_andn2_saveexec_b64 s[0:1], s[54:55]
	s_cbranch_execz .LBB2_34
; %bb.33:                               ;   in Loop: Header=BB2_22 Depth=2
	v_cvt_f32_u32_e32 v3, s50
	s_sub_i32 s54, 0, s50
	v_rcp_iflag_f32_e32 v3, v3
	v_mul_f32_e32 v3, 0x4f7ffffe, v3
	v_cvt_u32_f32_e32 v3, v3
	v_mul_lo_u32 v16, s54, v3
	v_mul_hi_u32 v16, v3, v16
	v_add_u32_e32 v3, v3, v16
	v_mul_hi_u32 v3, v14, v3
	v_mul_lo_u32 v16, v3, s50
	v_add_u32_e32 v17, 1, v3
	v_sub_u32_e32 v16, v14, v16
	v_subrev_u32_e32 v18, s50, v16
	v_cmp_le_u32_e32 vcc, s50, v16
	v_cndmask_b32_e32 v16, v16, v18, vcc
	v_cndmask_b32_e32 v3, v3, v17, vcc
	v_add_u32_e32 v17, 1, v3
	v_cmp_le_u32_e32 vcc, s50, v16
	v_cndmask_b32_e32 v16, v3, v17, vcc
	v_mov_b32_e32 v17, v2
.LBB2_34:                               ;   in Loop: Header=BB2_22 Depth=2
	s_or_b64 exec, exec, s[0:1]
	s_load_dwordx2 s[54:55], s[40:41], 0x0
	s_load_dwordx2 s[56:57], s[38:39], 0x8
                                        ; implicit-def: $vgpr18_vgpr19
	s_waitcnt lgkmcnt(0)
	v_or_b32_e32 v3, s55, v17
	v_cmp_ne_u64_e32 vcc, 0, v[2:3]
	s_and_saveexec_b64 s[0:1], vcc
	s_xor_b64 s[58:59], exec, s[0:1]
	s_cbranch_execz .LBB2_36
; %bb.35:                               ;   in Loop: Header=BB2_22 Depth=2
	s_ashr_i32 s60, s55, 31
	s_add_u32 s0, s54, s60
	s_mov_b32 s61, s60
	s_addc_u32 s1, s55, s60
	s_xor_b64 s[62:63], s[0:1], s[60:61]
	v_cvt_f32_u32_e32 v3, s62
	v_cvt_f32_u32_e32 v18, s63
	s_sub_u32 s61, 0, s62
	s_subb_u32 s68, 0, s63
	v_mac_f32_e32 v3, 0x4f800000, v18
	v_rcp_f32_e32 v3, v3
	v_mul_f32_e32 v3, 0x5f7ffffc, v3
	v_mul_f32_e32 v18, 0x2f800000, v3
	v_trunc_f32_e32 v18, v18
	v_mac_f32_e32 v3, 0xcf800000, v18
	v_cvt_u32_f32_e32 v18, v18
	v_cvt_u32_f32_e32 v3, v3
	v_readfirstlane_b32 s69, v18
	v_readfirstlane_b32 s0, v3
	s_mul_i32 s1, s61, s69
	s_mul_hi_u32 s71, s61, s0
	s_mul_i32 s70, s68, s0
	s_add_i32 s1, s71, s1
	s_add_i32 s1, s1, s70
	s_mul_i32 s72, s61, s0
	s_mul_i32 s71, s0, s1
	s_mul_hi_u32 s73, s0, s72
	s_mul_hi_u32 s70, s0, s1
	s_add_u32 s71, s73, s71
	s_addc_u32 s70, 0, s70
	s_mul_hi_u32 s74, s69, s72
	s_mul_i32 s72, s69, s72
	s_add_u32 s71, s71, s72
	s_mul_hi_u32 s73, s69, s1
	s_addc_u32 s70, s70, s74
	s_addc_u32 s71, s73, 0
	s_mul_i32 s1, s69, s1
	s_add_u32 s1, s70, s1
	s_addc_u32 s70, 0, s71
	s_add_u32 s71, s0, s1
	s_cselect_b64 s[0:1], -1, 0
	s_cmp_lg_u64 s[0:1], 0
	s_addc_u32 s69, s69, s70
	s_mul_i32 s0, s61, s69
	s_mul_hi_u32 s1, s61, s71
	s_add_i32 s0, s1, s0
	s_mul_i32 s68, s68, s71
	s_add_i32 s0, s0, s68
	s_mul_i32 s61, s61, s71
	s_mul_hi_u32 s68, s69, s61
	s_mul_i32 s70, s69, s61
	s_mul_i32 s73, s71, s0
	s_mul_hi_u32 s61, s71, s61
	s_mul_hi_u32 s72, s71, s0
	s_add_u32 s61, s61, s73
	s_addc_u32 s72, 0, s72
	s_add_u32 s61, s61, s70
	s_mul_hi_u32 s1, s69, s0
	s_addc_u32 s61, s72, s68
	s_addc_u32 s1, s1, 0
	s_mul_i32 s0, s69, s0
	s_add_u32 s0, s61, s0
	s_addc_u32 s61, 0, s1
	s_add_u32 s68, s71, s0
	s_cselect_b64 s[0:1], -1, 0
	v_ashrrev_i32_e32 v3, 31, v17
	s_cmp_lg_u64 s[0:1], 0
	v_add_co_u32_e32 v18, vcc, v16, v3
	s_addc_u32 s61, s69, s61
	v_xor_b32_e32 v24, v18, v3
	v_mad_u64_u32 v[18:19], s[0:1], v24, s61, 0
	v_mul_hi_u32 v23, v24, s68
	v_addc_co_u32_e32 v22, vcc, v17, v3, vcc
	v_xor_b32_e32 v25, v22, v3
	v_add_co_u32_e32 v26, vcc, v23, v18
	v_addc_co_u32_e32 v27, vcc, 0, v19, vcc
	v_mad_u64_u32 v[18:19], s[0:1], v25, s68, 0
	v_mad_u64_u32 v[22:23], s[0:1], v25, s61, 0
	v_add_co_u32_e32 v18, vcc, v26, v18
	v_addc_co_u32_e32 v18, vcc, v27, v19, vcc
	v_addc_co_u32_e32 v19, vcc, 0, v23, vcc
	v_add_co_u32_e32 v22, vcc, v18, v22
	v_addc_co_u32_e32 v23, vcc, 0, v19, vcc
	v_mul_lo_u32 v26, s63, v22
	v_mul_lo_u32 v27, s62, v23
	v_mad_u64_u32 v[18:19], s[0:1], s62, v22, 0
	v_xor_b32_e32 v3, s60, v3
	v_add3_u32 v19, v19, v27, v26
	v_sub_u32_e32 v26, v25, v19
	v_mov_b32_e32 v27, s63
	v_sub_co_u32_e32 v18, vcc, v24, v18
	v_subb_co_u32_e64 v24, s[0:1], v26, v27, vcc
	v_subrev_co_u32_e64 v26, s[0:1], s62, v18
	v_subbrev_co_u32_e64 v24, s[0:1], 0, v24, s[0:1]
	v_cmp_le_u32_e64 s[0:1], s63, v24
	v_cndmask_b32_e64 v27, 0, -1, s[0:1]
	v_cmp_le_u32_e64 s[0:1], s62, v26
	v_cndmask_b32_e64 v26, 0, -1, s[0:1]
	v_cmp_eq_u32_e64 s[0:1], s63, v24
	v_cndmask_b32_e64 v24, v27, v26, s[0:1]
	v_add_co_u32_e64 v26, s[0:1], 2, v22
	v_subb_co_u32_e32 v19, vcc, v25, v19, vcc
	v_addc_co_u32_e64 v27, s[0:1], 0, v23, s[0:1]
	v_cmp_le_u32_e32 vcc, s63, v19
	v_add_co_u32_e64 v28, s[0:1], 1, v22
	v_cndmask_b32_e64 v25, 0, -1, vcc
	v_cmp_le_u32_e32 vcc, s62, v18
	v_addc_co_u32_e64 v29, s[0:1], 0, v23, s[0:1]
	v_cndmask_b32_e64 v18, 0, -1, vcc
	v_cmp_eq_u32_e32 vcc, s63, v19
	v_cmp_ne_u32_e64 s[0:1], 0, v24
	v_cndmask_b32_e32 v18, v25, v18, vcc
	v_cndmask_b32_e64 v24, v29, v27, s[0:1]
	v_cmp_ne_u32_e32 vcc, 0, v18
	v_cndmask_b32_e64 v19, v28, v26, s[0:1]
	v_cndmask_b32_e32 v18, v23, v24, vcc
	v_cndmask_b32_e32 v19, v22, v19, vcc
	v_xor_b32_e32 v22, v18, v3
	v_xor_b32_e32 v18, v19, v3
	v_sub_co_u32_e32 v18, vcc, v18, v3
	v_subb_co_u32_e32 v19, vcc, v22, v3, vcc
.LBB2_36:                               ;   in Loop: Header=BB2_22 Depth=2
	s_andn2_saveexec_b64 s[0:1], s[58:59]
	s_cbranch_execz .LBB2_21
; %bb.37:                               ;   in Loop: Header=BB2_22 Depth=2
	v_cvt_f32_u32_e32 v3, s54
	s_sub_i32 s58, 0, s54
	v_rcp_iflag_f32_e32 v3, v3
	v_mul_f32_e32 v3, 0x4f7ffffe, v3
	v_cvt_u32_f32_e32 v3, v3
	v_mul_lo_u32 v18, s58, v3
	v_mul_hi_u32 v18, v3, v18
	v_add_u32_e32 v3, v3, v18
	v_mul_hi_u32 v3, v16, v3
	v_mul_lo_u32 v18, v3, s54
	v_add_u32_e32 v19, 1, v3
	v_sub_u32_e32 v18, v16, v18
	v_subrev_u32_e32 v22, s54, v18
	v_cmp_le_u32_e32 vcc, s54, v18
	v_cndmask_b32_e32 v18, v18, v22, vcc
	v_cndmask_b32_e32 v3, v3, v19, vcc
	v_add_u32_e32 v19, 1, v3
	v_cmp_le_u32_e32 vcc, s54, v18
	v_cndmask_b32_e32 v18, v3, v19, vcc
	v_mov_b32_e32 v19, v2
	s_branch .LBB2_21
.LBB2_38:                               ;   in Loop: Header=BB2_3 Depth=1
	s_load_dwordx2 s[38:39], s[22:23], 0x0
	s_waitcnt lgkmcnt(0)
	v_cmp_gt_i64_e32 vcc, s[38:39], v[4:5]
	s_and_b64 exec, exec, vcc
	s_cbranch_execz .LBB2_2
; %bb.39:                               ;   in Loop: Header=BB2_3 Depth=1
	v_mov_b32_e32 v3, s13
	v_cmp_lt_i64_e32 vcc, s[8:9], v[6:7]
	v_add_co_u32_e64 v6, s[0:1], s12, v8
	v_addc_co_u32_e64 v7, s[0:1], v3, v9, s[0:1]
	s_and_saveexec_b64 s[0:1], vcc
	s_cbranch_execz .LBB2_41
; %bb.40:                               ;   in Loop: Header=BB2_3 Depth=1
	global_store_byte v[6:7], v2, off
.LBB2_41:                               ;   in Loop: Header=BB2_3 Depth=1
	s_or_b64 exec, exec, s[0:1]
	v_add_co_u32_e32 v8, vcc, 1, v4
	v_addc_co_u32_e32 v9, vcc, 0, v5, vcc
	v_cmp_gt_i64_e32 vcc, s[38:39], v[8:9]
	s_and_b64 exec, exec, vcc
	s_cbranch_execz .LBB2_2
; %bb.42:                               ;   in Loop: Header=BB2_3 Depth=1
	v_sub_co_u32_e32 v8, vcc, v8, v20
	v_subb_co_u32_e32 v9, vcc, v9, v21, vcc
	v_cmp_lt_i64_e32 vcc, s[8:9], v[8:9]
	s_and_saveexec_b64 s[0:1], vcc
	s_cbranch_execz .LBB2_44
; %bb.43:                               ;   in Loop: Header=BB2_3 Depth=1
	v_mov_b32_e32 v3, s3
	v_add_co_u32_e32 v8, vcc, s2, v6
	v_addc_co_u32_e32 v9, vcc, v7, v3, vcc
	global_store_byte v[8:9], v2, off
.LBB2_44:                               ;   in Loop: Header=BB2_3 Depth=1
	s_or_b64 exec, exec, s[0:1]
	v_add_co_u32_e32 v8, vcc, 2, v4
	v_addc_co_u32_e32 v9, vcc, 0, v5, vcc
	v_cmp_gt_i64_e32 vcc, s[38:39], v[8:9]
	s_and_b64 exec, exec, vcc
	s_cbranch_execz .LBB2_2
; %bb.45:                               ;   in Loop: Header=BB2_3 Depth=1
	v_sub_co_u32_e32 v8, vcc, v8, v20
	v_subb_co_u32_e32 v9, vcc, v9, v21, vcc
	v_cmp_lt_i64_e32 vcc, s[8:9], v[8:9]
	s_and_saveexec_b64 s[0:1], vcc
	s_cbranch_execz .LBB2_47
; %bb.46:                               ;   in Loop: Header=BB2_3 Depth=1
	s_lshl_b64 s[40:41], s[2:3], 1
	v_mov_b32_e32 v3, s41
	v_add_co_u32_e32 v8, vcc, s40, v6
	v_addc_co_u32_e32 v9, vcc, v7, v3, vcc
	global_store_byte v[8:9], v2, off
.LBB2_47:                               ;   in Loop: Header=BB2_3 Depth=1
	s_or_b64 exec, exec, s[0:1]
	v_add_co_u32_e32 v3, vcc, 3, v4
	v_addc_co_u32_e32 v4, vcc, 0, v5, vcc
	v_cmp_gt_i64_e32 vcc, s[38:39], v[3:4]
	v_sub_co_u32_e64 v3, s[0:1], v3, v20
	v_subb_co_u32_e64 v4, s[0:1], v4, v21, s[0:1]
	v_cmp_lt_i64_e64 s[0:1], s[8:9], v[3:4]
	s_and_b64 s[0:1], vcc, s[0:1]
	s_and_b64 exec, exec, s[0:1]
	s_cbranch_execz .LBB2_2
; %bb.48:                               ;   in Loop: Header=BB2_3 Depth=1
	v_mad_u64_u32 v[3:4], s[0:1], s2, 3, v[6:7]
	v_mad_u64_u32 v[4:5], s[0:1], s3, 3, v[4:5]
	global_store_byte v[3:4], v2, off
	s_branch .LBB2_2
.LBB2_49:
	s_endpgm
	.section	.rodata,"a",@progbits
	.p2align	6, 0x0
	.amdhsa_kernel _ZN2at6native16triu_tril_kernelIhlLb0ELi4ELb1EEEvNS_4cuda6detail10TensorInfoIT_T0_EENS4_IKS5_S6_EEllS6_
		.amdhsa_group_segment_fixed_size 0
		.amdhsa_private_segment_fixed_size 0
		.amdhsa_kernarg_size 1112
		.amdhsa_user_sgpr_count 6
		.amdhsa_user_sgpr_private_segment_buffer 1
		.amdhsa_user_sgpr_dispatch_ptr 0
		.amdhsa_user_sgpr_queue_ptr 0
		.amdhsa_user_sgpr_kernarg_segment_ptr 1
		.amdhsa_user_sgpr_dispatch_id 0
		.amdhsa_user_sgpr_flat_scratch_init 0
		.amdhsa_user_sgpr_private_segment_size 0
		.amdhsa_uses_dynamic_stack 0
		.amdhsa_system_sgpr_private_segment_wavefront_offset 0
		.amdhsa_system_sgpr_workgroup_id_x 1
		.amdhsa_system_sgpr_workgroup_id_y 0
		.amdhsa_system_sgpr_workgroup_id_z 0
		.amdhsa_system_sgpr_workgroup_info 0
		.amdhsa_system_vgpr_workitem_id 0
		.amdhsa_next_free_vgpr 30
		.amdhsa_next_free_sgpr 75
		.amdhsa_reserve_vcc 1
		.amdhsa_reserve_flat_scratch 0
		.amdhsa_float_round_mode_32 0
		.amdhsa_float_round_mode_16_64 0
		.amdhsa_float_denorm_mode_32 3
		.amdhsa_float_denorm_mode_16_64 3
		.amdhsa_dx10_clamp 1
		.amdhsa_ieee_mode 1
		.amdhsa_fp16_overflow 0
		.amdhsa_exception_fp_ieee_invalid_op 0
		.amdhsa_exception_fp_denorm_src 0
		.amdhsa_exception_fp_ieee_div_zero 0
		.amdhsa_exception_fp_ieee_overflow 0
		.amdhsa_exception_fp_ieee_underflow 0
		.amdhsa_exception_fp_ieee_inexact 0
		.amdhsa_exception_int_div_zero 0
	.end_amdhsa_kernel
	.section	.text._ZN2at6native16triu_tril_kernelIhlLb0ELi4ELb1EEEvNS_4cuda6detail10TensorInfoIT_T0_EENS4_IKS5_S6_EEllS6_,"axG",@progbits,_ZN2at6native16triu_tril_kernelIhlLb0ELi4ELb1EEEvNS_4cuda6detail10TensorInfoIT_T0_EENS4_IKS5_S6_EEllS6_,comdat
.Lfunc_end2:
	.size	_ZN2at6native16triu_tril_kernelIhlLb0ELi4ELb1EEEvNS_4cuda6detail10TensorInfoIT_T0_EENS4_IKS5_S6_EEllS6_, .Lfunc_end2-_ZN2at6native16triu_tril_kernelIhlLb0ELi4ELb1EEEvNS_4cuda6detail10TensorInfoIT_T0_EENS4_IKS5_S6_EEllS6_
                                        ; -- End function
	.set _ZN2at6native16triu_tril_kernelIhlLb0ELi4ELb1EEEvNS_4cuda6detail10TensorInfoIT_T0_EENS4_IKS5_S6_EEllS6_.num_vgpr, 30
	.set _ZN2at6native16triu_tril_kernelIhlLb0ELi4ELb1EEEvNS_4cuda6detail10TensorInfoIT_T0_EENS4_IKS5_S6_EEllS6_.num_agpr, 0
	.set _ZN2at6native16triu_tril_kernelIhlLb0ELi4ELb1EEEvNS_4cuda6detail10TensorInfoIT_T0_EENS4_IKS5_S6_EEllS6_.numbered_sgpr, 75
	.set _ZN2at6native16triu_tril_kernelIhlLb0ELi4ELb1EEEvNS_4cuda6detail10TensorInfoIT_T0_EENS4_IKS5_S6_EEllS6_.num_named_barrier, 0
	.set _ZN2at6native16triu_tril_kernelIhlLb0ELi4ELb1EEEvNS_4cuda6detail10TensorInfoIT_T0_EENS4_IKS5_S6_EEllS6_.private_seg_size, 0
	.set _ZN2at6native16triu_tril_kernelIhlLb0ELi4ELb1EEEvNS_4cuda6detail10TensorInfoIT_T0_EENS4_IKS5_S6_EEllS6_.uses_vcc, 1
	.set _ZN2at6native16triu_tril_kernelIhlLb0ELi4ELb1EEEvNS_4cuda6detail10TensorInfoIT_T0_EENS4_IKS5_S6_EEllS6_.uses_flat_scratch, 0
	.set _ZN2at6native16triu_tril_kernelIhlLb0ELi4ELb1EEEvNS_4cuda6detail10TensorInfoIT_T0_EENS4_IKS5_S6_EEllS6_.has_dyn_sized_stack, 0
	.set _ZN2at6native16triu_tril_kernelIhlLb0ELi4ELb1EEEvNS_4cuda6detail10TensorInfoIT_T0_EENS4_IKS5_S6_EEllS6_.has_recursion, 0
	.set _ZN2at6native16triu_tril_kernelIhlLb0ELi4ELb1EEEvNS_4cuda6detail10TensorInfoIT_T0_EENS4_IKS5_S6_EEllS6_.has_indirect_call, 0
	.section	.AMDGPU.csdata,"",@progbits
; Kernel info:
; codeLenInByte = 6596
; TotalNumSgprs: 79
; NumVgprs: 30
; ScratchSize: 0
; MemoryBound: 0
; FloatMode: 240
; IeeeMode: 1
; LDSByteSize: 0 bytes/workgroup (compile time only)
; SGPRBlocks: 9
; VGPRBlocks: 7
; NumSGPRsForWavesPerEU: 79
; NumVGPRsForWavesPerEU: 30
; Occupancy: 8
; WaveLimiterHint : 0
; COMPUTE_PGM_RSRC2:SCRATCH_EN: 0
; COMPUTE_PGM_RSRC2:USER_SGPR: 6
; COMPUTE_PGM_RSRC2:TRAP_HANDLER: 0
; COMPUTE_PGM_RSRC2:TGID_X_EN: 1
; COMPUTE_PGM_RSRC2:TGID_Y_EN: 0
; COMPUTE_PGM_RSRC2:TGID_Z_EN: 0
; COMPUTE_PGM_RSRC2:TIDIG_COMP_CNT: 0
	.section	.text._ZN2at6native16triu_tril_kernelIhlLb0ELi4ELb0EEEvNS_4cuda6detail10TensorInfoIT_T0_EENS4_IKS5_S6_EEllS6_,"axG",@progbits,_ZN2at6native16triu_tril_kernelIhlLb0ELi4ELb0EEEvNS_4cuda6detail10TensorInfoIT_T0_EENS4_IKS5_S6_EEllS6_,comdat
	.protected	_ZN2at6native16triu_tril_kernelIhlLb0ELi4ELb0EEEvNS_4cuda6detail10TensorInfoIT_T0_EENS4_IKS5_S6_EEllS6_ ; -- Begin function _ZN2at6native16triu_tril_kernelIhlLb0ELi4ELb0EEEvNS_4cuda6detail10TensorInfoIT_T0_EENS4_IKS5_S6_EEllS6_
	.globl	_ZN2at6native16triu_tril_kernelIhlLb0ELi4ELb0EEEvNS_4cuda6detail10TensorInfoIT_T0_EENS4_IKS5_S6_EEllS6_
	.p2align	8
	.type	_ZN2at6native16triu_tril_kernelIhlLb0ELi4ELb0EEEvNS_4cuda6detail10TensorInfoIT_T0_EENS4_IKS5_S6_EEllS6_,@function
_ZN2at6native16triu_tril_kernelIhlLb0ELi4ELb0EEEvNS_4cuda6detail10TensorInfoIT_T0_EENS4_IKS5_S6_EEllS6_: ; @_ZN2at6native16triu_tril_kernelIhlLb0ELi4ELb0EEEvNS_4cuda6detail10TensorInfoIT_T0_EENS4_IKS5_S6_EEllS6_
; %bb.0:
	s_load_dword s2, s[4:5], 0x364
	s_load_dwordx4 s[8:11], s[4:5], 0x340
	s_add_u32 s0, s4, 0x358
	v_mov_b32_e32 v2, 0
	s_addc_u32 s1, s5, 0
	s_waitcnt lgkmcnt(0)
	s_and_b32 s7, s2, 0xffff
	v_mov_b32_e32 v1, v2
	v_mov_b32_e32 v3, s6
	v_mad_u64_u32 v[0:1], s[2:3], s7, v3, v[0:1]
	s_mov_b32 s33, 0xffff
	v_lshlrev_b64 v[0:1], 2, v[0:1]
	v_cmp_gt_i64_e32 vcc, s[10:11], v[0:1]
	s_and_saveexec_b64 s[2:3], vcc
	s_cbranch_execz .LBB3_44
; %bb.1:
	s_load_dword s6, s[0:1], 0x0
	s_load_dword s24, s[4:5], 0x338
	s_add_u32 s66, s4, 0x1a0
	s_addc_u32 s67, s5, 0
	s_load_dwordx2 s[2:3], s[4:5], 0x1a0
	s_waitcnt lgkmcnt(0)
	s_mul_i32 s30, s6, s7
	s_ashr_i32 s25, s24, 31
	s_lshl_b64 s[0:1], s[24:25], 3
	s_add_u32 s20, s66, s0
	s_addc_u32 s21, s67, s1
	s_add_u32 s22, s20, -8
	s_addc_u32 s23, s21, -1
	s_add_u32 s0, s4, s0
	v_cmp_gt_i64_e64 s[6:7], s[24:25], 2
	s_addc_u32 s1, s5, s1
	s_add_i32 s24, s24, -3
	s_ashr_i32 s25, s24, 31
	s_lshl_b32 s68, s30, 2
	s_bitcmp0_b32 s24, 0
	s_load_dwordx4 s[12:15], s[22:23], 0x0
	s_load_dwordx4 s[16:19], s[20:21], 0xc0
	s_cselect_b64 s[36:37], -1, 0
	s_load_dwordx4 s[20:23], s[0:1], 0xc0
	s_lshl_b64 s[0:1], s[24:25], 3
	s_add_u32 s38, s66, s0
	s_addc_u32 s39, s67, s1
	s_add_u32 s40, s4, s0
	s_addc_u32 s41, s5, s1
	s_load_dwordx2 s[26:27], s[4:5], 0x350
	s_load_dwordx2 s[28:29], s[4:5], 0x0
	s_add_u32 s42, s24, -1
	s_addc_u32 s43, s25, -1
	s_cmp_lg_u32 s24, 0
	s_cselect_b64 s[44:45], -1, 0
	s_add_u32 s69, s4, 0xc8
	s_mov_b32 s30, s8
	s_mov_b32 s31, s9
	s_mov_b32 s34, s8
	s_mov_b32 s35, s9
	s_addc_u32 s70, s5, 0
	s_mov_b64 s[4:5], 0
	s_branch .LBB3_3
.LBB3_2:                                ;   in Loop: Header=BB3_3 Depth=1
	s_or_b64 exec, exec, s[0:1]
	v_add_co_u32_e32 v0, vcc, s68, v0
	v_addc_co_u32_e32 v1, vcc, 0, v1, vcc
	v_cmp_le_i64_e32 vcc, s[10:11], v[0:1]
	s_or_b64 s[4:5], vcc, s[4:5]
	s_andn2_b64 exec, exec, s[4:5]
	s_cbranch_execz .LBB3_44
.LBB3_3:                                ; =>This Loop Header: Depth=1
                                        ;     Child Loop BB3_21 Depth 2
	s_waitcnt lgkmcnt(0)
	v_or_b32_e32 v3, s27, v1
	v_cmp_ne_u64_e32 vcc, 0, v[2:3]
                                        ; implicit-def: $vgpr6_vgpr7
	s_and_saveexec_b64 s[0:1], vcc
	s_xor_b64 s[46:47], exec, s[0:1]
	s_cbranch_execz .LBB3_5
; %bb.4:                                ;   in Loop: Header=BB3_3 Depth=1
	s_ashr_i32 s48, s27, 31
	s_add_u32 s0, s26, s48
	s_mov_b32 s49, s48
	s_addc_u32 s1, s27, s48
	s_xor_b64 s[50:51], s[0:1], s[48:49]
	v_cvt_f32_u32_e32 v3, s50
	v_cvt_f32_u32_e32 v4, s51
	s_sub_u32 s49, 0, s50
	s_subb_u32 s52, 0, s51
	v_ashrrev_i32_e32 v7, 31, v1
	v_mac_f32_e32 v3, 0x4f800000, v4
	v_rcp_f32_e32 v3, v3
	v_mul_f32_e32 v3, 0x5f7ffffc, v3
	v_mul_f32_e32 v4, 0x2f800000, v3
	v_trunc_f32_e32 v4, v4
	v_mac_f32_e32 v3, 0xcf800000, v4
	v_cvt_u32_f32_e32 v4, v4
	v_cvt_u32_f32_e32 v3, v3
	v_readfirstlane_b32 s53, v4
	v_readfirstlane_b32 s0, v3
	s_mul_i32 s1, s49, s53
	s_mul_hi_u32 s55, s49, s0
	s_mul_i32 s54, s52, s0
	s_add_i32 s1, s55, s1
	s_add_i32 s1, s1, s54
	s_mul_i32 s56, s49, s0
	s_mul_i32 s55, s0, s1
	s_mul_hi_u32 s57, s0, s56
	s_mul_hi_u32 s54, s0, s1
	s_add_u32 s55, s57, s55
	s_addc_u32 s54, 0, s54
	s_mul_hi_u32 s58, s53, s56
	s_mul_i32 s56, s53, s56
	s_add_u32 s55, s55, s56
	s_mul_hi_u32 s57, s53, s1
	s_addc_u32 s54, s54, s58
	s_addc_u32 s55, s57, 0
	s_mul_i32 s1, s53, s1
	s_add_u32 s1, s54, s1
	s_addc_u32 s54, 0, s55
	s_add_u32 s55, s0, s1
	s_cselect_b64 s[0:1], -1, 0
	s_cmp_lg_u64 s[0:1], 0
	s_addc_u32 s53, s53, s54
	s_mul_i32 s0, s49, s53
	s_mul_hi_u32 s1, s49, s55
	s_add_i32 s0, s1, s0
	s_mul_i32 s52, s52, s55
	s_add_i32 s0, s0, s52
	s_mul_i32 s49, s49, s55
	s_mul_hi_u32 s52, s53, s49
	s_mul_i32 s54, s53, s49
	s_mul_i32 s57, s55, s0
	s_mul_hi_u32 s49, s55, s49
	s_mul_hi_u32 s56, s55, s0
	s_add_u32 s49, s49, s57
	s_addc_u32 s56, 0, s56
	s_add_u32 s49, s49, s54
	s_mul_hi_u32 s1, s53, s0
	s_addc_u32 s49, s56, s52
	s_addc_u32 s1, s1, 0
	s_mul_i32 s0, s53, s0
	s_add_u32 s0, s49, s0
	s_addc_u32 s49, 0, s1
	s_add_u32 s52, s55, s0
	s_cselect_b64 s[0:1], -1, 0
	s_cmp_lg_u64 s[0:1], 0
	v_add_co_u32_e32 v3, vcc, v0, v7
	s_addc_u32 s49, s53, s49
	v_xor_b32_e32 v8, v3, v7
	v_mad_u64_u32 v[3:4], s[0:1], v8, s49, 0
	v_mul_hi_u32 v6, v8, s52
	v_addc_co_u32_e32 v5, vcc, v1, v7, vcc
	v_xor_b32_e32 v9, v5, v7
	v_add_co_u32_e32 v10, vcc, v6, v3
	v_addc_co_u32_e32 v11, vcc, 0, v4, vcc
	v_mad_u64_u32 v[3:4], s[0:1], v9, s52, 0
	v_mad_u64_u32 v[5:6], s[0:1], v9, s49, 0
	v_add_co_u32_e32 v3, vcc, v10, v3
	v_addc_co_u32_e32 v3, vcc, v11, v4, vcc
	v_addc_co_u32_e32 v4, vcc, 0, v6, vcc
	v_add_co_u32_e32 v5, vcc, v3, v5
	v_addc_co_u32_e32 v6, vcc, 0, v4, vcc
	v_mul_lo_u32 v10, s51, v5
	v_mul_lo_u32 v11, s50, v6
	v_mad_u64_u32 v[3:4], s[0:1], s50, v5, 0
	v_add3_u32 v4, v4, v11, v10
	v_sub_u32_e32 v10, v9, v4
	v_mov_b32_e32 v11, s51
	v_sub_co_u32_e32 v3, vcc, v8, v3
	v_subb_co_u32_e64 v8, s[0:1], v10, v11, vcc
	v_subrev_co_u32_e64 v10, s[0:1], s50, v3
	v_subbrev_co_u32_e64 v8, s[0:1], 0, v8, s[0:1]
	v_cmp_le_u32_e64 s[0:1], s51, v8
	v_cndmask_b32_e64 v11, 0, -1, s[0:1]
	v_cmp_le_u32_e64 s[0:1], s50, v10
	v_cndmask_b32_e64 v10, 0, -1, s[0:1]
	v_cmp_eq_u32_e64 s[0:1], s51, v8
	v_cndmask_b32_e64 v8, v11, v10, s[0:1]
	v_add_co_u32_e64 v10, s[0:1], 2, v5
	v_subb_co_u32_e32 v4, vcc, v9, v4, vcc
	v_addc_co_u32_e64 v11, s[0:1], 0, v6, s[0:1]
	v_cmp_le_u32_e32 vcc, s51, v4
	v_add_co_u32_e64 v12, s[0:1], 1, v5
	v_cndmask_b32_e64 v9, 0, -1, vcc
	v_cmp_le_u32_e32 vcc, s50, v3
	v_addc_co_u32_e64 v13, s[0:1], 0, v6, s[0:1]
	v_cndmask_b32_e64 v3, 0, -1, vcc
	v_cmp_eq_u32_e32 vcc, s51, v4
	v_cmp_ne_u32_e64 s[0:1], 0, v8
	v_cndmask_b32_e32 v3, v9, v3, vcc
	v_cmp_ne_u32_e32 vcc, 0, v3
	v_cndmask_b32_e64 v4, v12, v10, s[0:1]
	v_cndmask_b32_e64 v8, v13, v11, s[0:1]
	v_cndmask_b32_e32 v4, v5, v4, vcc
	v_xor_b32_e32 v5, s48, v7
	v_cndmask_b32_e32 v3, v6, v8, vcc
	v_xor_b32_e32 v4, v4, v5
	v_xor_b32_e32 v3, v3, v5
	v_sub_co_u32_e32 v6, vcc, v4, v5
	v_subb_co_u32_e32 v7, vcc, v3, v5, vcc
.LBB3_5:                                ;   in Loop: Header=BB3_3 Depth=1
	s_andn2_saveexec_b64 s[0:1], s[46:47]
	s_cbranch_execz .LBB3_7
; %bb.6:                                ;   in Loop: Header=BB3_3 Depth=1
	v_cvt_f32_u32_e32 v3, s26
	s_sub_i32 s46, 0, s26
	v_mov_b32_e32 v7, v2
	v_rcp_iflag_f32_e32 v3, v3
	v_mul_f32_e32 v3, 0x4f7ffffe, v3
	v_cvt_u32_f32_e32 v3, v3
	v_mul_lo_u32 v4, s46, v3
	v_mul_hi_u32 v4, v3, v4
	v_add_u32_e32 v3, v3, v4
	v_mul_hi_u32 v3, v0, v3
	v_mul_lo_u32 v4, v3, s26
	v_add_u32_e32 v5, 1, v3
	v_sub_u32_e32 v4, v0, v4
	v_subrev_u32_e32 v6, s26, v4
	v_cmp_le_u32_e32 vcc, s26, v4
	v_cndmask_b32_e32 v4, v4, v6, vcc
	v_cndmask_b32_e32 v3, v3, v5, vcc
	v_add_u32_e32 v5, 1, v3
	v_cmp_le_u32_e32 vcc, s26, v4
	v_cndmask_b32_e32 v6, v3, v5, vcc
.LBB3_7:                                ;   in Loop: Header=BB3_3 Depth=1
	s_or_b64 exec, exec, s[0:1]
	v_or_b32_e32 v3, s13, v7
	v_cmp_ne_u64_e32 vcc, 0, v[2:3]
                                        ; implicit-def: $vgpr10_vgpr11
	s_and_saveexec_b64 s[0:1], vcc
	s_xor_b64 s[46:47], exec, s[0:1]
	s_cbranch_execz .LBB3_9
; %bb.8:                                ;   in Loop: Header=BB3_3 Depth=1
	s_ashr_i32 s48, s13, 31
	s_add_u32 s0, s12, s48
	s_mov_b32 s49, s48
	s_addc_u32 s1, s13, s48
	s_xor_b64 s[50:51], s[0:1], s[48:49]
	v_cvt_f32_u32_e32 v3, s50
	v_cvt_f32_u32_e32 v4, s51
	s_sub_u32 s49, 0, s50
	s_subb_u32 s52, 0, s51
	v_ashrrev_i32_e32 v5, 31, v7
	v_mac_f32_e32 v3, 0x4f800000, v4
	v_rcp_f32_e32 v3, v3
	v_mul_f32_e32 v3, 0x5f7ffffc, v3
	v_mul_f32_e32 v4, 0x2f800000, v3
	v_trunc_f32_e32 v4, v4
	v_mac_f32_e32 v3, 0xcf800000, v4
	v_cvt_u32_f32_e32 v4, v4
	v_cvt_u32_f32_e32 v3, v3
	v_readfirstlane_b32 s53, v4
	v_readfirstlane_b32 s0, v3
	s_mul_i32 s1, s49, s53
	s_mul_hi_u32 s55, s49, s0
	s_mul_i32 s54, s52, s0
	s_add_i32 s1, s55, s1
	s_add_i32 s1, s1, s54
	s_mul_i32 s56, s49, s0
	s_mul_i32 s55, s0, s1
	s_mul_hi_u32 s57, s0, s56
	s_mul_hi_u32 s54, s0, s1
	s_add_u32 s55, s57, s55
	s_addc_u32 s54, 0, s54
	s_mul_hi_u32 s58, s53, s56
	s_mul_i32 s56, s53, s56
	s_add_u32 s55, s55, s56
	s_mul_hi_u32 s57, s53, s1
	s_addc_u32 s54, s54, s58
	s_addc_u32 s55, s57, 0
	s_mul_i32 s1, s53, s1
	s_add_u32 s1, s54, s1
	s_addc_u32 s54, 0, s55
	s_add_u32 s55, s0, s1
	s_cselect_b64 s[0:1], -1, 0
	s_cmp_lg_u64 s[0:1], 0
	s_addc_u32 s53, s53, s54
	s_mul_i32 s0, s49, s53
	s_mul_hi_u32 s1, s49, s55
	s_add_i32 s0, s1, s0
	s_mul_i32 s52, s52, s55
	s_add_i32 s0, s0, s52
	s_mul_i32 s49, s49, s55
	s_mul_hi_u32 s52, s53, s49
	s_mul_i32 s54, s53, s49
	s_mul_i32 s57, s55, s0
	s_mul_hi_u32 s49, s55, s49
	s_mul_hi_u32 s56, s55, s0
	s_add_u32 s49, s49, s57
	s_addc_u32 s56, 0, s56
	s_add_u32 s49, s49, s54
	s_mul_hi_u32 s1, s53, s0
	s_addc_u32 s49, s56, s52
	s_addc_u32 s1, s1, 0
	s_mul_i32 s0, s53, s0
	s_add_u32 s0, s49, s0
	s_addc_u32 s49, 0, s1
	s_add_u32 s52, s55, s0
	s_cselect_b64 s[0:1], -1, 0
	s_cmp_lg_u64 s[0:1], 0
	v_add_co_u32_e32 v3, vcc, v6, v5
	s_addc_u32 s49, s53, s49
	v_xor_b32_e32 v10, v3, v5
	v_mad_u64_u32 v[3:4], s[0:1], v10, s49, 0
	v_mul_hi_u32 v9, v10, s52
	v_addc_co_u32_e32 v8, vcc, v7, v5, vcc
	v_xor_b32_e32 v11, v8, v5
	v_add_co_u32_e32 v12, vcc, v9, v3
	v_addc_co_u32_e32 v13, vcc, 0, v4, vcc
	v_mad_u64_u32 v[3:4], s[0:1], v11, s52, 0
	v_mad_u64_u32 v[8:9], s[0:1], v11, s49, 0
	v_add_co_u32_e32 v3, vcc, v12, v3
	v_addc_co_u32_e32 v3, vcc, v13, v4, vcc
	v_addc_co_u32_e32 v4, vcc, 0, v9, vcc
	v_add_co_u32_e32 v8, vcc, v3, v8
	v_addc_co_u32_e32 v9, vcc, 0, v4, vcc
	v_mul_lo_u32 v12, s51, v8
	v_mul_lo_u32 v13, s50, v9
	v_mad_u64_u32 v[3:4], s[0:1], s50, v8, 0
	v_xor_b32_e32 v5, s48, v5
	v_add3_u32 v4, v4, v13, v12
	v_sub_u32_e32 v12, v11, v4
	v_mov_b32_e32 v13, s51
	v_sub_co_u32_e32 v3, vcc, v10, v3
	v_subb_co_u32_e64 v10, s[0:1], v12, v13, vcc
	v_subrev_co_u32_e64 v12, s[0:1], s50, v3
	v_subbrev_co_u32_e64 v10, s[0:1], 0, v10, s[0:1]
	v_cmp_le_u32_e64 s[0:1], s51, v10
	v_cndmask_b32_e64 v13, 0, -1, s[0:1]
	v_cmp_le_u32_e64 s[0:1], s50, v12
	v_cndmask_b32_e64 v12, 0, -1, s[0:1]
	v_cmp_eq_u32_e64 s[0:1], s51, v10
	v_cndmask_b32_e64 v10, v13, v12, s[0:1]
	v_add_co_u32_e64 v12, s[0:1], 2, v8
	v_subb_co_u32_e32 v4, vcc, v11, v4, vcc
	v_addc_co_u32_e64 v13, s[0:1], 0, v9, s[0:1]
	v_cmp_le_u32_e32 vcc, s51, v4
	v_add_co_u32_e64 v14, s[0:1], 1, v8
	v_cndmask_b32_e64 v11, 0, -1, vcc
	v_cmp_le_u32_e32 vcc, s50, v3
	v_addc_co_u32_e64 v15, s[0:1], 0, v9, s[0:1]
	v_cndmask_b32_e64 v3, 0, -1, vcc
	v_cmp_eq_u32_e32 vcc, s51, v4
	v_cmp_ne_u32_e64 s[0:1], 0, v10
	v_cndmask_b32_e32 v3, v11, v3, vcc
	v_cmp_ne_u32_e32 vcc, 0, v3
	v_cndmask_b32_e64 v4, v14, v12, s[0:1]
	v_cndmask_b32_e64 v10, v15, v13, s[0:1]
	v_cndmask_b32_e32 v4, v8, v4, vcc
	v_cndmask_b32_e32 v3, v9, v10, vcc
	v_xor_b32_e32 v4, v4, v5
	v_xor_b32_e32 v3, v3, v5
	v_sub_co_u32_e32 v10, vcc, v4, v5
	v_subb_co_u32_e32 v11, vcc, v3, v5, vcc
.LBB3_9:                                ;   in Loop: Header=BB3_3 Depth=1
	s_andn2_saveexec_b64 s[0:1], s[46:47]
	s_cbranch_execz .LBB3_11
; %bb.10:                               ;   in Loop: Header=BB3_3 Depth=1
	v_cvt_f32_u32_e32 v3, s12
	s_sub_i32 s46, 0, s12
	v_mov_b32_e32 v11, v2
	v_rcp_iflag_f32_e32 v3, v3
	v_mul_f32_e32 v3, 0x4f7ffffe, v3
	v_cvt_u32_f32_e32 v3, v3
	v_mul_lo_u32 v4, s46, v3
	v_mul_hi_u32 v4, v3, v4
	v_add_u32_e32 v3, v3, v4
	v_mul_hi_u32 v3, v6, v3
	v_mul_lo_u32 v4, v3, s12
	v_add_u32_e32 v5, 1, v3
	v_sub_u32_e32 v4, v6, v4
	v_subrev_u32_e32 v8, s12, v4
	v_cmp_le_u32_e32 vcc, s12, v4
	v_cndmask_b32_e32 v4, v4, v8, vcc
	v_cndmask_b32_e32 v3, v3, v5, vcc
	v_add_u32_e32 v5, 1, v3
	v_cmp_le_u32_e32 vcc, s12, v4
	v_cndmask_b32_e32 v10, v3, v5, vcc
.LBB3_11:                               ;   in Loop: Header=BB3_3 Depth=1
	s_or_b64 exec, exec, s[0:1]
	v_mul_lo_u32 v5, v7, s26
	v_mul_lo_u32 v8, v6, s27
	v_mad_u64_u32 v[3:4], s[0:1], v6, s26, 0
	v_mul_lo_u32 v12, v11, s12
	v_mul_lo_u32 v13, v10, s13
	v_add3_u32 v5, v4, v8, v5
	v_mad_u64_u32 v[8:9], s[0:1], v10, s12, 0
	v_sub_co_u32_e32 v4, vcc, v0, v3
	v_subb_co_u32_e32 v5, vcc, v1, v5, vcc
	v_add3_u32 v3, v9, v13, v12
	v_mul_lo_u32 v9, s19, v4
	v_mul_lo_u32 v14, s18, v5
	v_mad_u64_u32 v[12:13], s[0:1], s18, v4, 0
	v_sub_co_u32_e32 v16, vcc, v6, v8
	v_subb_co_u32_e32 v17, vcc, v7, v3, vcc
	v_add3_u32 v13, v13, v14, v9
	v_mul_lo_u32 v3, s23, v4
	v_mul_lo_u32 v14, s22, v5
	v_mad_u64_u32 v[6:7], s[0:1], s22, v4, 0
	v_mad_u64_u32 v[8:9], s[0:1], s16, v16, v[12:13]
	v_mul_lo_u32 v12, s16, v17
	v_mul_lo_u32 v13, s17, v16
	v_add3_u32 v7, v7, v14, v3
	v_mad_u64_u32 v[6:7], s[0:1], s20, v16, v[6:7]
	v_add3_u32 v9, v13, v9, v12
	v_mul_lo_u32 v3, s20, v17
	v_mul_lo_u32 v12, s21, v16
	s_andn2_b64 vcc, exec, s[6:7]
	v_add3_u32 v7, v12, v7, v3
	s_cbranch_vccnz .LBB3_29
; %bb.12:                               ;   in Loop: Header=BB3_3 Depth=1
	s_andn2_b64 vcc, exec, s[36:37]
	s_cbranch_vccnz .LBB3_18
; %bb.13:                               ;   in Loop: Header=BB3_3 Depth=1
	s_load_dwordx2 s[46:47], s[38:39], 0x8
                                        ; implicit-def: $vgpr12_vgpr13
	s_waitcnt lgkmcnt(0)
	v_or_b32_e32 v3, s47, v11
	v_cmp_ne_u64_e32 vcc, 0, v[2:3]
	s_and_saveexec_b64 s[0:1], vcc
	s_xor_b64 s[48:49], exec, s[0:1]
	s_cbranch_execz .LBB3_15
; %bb.14:                               ;   in Loop: Header=BB3_3 Depth=1
	s_ashr_i32 s50, s47, 31
	s_add_u32 s0, s46, s50
	s_mov_b32 s51, s50
	s_addc_u32 s1, s47, s50
	s_xor_b64 s[52:53], s[0:1], s[50:51]
	v_cvt_f32_u32_e32 v3, s52
	v_cvt_f32_u32_e32 v12, s53
	s_sub_u32 s51, 0, s52
	s_subb_u32 s54, 0, s53
	v_mac_f32_e32 v3, 0x4f800000, v12
	v_rcp_f32_e32 v3, v3
	v_mul_f32_e32 v3, 0x5f7ffffc, v3
	v_mul_f32_e32 v12, 0x2f800000, v3
	v_trunc_f32_e32 v12, v12
	v_mac_f32_e32 v3, 0xcf800000, v12
	v_cvt_u32_f32_e32 v12, v12
	v_cvt_u32_f32_e32 v3, v3
	v_readfirstlane_b32 s55, v12
	v_readfirstlane_b32 s0, v3
	s_mul_i32 s1, s51, s55
	s_mul_hi_u32 s57, s51, s0
	s_mul_i32 s56, s54, s0
	s_add_i32 s1, s57, s1
	s_add_i32 s1, s1, s56
	s_mul_i32 s58, s51, s0
	s_mul_i32 s57, s0, s1
	s_mul_hi_u32 s59, s0, s58
	s_mul_hi_u32 s56, s0, s1
	s_add_u32 s57, s59, s57
	s_addc_u32 s56, 0, s56
	s_mul_hi_u32 s60, s55, s58
	s_mul_i32 s58, s55, s58
	s_add_u32 s57, s57, s58
	s_mul_hi_u32 s59, s55, s1
	s_addc_u32 s56, s56, s60
	s_addc_u32 s57, s59, 0
	s_mul_i32 s1, s55, s1
	s_add_u32 s1, s56, s1
	s_addc_u32 s56, 0, s57
	s_add_u32 s57, s0, s1
	s_cselect_b64 s[0:1], -1, 0
	s_cmp_lg_u64 s[0:1], 0
	s_addc_u32 s55, s55, s56
	s_mul_i32 s0, s51, s55
	s_mul_hi_u32 s1, s51, s57
	s_add_i32 s0, s1, s0
	s_mul_i32 s54, s54, s57
	s_add_i32 s0, s0, s54
	s_mul_i32 s51, s51, s57
	s_mul_hi_u32 s54, s55, s51
	s_mul_i32 s56, s55, s51
	s_mul_i32 s59, s57, s0
	s_mul_hi_u32 s51, s57, s51
	s_mul_hi_u32 s58, s57, s0
	s_add_u32 s51, s51, s59
	s_addc_u32 s58, 0, s58
	s_add_u32 s51, s51, s56
	s_mul_hi_u32 s1, s55, s0
	s_addc_u32 s51, s58, s54
	s_addc_u32 s1, s1, 0
	s_mul_i32 s0, s55, s0
	s_add_u32 s0, s51, s0
	s_addc_u32 s51, 0, s1
	s_add_u32 s54, s57, s0
	s_cselect_b64 s[0:1], -1, 0
	v_ashrrev_i32_e32 v3, 31, v11
	s_cmp_lg_u64 s[0:1], 0
	v_add_co_u32_e32 v12, vcc, v10, v3
	s_addc_u32 s51, s55, s51
	v_xor_b32_e32 v18, v12, v3
	v_mad_u64_u32 v[12:13], s[0:1], v18, s51, 0
	v_mul_hi_u32 v15, v18, s54
	v_addc_co_u32_e32 v14, vcc, v11, v3, vcc
	v_xor_b32_e32 v19, v14, v3
	v_add_co_u32_e32 v20, vcc, v15, v12
	v_addc_co_u32_e32 v21, vcc, 0, v13, vcc
	v_mad_u64_u32 v[12:13], s[0:1], v19, s54, 0
	v_mad_u64_u32 v[14:15], s[0:1], v19, s51, 0
	v_add_co_u32_e32 v12, vcc, v20, v12
	v_addc_co_u32_e32 v12, vcc, v21, v13, vcc
	v_addc_co_u32_e32 v13, vcc, 0, v15, vcc
	v_add_co_u32_e32 v14, vcc, v12, v14
	v_addc_co_u32_e32 v15, vcc, 0, v13, vcc
	v_mul_lo_u32 v20, s53, v14
	v_mul_lo_u32 v21, s52, v15
	v_mad_u64_u32 v[12:13], s[0:1], s52, v14, 0
	v_xor_b32_e32 v3, s50, v3
	v_add3_u32 v13, v13, v21, v20
	v_sub_u32_e32 v20, v19, v13
	v_mov_b32_e32 v21, s53
	v_sub_co_u32_e32 v12, vcc, v18, v12
	v_subb_co_u32_e64 v18, s[0:1], v20, v21, vcc
	v_subrev_co_u32_e64 v20, s[0:1], s52, v12
	v_subbrev_co_u32_e64 v18, s[0:1], 0, v18, s[0:1]
	v_cmp_le_u32_e64 s[0:1], s53, v18
	v_cndmask_b32_e64 v21, 0, -1, s[0:1]
	v_cmp_le_u32_e64 s[0:1], s52, v20
	v_cndmask_b32_e64 v20, 0, -1, s[0:1]
	v_cmp_eq_u32_e64 s[0:1], s53, v18
	v_cndmask_b32_e64 v18, v21, v20, s[0:1]
	v_add_co_u32_e64 v20, s[0:1], 2, v14
	v_subb_co_u32_e32 v13, vcc, v19, v13, vcc
	v_addc_co_u32_e64 v21, s[0:1], 0, v15, s[0:1]
	v_cmp_le_u32_e32 vcc, s53, v13
	v_add_co_u32_e64 v22, s[0:1], 1, v14
	v_cndmask_b32_e64 v19, 0, -1, vcc
	v_cmp_le_u32_e32 vcc, s52, v12
	v_addc_co_u32_e64 v23, s[0:1], 0, v15, s[0:1]
	v_cndmask_b32_e64 v12, 0, -1, vcc
	v_cmp_eq_u32_e32 vcc, s53, v13
	v_cmp_ne_u32_e64 s[0:1], 0, v18
	v_cndmask_b32_e32 v12, v19, v12, vcc
	v_cndmask_b32_e64 v18, v23, v21, s[0:1]
	v_cmp_ne_u32_e32 vcc, 0, v12
	v_cndmask_b32_e64 v13, v22, v20, s[0:1]
	v_cndmask_b32_e32 v12, v15, v18, vcc
	v_cndmask_b32_e32 v13, v14, v13, vcc
	v_xor_b32_e32 v14, v12, v3
	v_xor_b32_e32 v12, v13, v3
	v_sub_co_u32_e32 v12, vcc, v12, v3
	v_subb_co_u32_e32 v13, vcc, v14, v3, vcc
.LBB3_15:                               ;   in Loop: Header=BB3_3 Depth=1
	s_andn2_saveexec_b64 s[0:1], s[48:49]
	s_cbranch_execz .LBB3_17
; %bb.16:                               ;   in Loop: Header=BB3_3 Depth=1
	v_cvt_f32_u32_e32 v3, s46
	s_sub_i32 s48, 0, s46
	v_rcp_iflag_f32_e32 v3, v3
	v_mul_f32_e32 v3, 0x4f7ffffe, v3
	v_cvt_u32_f32_e32 v3, v3
	v_mul_lo_u32 v12, s48, v3
	v_mul_hi_u32 v12, v3, v12
	v_add_u32_e32 v3, v3, v12
	v_mul_hi_u32 v3, v10, v3
	v_mul_lo_u32 v12, v3, s46
	v_add_u32_e32 v13, 1, v3
	v_sub_u32_e32 v12, v10, v12
	v_subrev_u32_e32 v14, s46, v12
	v_cmp_le_u32_e32 vcc, s46, v12
	v_cndmask_b32_e32 v12, v12, v14, vcc
	v_cndmask_b32_e32 v3, v3, v13, vcc
	v_add_u32_e32 v13, 1, v3
	v_cmp_le_u32_e32 vcc, s46, v12
	v_cndmask_b32_e32 v12, v3, v13, vcc
	v_mov_b32_e32 v13, v2
.LBB3_17:                               ;   in Loop: Header=BB3_3 Depth=1
	s_or_b64 exec, exec, s[0:1]
	v_mul_lo_u32 v3, v13, s46
	v_mul_lo_u32 v18, v12, s47
	v_mad_u64_u32 v[14:15], s[0:1], v12, s46, 0
	s_load_dwordx2 s[0:1], s[38:39], 0xd0
	s_load_dwordx2 s[46:47], s[40:41], 0xd0
	v_add3_u32 v3, v15, v18, v3
	v_sub_co_u32_e32 v10, vcc, v10, v14
	v_subb_co_u32_e32 v3, vcc, v11, v3, vcc
	s_waitcnt lgkmcnt(0)
	v_mul_lo_u32 v11, s0, v3
	v_mul_lo_u32 v14, s1, v10
	v_mad_u64_u32 v[8:9], s[0:1], s0, v10, v[8:9]
	v_mul_lo_u32 v3, s46, v3
	v_mul_lo_u32 v15, s47, v10
	v_mad_u64_u32 v[6:7], s[0:1], s46, v10, v[6:7]
	v_add3_u32 v9, v14, v9, v11
	v_mov_b32_e32 v10, v12
	v_add3_u32 v7, v15, v7, v3
	v_mov_b32_e32 v11, v13
	s_mov_b64 s[0:1], s[42:43]
	s_andn2_b64 vcc, exec, s[44:45]
	s_cbranch_vccz .LBB3_19
	s_branch .LBB3_29
.LBB3_18:                               ;   in Loop: Header=BB3_3 Depth=1
	s_mov_b64 s[0:1], s[24:25]
	s_andn2_b64 vcc, exec, s[44:45]
	s_cbranch_vccnz .LBB3_29
.LBB3_19:                               ;   in Loop: Header=BB3_3 Depth=1
	s_lshl_b64 s[48:49], s[0:1], 3
	s_add_u32 s46, s69, s48
	s_addc_u32 s47, s70, s49
	s_add_u32 s48, s66, s48
	s_addc_u32 s49, s67, s49
	;; [unrolled: 2-line block ×3, first 2 shown]
	s_branch .LBB3_21
.LBB3_20:                               ;   in Loop: Header=BB3_21 Depth=2
	s_or_b64 exec, exec, s[0:1]
	v_mul_lo_u32 v3, v13, s52
	v_mul_lo_u32 v20, v12, s53
	v_mad_u64_u32 v[18:19], s[0:1], v12, s52, 0
	v_mul_lo_u32 v21, v15, s54
	v_mul_lo_u32 v22, v14, s55
	v_add3_u32 v3, v19, v20, v3
	v_sub_co_u32_e32 v10, vcc, v10, v18
	v_subb_co_u32_e32 v3, vcc, v11, v3, vcc
	v_mul_lo_u32 v18, s58, v3
	v_mul_lo_u32 v19, s59, v10
	v_mad_u64_u32 v[8:9], s[0:1], s58, v10, v[8:9]
	v_mul_lo_u32 v3, s56, v3
	v_mul_lo_u32 v20, s57, v10
	v_mad_u64_u32 v[6:7], s[0:1], s56, v10, v[6:7]
	v_mad_u64_u32 v[10:11], s[0:1], v14, s54, 0
	s_load_dwordx2 s[0:1], s[48:49], 0xc8
	s_load_dwordx2 s[52:53], s[46:47], 0x0
	v_add3_u32 v7, v20, v7, v3
	v_add3_u32 v3, v11, v22, v21
	v_sub_co_u32_e32 v10, vcc, v12, v10
	v_add3_u32 v9, v19, v9, v18
	v_subb_co_u32_e32 v3, vcc, v13, v3, vcc
	s_add_u32 s46, s46, -16
	s_waitcnt lgkmcnt(0)
	v_mad_u64_u32 v[8:9], s[54:55], s0, v10, v[8:9]
	v_mul_lo_u32 v11, s0, v3
	v_mul_lo_u32 v12, s1, v10
	v_mad_u64_u32 v[6:7], s[0:1], s52, v10, v[6:7]
	v_mul_lo_u32 v3, s52, v3
	v_mul_lo_u32 v10, s53, v10
	s_addc_u32 s47, s47, -1
	s_add_u32 s48, s48, -16
	s_addc_u32 s49, s49, -1
	s_add_u32 s50, s50, -2
	v_add3_u32 v9, v12, v9, v11
	v_add3_u32 v7, v10, v7, v3
	s_addc_u32 s51, s51, -1
	v_mov_b32_e32 v10, v14
	s_cmp_eq_u64 s[50:51], 0
	v_mov_b32_e32 v11, v15
	s_cbranch_scc1 .LBB3_29
.LBB3_21:                               ;   Parent Loop BB3_3 Depth=1
                                        ; =>  This Inner Loop Header: Depth=2
	s_load_dwordx2 s[52:53], s[48:49], 0x8
                                        ; implicit-def: $vgpr12_vgpr13
	s_waitcnt lgkmcnt(0)
	v_or_b32_e32 v3, s53, v11
	v_cmp_ne_u64_e32 vcc, 0, v[2:3]
	s_and_saveexec_b64 s[0:1], vcc
	s_xor_b64 s[54:55], exec, s[0:1]
	s_cbranch_execz .LBB3_23
; %bb.22:                               ;   in Loop: Header=BB3_21 Depth=2
	s_ashr_i32 s56, s53, 31
	s_add_u32 s0, s52, s56
	s_mov_b32 s57, s56
	s_addc_u32 s1, s53, s56
	s_xor_b64 s[58:59], s[0:1], s[56:57]
	v_cvt_f32_u32_e32 v3, s58
	v_cvt_f32_u32_e32 v12, s59
	s_sub_u32 s57, 0, s58
	s_subb_u32 s60, 0, s59
	v_mac_f32_e32 v3, 0x4f800000, v12
	v_rcp_f32_e32 v3, v3
	v_mul_f32_e32 v3, 0x5f7ffffc, v3
	v_mul_f32_e32 v12, 0x2f800000, v3
	v_trunc_f32_e32 v12, v12
	v_mac_f32_e32 v3, 0xcf800000, v12
	v_cvt_u32_f32_e32 v12, v12
	v_cvt_u32_f32_e32 v3, v3
	v_readfirstlane_b32 s61, v12
	v_readfirstlane_b32 s0, v3
	s_mul_i32 s1, s57, s61
	s_mul_hi_u32 s63, s57, s0
	s_mul_i32 s62, s60, s0
	s_add_i32 s1, s63, s1
	s_add_i32 s1, s1, s62
	s_mul_i32 s64, s57, s0
	s_mul_i32 s63, s0, s1
	s_mul_hi_u32 s65, s0, s64
	s_mul_hi_u32 s62, s0, s1
	s_add_u32 s63, s65, s63
	s_addc_u32 s62, 0, s62
	s_mul_hi_u32 s71, s61, s64
	s_mul_i32 s64, s61, s64
	s_add_u32 s63, s63, s64
	s_mul_hi_u32 s65, s61, s1
	s_addc_u32 s62, s62, s71
	s_addc_u32 s63, s65, 0
	s_mul_i32 s1, s61, s1
	s_add_u32 s1, s62, s1
	s_addc_u32 s62, 0, s63
	s_add_u32 s63, s0, s1
	s_cselect_b64 s[0:1], -1, 0
	s_cmp_lg_u64 s[0:1], 0
	s_addc_u32 s61, s61, s62
	s_mul_i32 s0, s57, s61
	s_mul_hi_u32 s1, s57, s63
	s_add_i32 s0, s1, s0
	s_mul_i32 s60, s60, s63
	s_add_i32 s0, s0, s60
	s_mul_i32 s57, s57, s63
	s_mul_hi_u32 s60, s61, s57
	s_mul_i32 s62, s61, s57
	s_mul_i32 s65, s63, s0
	s_mul_hi_u32 s57, s63, s57
	s_mul_hi_u32 s64, s63, s0
	s_add_u32 s57, s57, s65
	s_addc_u32 s64, 0, s64
	s_add_u32 s57, s57, s62
	s_mul_hi_u32 s1, s61, s0
	s_addc_u32 s57, s64, s60
	s_addc_u32 s1, s1, 0
	s_mul_i32 s0, s61, s0
	s_add_u32 s0, s57, s0
	s_addc_u32 s57, 0, s1
	s_add_u32 s60, s63, s0
	s_cselect_b64 s[0:1], -1, 0
	v_ashrrev_i32_e32 v3, 31, v11
	s_cmp_lg_u64 s[0:1], 0
	v_add_co_u32_e32 v12, vcc, v10, v3
	s_addc_u32 s57, s61, s57
	v_xor_b32_e32 v18, v12, v3
	v_mad_u64_u32 v[12:13], s[0:1], v18, s57, 0
	v_mul_hi_u32 v15, v18, s60
	v_addc_co_u32_e32 v14, vcc, v11, v3, vcc
	v_xor_b32_e32 v19, v14, v3
	v_add_co_u32_e32 v20, vcc, v15, v12
	v_addc_co_u32_e32 v21, vcc, 0, v13, vcc
	v_mad_u64_u32 v[12:13], s[0:1], v19, s60, 0
	v_mad_u64_u32 v[14:15], s[0:1], v19, s57, 0
	v_add_co_u32_e32 v12, vcc, v20, v12
	v_addc_co_u32_e32 v12, vcc, v21, v13, vcc
	v_addc_co_u32_e32 v13, vcc, 0, v15, vcc
	v_add_co_u32_e32 v14, vcc, v12, v14
	v_addc_co_u32_e32 v15, vcc, 0, v13, vcc
	v_mul_lo_u32 v20, s59, v14
	v_mul_lo_u32 v21, s58, v15
	v_mad_u64_u32 v[12:13], s[0:1], s58, v14, 0
	v_xor_b32_e32 v3, s56, v3
	v_add3_u32 v13, v13, v21, v20
	v_sub_u32_e32 v20, v19, v13
	v_mov_b32_e32 v21, s59
	v_sub_co_u32_e32 v12, vcc, v18, v12
	v_subb_co_u32_e64 v18, s[0:1], v20, v21, vcc
	v_subrev_co_u32_e64 v20, s[0:1], s58, v12
	v_subbrev_co_u32_e64 v18, s[0:1], 0, v18, s[0:1]
	v_cmp_le_u32_e64 s[0:1], s59, v18
	v_cndmask_b32_e64 v21, 0, -1, s[0:1]
	v_cmp_le_u32_e64 s[0:1], s58, v20
	v_cndmask_b32_e64 v20, 0, -1, s[0:1]
	v_cmp_eq_u32_e64 s[0:1], s59, v18
	v_cndmask_b32_e64 v18, v21, v20, s[0:1]
	v_add_co_u32_e64 v20, s[0:1], 2, v14
	v_subb_co_u32_e32 v13, vcc, v19, v13, vcc
	v_addc_co_u32_e64 v21, s[0:1], 0, v15, s[0:1]
	v_cmp_le_u32_e32 vcc, s59, v13
	v_add_co_u32_e64 v22, s[0:1], 1, v14
	v_cndmask_b32_e64 v19, 0, -1, vcc
	v_cmp_le_u32_e32 vcc, s58, v12
	v_addc_co_u32_e64 v23, s[0:1], 0, v15, s[0:1]
	v_cndmask_b32_e64 v12, 0, -1, vcc
	v_cmp_eq_u32_e32 vcc, s59, v13
	v_cmp_ne_u32_e64 s[0:1], 0, v18
	v_cndmask_b32_e32 v12, v19, v12, vcc
	v_cndmask_b32_e64 v18, v23, v21, s[0:1]
	v_cmp_ne_u32_e32 vcc, 0, v12
	v_cndmask_b32_e64 v13, v22, v20, s[0:1]
	v_cndmask_b32_e32 v12, v15, v18, vcc
	v_cndmask_b32_e32 v13, v14, v13, vcc
	v_xor_b32_e32 v14, v12, v3
	v_xor_b32_e32 v12, v13, v3
	v_sub_co_u32_e32 v12, vcc, v12, v3
	v_subb_co_u32_e32 v13, vcc, v14, v3, vcc
.LBB3_23:                               ;   in Loop: Header=BB3_21 Depth=2
	s_andn2_saveexec_b64 s[0:1], s[54:55]
	s_cbranch_execz .LBB3_25
; %bb.24:                               ;   in Loop: Header=BB3_21 Depth=2
	v_cvt_f32_u32_e32 v3, s52
	s_sub_i32 s54, 0, s52
	v_rcp_iflag_f32_e32 v3, v3
	v_mul_f32_e32 v3, 0x4f7ffffe, v3
	v_cvt_u32_f32_e32 v3, v3
	v_mul_lo_u32 v12, s54, v3
	v_mul_hi_u32 v12, v3, v12
	v_add_u32_e32 v3, v3, v12
	v_mul_hi_u32 v3, v10, v3
	v_mul_lo_u32 v12, v3, s52
	v_add_u32_e32 v13, 1, v3
	v_sub_u32_e32 v12, v10, v12
	v_subrev_u32_e32 v14, s52, v12
	v_cmp_le_u32_e32 vcc, s52, v12
	v_cndmask_b32_e32 v12, v12, v14, vcc
	v_cndmask_b32_e32 v3, v3, v13, vcc
	v_add_u32_e32 v13, 1, v3
	v_cmp_le_u32_e32 vcc, s52, v12
	v_cndmask_b32_e32 v12, v3, v13, vcc
	v_mov_b32_e32 v13, v2
.LBB3_25:                               ;   in Loop: Header=BB3_21 Depth=2
	s_or_b64 exec, exec, s[0:1]
	s_load_dwordx2 s[54:55], s[48:49], 0x0
	s_load_dwordx2 s[58:59], s[48:49], 0xd0
	s_load_dwordx2 s[56:57], s[46:47], 0x8
                                        ; implicit-def: $vgpr14_vgpr15
	s_waitcnt lgkmcnt(0)
	v_or_b32_e32 v3, s55, v13
	v_cmp_ne_u64_e32 vcc, 0, v[2:3]
	s_and_saveexec_b64 s[0:1], vcc
	s_xor_b64 s[60:61], exec, s[0:1]
	s_cbranch_execz .LBB3_27
; %bb.26:                               ;   in Loop: Header=BB3_21 Depth=2
	s_ashr_i32 s62, s55, 31
	s_add_u32 s0, s54, s62
	s_mov_b32 s63, s62
	s_addc_u32 s1, s55, s62
	s_xor_b64 s[64:65], s[0:1], s[62:63]
	v_cvt_f32_u32_e32 v3, s64
	v_cvt_f32_u32_e32 v14, s65
	s_sub_u32 s63, 0, s64
	s_subb_u32 s71, 0, s65
	v_mac_f32_e32 v3, 0x4f800000, v14
	v_rcp_f32_e32 v3, v3
	v_mul_f32_e32 v3, 0x5f7ffffc, v3
	v_mul_f32_e32 v14, 0x2f800000, v3
	v_trunc_f32_e32 v14, v14
	v_mac_f32_e32 v3, 0xcf800000, v14
	v_cvt_u32_f32_e32 v14, v14
	v_cvt_u32_f32_e32 v3, v3
	v_readfirstlane_b32 s72, v14
	v_readfirstlane_b32 s0, v3
	s_mul_i32 s1, s63, s72
	s_mul_hi_u32 s74, s63, s0
	s_mul_i32 s73, s71, s0
	s_add_i32 s1, s74, s1
	s_add_i32 s1, s1, s73
	s_mul_i32 s75, s63, s0
	s_mul_i32 s74, s0, s1
	s_mul_hi_u32 s76, s0, s75
	s_mul_hi_u32 s73, s0, s1
	s_add_u32 s74, s76, s74
	s_addc_u32 s73, 0, s73
	s_mul_hi_u32 s77, s72, s75
	s_mul_i32 s75, s72, s75
	s_add_u32 s74, s74, s75
	s_mul_hi_u32 s76, s72, s1
	s_addc_u32 s73, s73, s77
	s_addc_u32 s74, s76, 0
	s_mul_i32 s1, s72, s1
	s_add_u32 s1, s73, s1
	s_addc_u32 s73, 0, s74
	s_add_u32 s74, s0, s1
	s_cselect_b64 s[0:1], -1, 0
	s_cmp_lg_u64 s[0:1], 0
	s_addc_u32 s72, s72, s73
	s_mul_i32 s0, s63, s72
	s_mul_hi_u32 s1, s63, s74
	s_add_i32 s0, s1, s0
	s_mul_i32 s71, s71, s74
	s_add_i32 s0, s0, s71
	s_mul_i32 s63, s63, s74
	s_mul_hi_u32 s71, s72, s63
	s_mul_i32 s73, s72, s63
	s_mul_i32 s76, s74, s0
	s_mul_hi_u32 s63, s74, s63
	s_mul_hi_u32 s75, s74, s0
	s_add_u32 s63, s63, s76
	s_addc_u32 s75, 0, s75
	s_add_u32 s63, s63, s73
	s_mul_hi_u32 s1, s72, s0
	s_addc_u32 s63, s75, s71
	s_addc_u32 s1, s1, 0
	s_mul_i32 s0, s72, s0
	s_add_u32 s0, s63, s0
	s_addc_u32 s63, 0, s1
	s_add_u32 s71, s74, s0
	s_cselect_b64 s[0:1], -1, 0
	v_ashrrev_i32_e32 v3, 31, v13
	s_cmp_lg_u64 s[0:1], 0
	v_add_co_u32_e32 v14, vcc, v12, v3
	s_addc_u32 s63, s72, s63
	v_xor_b32_e32 v20, v14, v3
	v_mad_u64_u32 v[14:15], s[0:1], v20, s63, 0
	v_mul_hi_u32 v19, v20, s71
	v_addc_co_u32_e32 v18, vcc, v13, v3, vcc
	v_xor_b32_e32 v21, v18, v3
	v_add_co_u32_e32 v22, vcc, v19, v14
	v_addc_co_u32_e32 v23, vcc, 0, v15, vcc
	v_mad_u64_u32 v[14:15], s[0:1], v21, s71, 0
	v_mad_u64_u32 v[18:19], s[0:1], v21, s63, 0
	v_add_co_u32_e32 v14, vcc, v22, v14
	v_addc_co_u32_e32 v14, vcc, v23, v15, vcc
	v_addc_co_u32_e32 v15, vcc, 0, v19, vcc
	v_add_co_u32_e32 v18, vcc, v14, v18
	v_addc_co_u32_e32 v19, vcc, 0, v15, vcc
	v_mul_lo_u32 v22, s65, v18
	v_mul_lo_u32 v23, s64, v19
	v_mad_u64_u32 v[14:15], s[0:1], s64, v18, 0
	v_xor_b32_e32 v3, s62, v3
	v_add3_u32 v15, v15, v23, v22
	v_sub_u32_e32 v22, v21, v15
	v_mov_b32_e32 v23, s65
	v_sub_co_u32_e32 v14, vcc, v20, v14
	v_subb_co_u32_e64 v20, s[0:1], v22, v23, vcc
	v_subrev_co_u32_e64 v22, s[0:1], s64, v14
	v_subbrev_co_u32_e64 v20, s[0:1], 0, v20, s[0:1]
	v_cmp_le_u32_e64 s[0:1], s65, v20
	v_cndmask_b32_e64 v23, 0, -1, s[0:1]
	v_cmp_le_u32_e64 s[0:1], s64, v22
	v_cndmask_b32_e64 v22, 0, -1, s[0:1]
	v_cmp_eq_u32_e64 s[0:1], s65, v20
	v_cndmask_b32_e64 v20, v23, v22, s[0:1]
	v_add_co_u32_e64 v22, s[0:1], 2, v18
	v_subb_co_u32_e32 v15, vcc, v21, v15, vcc
	v_addc_co_u32_e64 v23, s[0:1], 0, v19, s[0:1]
	v_cmp_le_u32_e32 vcc, s65, v15
	v_add_co_u32_e64 v24, s[0:1], 1, v18
	v_cndmask_b32_e64 v21, 0, -1, vcc
	v_cmp_le_u32_e32 vcc, s64, v14
	v_addc_co_u32_e64 v25, s[0:1], 0, v19, s[0:1]
	v_cndmask_b32_e64 v14, 0, -1, vcc
	v_cmp_eq_u32_e32 vcc, s65, v15
	v_cmp_ne_u32_e64 s[0:1], 0, v20
	v_cndmask_b32_e32 v14, v21, v14, vcc
	v_cndmask_b32_e64 v20, v25, v23, s[0:1]
	v_cmp_ne_u32_e32 vcc, 0, v14
	v_cndmask_b32_e64 v15, v24, v22, s[0:1]
	v_cndmask_b32_e32 v14, v19, v20, vcc
	v_cndmask_b32_e32 v15, v18, v15, vcc
	v_xor_b32_e32 v18, v14, v3
	v_xor_b32_e32 v14, v15, v3
	v_sub_co_u32_e32 v14, vcc, v14, v3
	v_subb_co_u32_e32 v15, vcc, v18, v3, vcc
.LBB3_27:                               ;   in Loop: Header=BB3_21 Depth=2
	s_andn2_saveexec_b64 s[0:1], s[60:61]
	s_cbranch_execz .LBB3_20
; %bb.28:                               ;   in Loop: Header=BB3_21 Depth=2
	v_cvt_f32_u32_e32 v3, s54
	s_sub_i32 s60, 0, s54
	v_rcp_iflag_f32_e32 v3, v3
	v_mul_f32_e32 v3, 0x4f7ffffe, v3
	v_cvt_u32_f32_e32 v3, v3
	v_mul_lo_u32 v14, s60, v3
	v_mul_hi_u32 v14, v3, v14
	v_add_u32_e32 v3, v3, v14
	v_mul_hi_u32 v3, v12, v3
	v_mul_lo_u32 v14, v3, s54
	v_add_u32_e32 v15, 1, v3
	v_sub_u32_e32 v14, v12, v14
	v_subrev_u32_e32 v18, s54, v14
	v_cmp_le_u32_e32 vcc, s54, v14
	v_cndmask_b32_e32 v14, v14, v18, vcc
	v_cndmask_b32_e32 v3, v3, v15, vcc
	v_add_u32_e32 v15, 1, v3
	v_cmp_le_u32_e32 vcc, s54, v14
	v_cndmask_b32_e32 v14, v3, v15, vcc
	v_mov_b32_e32 v15, v2
	s_branch .LBB3_20
.LBB3_29:                               ;   in Loop: Header=BB3_3 Depth=1
	v_sub_co_u32_e32 v10, vcc, v4, v16
	v_subb_co_u32_e32 v11, vcc, v5, v17, vcc
	v_cmp_ge_i64_e32 vcc, s[8:9], v[10:11]
	v_mov_b32_e32 v3, 0
	s_and_saveexec_b64 s[46:47], vcc
	s_cbranch_execz .LBB3_39
; %bb.30:                               ;   in Loop: Header=BB3_3 Depth=1
	v_cmp_gt_i64_e32 vcc, s[14:15], v[4:5]
	v_mov_b32_e32 v3, 0
	s_and_saveexec_b64 s[0:1], vcc
	s_cbranch_execz .LBB3_38
; %bb.31:                               ;   in Loop: Header=BB3_3 Depth=1
	v_mov_b32_e32 v3, s3
	v_add_co_u32_e32 v8, vcc, s2, v8
	v_addc_co_u32_e32 v9, vcc, v3, v9, vcc
	global_load_ubyte v3, v[8:9], off
	v_add_co_u32_e32 v12, vcc, 1, v4
	v_addc_co_u32_e32 v13, vcc, 0, v5, vcc
	v_cmp_gt_i64_e32 vcc, s[14:15], v[12:13]
	s_and_saveexec_b64 s[48:49], vcc
	s_xor_b64 s[48:49], exec, s[48:49]
	s_cbranch_execz .LBB3_37
; %bb.32:                               ;   in Loop: Header=BB3_3 Depth=1
	v_mov_b32_e32 v12, s19
	v_add_co_u32_e32 v8, vcc, s18, v8
	v_addc_co_u32_e32 v9, vcc, v9, v12, vcc
	global_load_ubyte v14, v[8:9], off
	v_add_co_u32_e32 v12, vcc, 2, v4
	v_addc_co_u32_e32 v13, vcc, 0, v5, vcc
	v_cmp_gt_i64_e32 vcc, s[14:15], v[12:13]
	s_waitcnt vmcnt(0)
	v_lshlrev_b16_e32 v14, 8, v14
	v_or_b32_e32 v3, v3, v14
	v_and_b32_e32 v3, 0xffff, v3
	s_and_saveexec_b64 s[50:51], vcc
	s_xor_b64 s[50:51], exec, s[50:51]
	s_cbranch_execz .LBB3_36
; %bb.33:                               ;   in Loop: Header=BB3_3 Depth=1
	v_mov_b32_e32 v12, s19
	v_add_co_u32_e32 v8, vcc, s18, v8
	v_addc_co_u32_e32 v9, vcc, v9, v12, vcc
	global_load_ubyte v14, v[8:9], off
	v_add_co_u32_e32 v12, vcc, 3, v4
	v_addc_co_u32_e32 v13, vcc, 0, v5, vcc
	v_cmp_gt_i64_e32 vcc, s[14:15], v[12:13]
	s_waitcnt vmcnt(0)
	v_lshl_or_b32 v3, v14, 16, v3
	s_and_saveexec_b64 s[52:53], vcc
	s_xor_b64 s[52:53], exec, s[52:53]
	s_cbranch_execz .LBB3_35
; %bb.34:                               ;   in Loop: Header=BB3_3 Depth=1
	v_mov_b32_e32 v12, s19
	v_add_co_u32_e32 v8, vcc, s18, v8
	v_addc_co_u32_e32 v9, vcc, v9, v12, vcc
	global_load_ubyte v8, v[8:9], off
	s_waitcnt vmcnt(0)
	v_lshlrev_b16_e32 v8, 8, v8
	v_or_b32_sdwa v8, v3, v8 dst_sel:WORD_1 dst_unused:UNUSED_PAD src0_sel:WORD_1 src1_sel:DWORD
	v_and_or_b32 v3, v3, s33, v8
.LBB3_35:                               ;   in Loop: Header=BB3_3 Depth=1
	s_or_b64 exec, exec, s[52:53]
.LBB3_36:                               ;   in Loop: Header=BB3_3 Depth=1
	s_or_b64 exec, exec, s[50:51]
.LBB3_37:                               ;   in Loop: Header=BB3_3 Depth=1
	s_or_b64 exec, exec, s[48:49]
.LBB3_38:                               ;   in Loop: Header=BB3_3 Depth=1
	s_or_b64 exec, exec, s[0:1]
	v_add_co_u32_e32 v8, vcc, 1, v10
	v_addc_co_u32_e32 v9, vcc, 0, v11, vcc
	v_cmp_ge_i64_e32 vcc, s[8:9], v[8:9]
	s_waitcnt vmcnt(0)
	v_lshrrev_b32_e32 v8, 8, v3
	v_cndmask_b32_sdwa v8, v2, v8, vcc dst_sel:BYTE_1 dst_unused:UNUSED_PAD src0_sel:DWORD src1_sel:DWORD
	v_or_b32_sdwa v12, v3, v8 dst_sel:DWORD dst_unused:UNUSED_PAD src0_sel:BYTE_0 src1_sel:DWORD
	v_add_co_u32_e32 v8, vcc, 2, v10
	v_addc_co_u32_e32 v9, vcc, 0, v11, vcc
	v_add_co_u32_e32 v10, vcc, 3, v10
	v_addc_co_u32_e32 v11, vcc, 0, v11, vcc
	v_cmp_ge_i64_e32 vcc, s[34:35], v[10:11]
	v_cmp_ge_i64_e64 s[0:1], s[30:31], v[8:9]
	v_cndmask_b32_sdwa v8, v2, v3, vcc dst_sel:BYTE_1 dst_unused:UNUSED_PAD src0_sel:DWORD src1_sel:BYTE_3
	s_mov_b64 vcc, s[0:1]
	v_cndmask_b32_sdwa v3, v2, v3, vcc dst_sel:DWORD dst_unused:UNUSED_PAD src0_sel:DWORD src1_sel:WORD_1
	v_or_b32_sdwa v3, v3, v8 dst_sel:WORD_1 dst_unused:UNUSED_PAD src0_sel:BYTE_0 src1_sel:DWORD
	v_or_b32_sdwa v3, v12, v3 dst_sel:DWORD dst_unused:UNUSED_PAD src0_sel:WORD_0 src1_sel:DWORD
.LBB3_39:                               ;   in Loop: Header=BB3_3 Depth=1
	s_or_b64 exec, exec, s[46:47]
	v_cmp_gt_i64_e32 vcc, s[14:15], v[4:5]
	s_and_saveexec_b64 s[0:1], vcc
	s_cbranch_execz .LBB3_2
; %bb.40:                               ;   in Loop: Header=BB3_3 Depth=1
	v_mov_b32_e32 v8, s29
	v_add_co_u32_e32 v6, vcc, s28, v6
	v_addc_co_u32_e32 v7, vcc, v8, v7, vcc
	v_add_co_u32_e32 v8, vcc, 1, v4
	v_addc_co_u32_e32 v9, vcc, 0, v5, vcc
	v_cmp_gt_i64_e32 vcc, s[14:15], v[8:9]
	global_store_byte v[6:7], v3, off
	s_and_saveexec_b64 s[46:47], vcc
	s_xor_b64 s[46:47], exec, s[46:47]
	s_cbranch_execz .LBB3_2
; %bb.41:                               ;   in Loop: Header=BB3_3 Depth=1
	v_mov_b32_e32 v8, s23
	v_add_co_u32_e32 v6, vcc, s22, v6
	v_addc_co_u32_e32 v7, vcc, v7, v8, vcc
	v_add_co_u32_e32 v8, vcc, 2, v4
	v_addc_co_u32_e32 v9, vcc, 0, v5, vcc
	v_cmp_gt_i64_e32 vcc, s[14:15], v[8:9]
	v_lshrrev_b32_e32 v10, 8, v3
	global_store_byte v[6:7], v10, off
	s_and_saveexec_b64 s[46:47], vcc
	s_xor_b64 s[46:47], exec, s[46:47]
	s_cbranch_execz .LBB3_2
; %bb.42:                               ;   in Loop: Header=BB3_3 Depth=1
	v_mov_b32_e32 v8, s23
	v_add_co_u32_e32 v6, vcc, s22, v6
	v_addc_co_u32_e32 v7, vcc, v7, v8, vcc
	v_add_co_u32_e32 v4, vcc, 3, v4
	v_addc_co_u32_e32 v5, vcc, 0, v5, vcc
	v_cmp_gt_i64_e32 vcc, s[14:15], v[4:5]
	global_store_byte_d16_hi v[6:7], v3, off
	s_and_saveexec_b64 s[46:47], vcc
	s_xor_b64 s[46:47], exec, s[46:47]
	s_cbranch_execz .LBB3_2
; %bb.43:                               ;   in Loop: Header=BB3_3 Depth=1
	v_lshrrev_b32_e32 v5, 24, v3
	v_mov_b32_e32 v4, s23
	v_add_co_u32_e32 v3, vcc, s22, v6
	v_addc_co_u32_e32 v4, vcc, v7, v4, vcc
	global_store_byte v[3:4], v5, off
	s_branch .LBB3_2
.LBB3_44:
	s_endpgm
	.section	.rodata,"a",@progbits
	.p2align	6, 0x0
	.amdhsa_kernel _ZN2at6native16triu_tril_kernelIhlLb0ELi4ELb0EEEvNS_4cuda6detail10TensorInfoIT_T0_EENS4_IKS5_S6_EEllS6_
		.amdhsa_group_segment_fixed_size 0
		.amdhsa_private_segment_fixed_size 0
		.amdhsa_kernarg_size 1112
		.amdhsa_user_sgpr_count 6
		.amdhsa_user_sgpr_private_segment_buffer 1
		.amdhsa_user_sgpr_dispatch_ptr 0
		.amdhsa_user_sgpr_queue_ptr 0
		.amdhsa_user_sgpr_kernarg_segment_ptr 1
		.amdhsa_user_sgpr_dispatch_id 0
		.amdhsa_user_sgpr_flat_scratch_init 0
		.amdhsa_user_sgpr_private_segment_size 0
		.amdhsa_uses_dynamic_stack 0
		.amdhsa_system_sgpr_private_segment_wavefront_offset 0
		.amdhsa_system_sgpr_workgroup_id_x 1
		.amdhsa_system_sgpr_workgroup_id_y 0
		.amdhsa_system_sgpr_workgroup_id_z 0
		.amdhsa_system_sgpr_workgroup_info 0
		.amdhsa_system_vgpr_workitem_id 0
		.amdhsa_next_free_vgpr 26
		.amdhsa_next_free_sgpr 78
		.amdhsa_reserve_vcc 1
		.amdhsa_reserve_flat_scratch 0
		.amdhsa_float_round_mode_32 0
		.amdhsa_float_round_mode_16_64 0
		.amdhsa_float_denorm_mode_32 3
		.amdhsa_float_denorm_mode_16_64 3
		.amdhsa_dx10_clamp 1
		.amdhsa_ieee_mode 1
		.amdhsa_fp16_overflow 0
		.amdhsa_exception_fp_ieee_invalid_op 0
		.amdhsa_exception_fp_denorm_src 0
		.amdhsa_exception_fp_ieee_div_zero 0
		.amdhsa_exception_fp_ieee_overflow 0
		.amdhsa_exception_fp_ieee_underflow 0
		.amdhsa_exception_fp_ieee_inexact 0
		.amdhsa_exception_int_div_zero 0
	.end_amdhsa_kernel
	.section	.text._ZN2at6native16triu_tril_kernelIhlLb0ELi4ELb0EEEvNS_4cuda6detail10TensorInfoIT_T0_EENS4_IKS5_S6_EEllS6_,"axG",@progbits,_ZN2at6native16triu_tril_kernelIhlLb0ELi4ELb0EEEvNS_4cuda6detail10TensorInfoIT_T0_EENS4_IKS5_S6_EEllS6_,comdat
.Lfunc_end3:
	.size	_ZN2at6native16triu_tril_kernelIhlLb0ELi4ELb0EEEvNS_4cuda6detail10TensorInfoIT_T0_EENS4_IKS5_S6_EEllS6_, .Lfunc_end3-_ZN2at6native16triu_tril_kernelIhlLb0ELi4ELb0EEEvNS_4cuda6detail10TensorInfoIT_T0_EENS4_IKS5_S6_EEllS6_
                                        ; -- End function
	.set _ZN2at6native16triu_tril_kernelIhlLb0ELi4ELb0EEEvNS_4cuda6detail10TensorInfoIT_T0_EENS4_IKS5_S6_EEllS6_.num_vgpr, 26
	.set _ZN2at6native16triu_tril_kernelIhlLb0ELi4ELb0EEEvNS_4cuda6detail10TensorInfoIT_T0_EENS4_IKS5_S6_EEllS6_.num_agpr, 0
	.set _ZN2at6native16triu_tril_kernelIhlLb0ELi4ELb0EEEvNS_4cuda6detail10TensorInfoIT_T0_EENS4_IKS5_S6_EEllS6_.numbered_sgpr, 78
	.set _ZN2at6native16triu_tril_kernelIhlLb0ELi4ELb0EEEvNS_4cuda6detail10TensorInfoIT_T0_EENS4_IKS5_S6_EEllS6_.num_named_barrier, 0
	.set _ZN2at6native16triu_tril_kernelIhlLb0ELi4ELb0EEEvNS_4cuda6detail10TensorInfoIT_T0_EENS4_IKS5_S6_EEllS6_.private_seg_size, 0
	.set _ZN2at6native16triu_tril_kernelIhlLb0ELi4ELb0EEEvNS_4cuda6detail10TensorInfoIT_T0_EENS4_IKS5_S6_EEllS6_.uses_vcc, 1
	.set _ZN2at6native16triu_tril_kernelIhlLb0ELi4ELb0EEEvNS_4cuda6detail10TensorInfoIT_T0_EENS4_IKS5_S6_EEllS6_.uses_flat_scratch, 0
	.set _ZN2at6native16triu_tril_kernelIhlLb0ELi4ELb0EEEvNS_4cuda6detail10TensorInfoIT_T0_EENS4_IKS5_S6_EEllS6_.has_dyn_sized_stack, 0
	.set _ZN2at6native16triu_tril_kernelIhlLb0ELi4ELb0EEEvNS_4cuda6detail10TensorInfoIT_T0_EENS4_IKS5_S6_EEllS6_.has_recursion, 0
	.set _ZN2at6native16triu_tril_kernelIhlLb0ELi4ELb0EEEvNS_4cuda6detail10TensorInfoIT_T0_EENS4_IKS5_S6_EEllS6_.has_indirect_call, 0
	.section	.AMDGPU.csdata,"",@progbits
; Kernel info:
; codeLenInByte = 5304
; TotalNumSgprs: 82
; NumVgprs: 26
; ScratchSize: 0
; MemoryBound: 0
; FloatMode: 240
; IeeeMode: 1
; LDSByteSize: 0 bytes/workgroup (compile time only)
; SGPRBlocks: 10
; VGPRBlocks: 6
; NumSGPRsForWavesPerEU: 82
; NumVGPRsForWavesPerEU: 26
; Occupancy: 9
; WaveLimiterHint : 0
; COMPUTE_PGM_RSRC2:SCRATCH_EN: 0
; COMPUTE_PGM_RSRC2:USER_SGPR: 6
; COMPUTE_PGM_RSRC2:TRAP_HANDLER: 0
; COMPUTE_PGM_RSRC2:TGID_X_EN: 1
; COMPUTE_PGM_RSRC2:TGID_Y_EN: 0
; COMPUTE_PGM_RSRC2:TGID_Z_EN: 0
; COMPUTE_PGM_RSRC2:TIDIG_COMP_CNT: 0
	.section	.text._ZN2at6native16triu_tril_kernelIaiLb0ELi4ELb1EEEvNS_4cuda6detail10TensorInfoIT_T0_EENS4_IKS5_S6_EEllS6_,"axG",@progbits,_ZN2at6native16triu_tril_kernelIaiLb0ELi4ELb1EEEvNS_4cuda6detail10TensorInfoIT_T0_EENS4_IKS5_S6_EEllS6_,comdat
	.protected	_ZN2at6native16triu_tril_kernelIaiLb0ELi4ELb1EEEvNS_4cuda6detail10TensorInfoIT_T0_EENS4_IKS5_S6_EEllS6_ ; -- Begin function _ZN2at6native16triu_tril_kernelIaiLb0ELi4ELb1EEEvNS_4cuda6detail10TensorInfoIT_T0_EENS4_IKS5_S6_EEllS6_
	.globl	_ZN2at6native16triu_tril_kernelIaiLb0ELi4ELb1EEEvNS_4cuda6detail10TensorInfoIT_T0_EENS4_IKS5_S6_EEllS6_
	.p2align	8
	.type	_ZN2at6native16triu_tril_kernelIaiLb0ELi4ELb1EEEvNS_4cuda6detail10TensorInfoIT_T0_EENS4_IKS5_S6_EEllS6_,@function
_ZN2at6native16triu_tril_kernelIaiLb0ELi4ELb1EEEvNS_4cuda6detail10TensorInfoIT_T0_EENS4_IKS5_S6_EEllS6_: ; @_ZN2at6native16triu_tril_kernelIaiLb0ELi4ELb1EEEvNS_4cuda6detail10TensorInfoIT_T0_EENS4_IKS5_S6_EEllS6_
; %bb.0:
	s_load_dword s2, s[4:5], 0x1d4
	s_load_dwordx4 s[8:11], s[4:5], 0x1b0
	s_add_u32 s0, s4, 0x1c8
	v_mov_b32_e32 v2, 0
	s_addc_u32 s1, s5, 0
	s_waitcnt lgkmcnt(0)
	s_and_b32 s7, s2, 0xffff
	v_mov_b32_e32 v1, v2
	v_mov_b32_e32 v3, s6
	v_mad_u64_u32 v[0:1], s[2:3], s7, v3, v[0:1]
	v_lshlrev_b64 v[0:1], 2, v[0:1]
	v_cmp_gt_i64_e32 vcc, s[10:11], v[0:1]
	s_and_saveexec_b64 s[2:3], vcc
	s_cbranch_execz .LBB4_69
; %bb.1:
	s_load_dword s33, s[4:5], 0x1c0
	s_load_dword s16, s[4:5], 0x1a8
	s_add_u32 s42, s4, 0xd8
	s_addc_u32 s43, s5, 0
	s_load_dword s6, s[0:1], 0x0
	s_waitcnt lgkmcnt(0)
	s_ashr_i32 s44, s33, 31
	s_ashr_i32 s17, s16, 31
	s_lshl_b64 s[0:1], s[16:17], 2
	s_add_u32 s2, s42, s0
	s_addc_u32 s3, s43, s1
	s_load_dword s45, s[2:3], 0x0
	s_load_dwordx2 s[12:13], s[4:5], 0x0
	s_mul_i32 s18, s6, s7
	v_cmp_gt_i64_e64 s[6:7], s[16:17], 2
	s_mov_b32 s17, 0
	s_waitcnt lgkmcnt(0)
	s_ashr_i32 s46, s45, 31
	s_add_u32 s14, s4, s0
	s_addc_u32 s15, s5, s1
	s_add_i32 s0, s16, 6
	s_add_i32 s47, s16, -3
	s_lshl_b32 s48, s18, 2
	s_and_b32 s49, s0, 7
	s_and_b32 s0, s16, 7
	s_cmp_lg_u32 s0, 2
	s_cselect_b64 s[18:19], -1, 0
	s_cmp_gt_u32 s47, 6
	s_cselect_b64 s[20:21], -1, 0
	s_mov_b64 s[22:23], 0
	s_ashr_i32 s24, s44, 31
	s_branch .LBB4_3
.LBB4_2:                                ;   in Loop: Header=BB4_3 Depth=1
	s_or_b64 exec, exec, s[26:27]
	v_add_co_u32_e32 v0, vcc, s48, v0
	v_addc_co_u32_e32 v1, vcc, 0, v1, vcc
	v_cmp_le_i64_e32 vcc, s[10:11], v[0:1]
	s_or_b64 s[22:23], vcc, s[22:23]
	s_andn2_b64 exec, exec, s[22:23]
	s_cbranch_execz .LBB4_69
.LBB4_3:                                ; =>This Loop Header: Depth=1
                                        ;     Child Loop BB4_14 Depth 2
                                        ;     Child Loop BB4_23 Depth 2
	v_or_b32_e32 v3, s44, v1
	v_cmp_ne_u64_e32 vcc, 0, v[2:3]
                                        ; implicit-def: $vgpr4_vgpr5
	s_and_saveexec_b64 s[0:1], vcc
	s_xor_b64 s[26:27], exec, s[0:1]
	s_cbranch_execz .LBB4_5
; %bb.4:                                ;   in Loop: Header=BB4_3 Depth=1
	s_add_u32 s0, s33, s24
	s_mov_b32 s25, s24
	s_addc_u32 s1, s44, s24
	s_xor_b64 s[28:29], s[0:1], s[24:25]
	v_cvt_f32_u32_e32 v3, s28
	v_cvt_f32_u32_e32 v4, s29
	s_sub_u32 s16, 0, s28
	s_subb_u32 s25, 0, s29
	v_ashrrev_i32_e32 v7, 31, v1
	v_mac_f32_e32 v3, 0x4f800000, v4
	v_rcp_f32_e32 v3, v3
	v_mul_f32_e32 v3, 0x5f7ffffc, v3
	v_mul_f32_e32 v4, 0x2f800000, v3
	v_trunc_f32_e32 v4, v4
	v_mac_f32_e32 v3, 0xcf800000, v4
	v_cvt_u32_f32_e32 v4, v4
	v_cvt_u32_f32_e32 v3, v3
	v_readfirstlane_b32 s30, v4
	v_readfirstlane_b32 s0, v3
	s_mul_i32 s1, s16, s30
	s_mul_hi_u32 s34, s16, s0
	s_mul_i32 s31, s25, s0
	s_add_i32 s1, s34, s1
	s_add_i32 s1, s1, s31
	s_mul_i32 s35, s16, s0
	s_mul_i32 s34, s0, s1
	s_mul_hi_u32 s36, s0, s35
	s_mul_hi_u32 s31, s0, s1
	s_add_u32 s34, s36, s34
	s_addc_u32 s31, 0, s31
	s_mul_hi_u32 s37, s30, s35
	s_mul_i32 s35, s30, s35
	s_add_u32 s34, s34, s35
	s_mul_hi_u32 s36, s30, s1
	s_addc_u32 s31, s31, s37
	s_addc_u32 s34, s36, 0
	s_mul_i32 s1, s30, s1
	s_add_u32 s1, s31, s1
	s_addc_u32 s31, 0, s34
	s_add_u32 s34, s0, s1
	s_cselect_b64 s[0:1], -1, 0
	s_cmp_lg_u64 s[0:1], 0
	s_addc_u32 s30, s30, s31
	s_mul_i32 s0, s16, s30
	s_mul_hi_u32 s1, s16, s34
	s_add_i32 s0, s1, s0
	s_mul_i32 s25, s25, s34
	s_add_i32 s0, s0, s25
	s_mul_i32 s16, s16, s34
	s_mul_hi_u32 s25, s30, s16
	s_mul_i32 s31, s30, s16
	s_mul_i32 s36, s34, s0
	s_mul_hi_u32 s16, s34, s16
	s_mul_hi_u32 s35, s34, s0
	s_add_u32 s16, s16, s36
	s_addc_u32 s35, 0, s35
	s_add_u32 s16, s16, s31
	s_mul_hi_u32 s1, s30, s0
	s_addc_u32 s16, s35, s25
	s_addc_u32 s1, s1, 0
	s_mul_i32 s0, s30, s0
	s_add_u32 s0, s16, s0
	s_addc_u32 s16, 0, s1
	s_add_u32 s25, s34, s0
	s_cselect_b64 s[0:1], -1, 0
	s_cmp_lg_u64 s[0:1], 0
	v_add_co_u32_e32 v3, vcc, v0, v7
	s_addc_u32 s16, s30, s16
	v_xor_b32_e32 v8, v3, v7
	v_mad_u64_u32 v[3:4], s[0:1], v8, s16, 0
	v_mul_hi_u32 v6, v8, s25
	v_addc_co_u32_e32 v5, vcc, v1, v7, vcc
	v_xor_b32_e32 v9, v5, v7
	v_add_co_u32_e32 v10, vcc, v6, v3
	v_addc_co_u32_e32 v11, vcc, 0, v4, vcc
	v_mad_u64_u32 v[3:4], s[0:1], v9, s25, 0
	v_mad_u64_u32 v[5:6], s[0:1], v9, s16, 0
	v_add_co_u32_e32 v3, vcc, v10, v3
	v_addc_co_u32_e32 v3, vcc, v11, v4, vcc
	v_addc_co_u32_e32 v4, vcc, 0, v6, vcc
	v_add_co_u32_e32 v5, vcc, v3, v5
	v_addc_co_u32_e32 v6, vcc, 0, v4, vcc
	v_mul_lo_u32 v10, s29, v5
	v_mul_lo_u32 v11, s28, v6
	v_mad_u64_u32 v[3:4], s[0:1], s28, v5, 0
	v_add3_u32 v4, v4, v11, v10
	v_sub_u32_e32 v10, v9, v4
	v_mov_b32_e32 v11, s29
	v_sub_co_u32_e32 v3, vcc, v8, v3
	v_subb_co_u32_e64 v8, s[0:1], v10, v11, vcc
	v_subrev_co_u32_e64 v10, s[0:1], s28, v3
	v_subbrev_co_u32_e64 v8, s[0:1], 0, v8, s[0:1]
	v_cmp_le_u32_e64 s[0:1], s29, v8
	v_cndmask_b32_e64 v11, 0, -1, s[0:1]
	v_cmp_le_u32_e64 s[0:1], s28, v10
	v_cndmask_b32_e64 v10, 0, -1, s[0:1]
	v_cmp_eq_u32_e64 s[0:1], s29, v8
	v_cndmask_b32_e64 v8, v11, v10, s[0:1]
	v_add_co_u32_e64 v10, s[0:1], 2, v5
	v_subb_co_u32_e32 v4, vcc, v9, v4, vcc
	v_addc_co_u32_e64 v11, s[0:1], 0, v6, s[0:1]
	v_cmp_le_u32_e32 vcc, s29, v4
	v_add_co_u32_e64 v12, s[0:1], 1, v5
	v_cndmask_b32_e64 v9, 0, -1, vcc
	v_cmp_le_u32_e32 vcc, s28, v3
	v_addc_co_u32_e64 v13, s[0:1], 0, v6, s[0:1]
	v_cndmask_b32_e64 v3, 0, -1, vcc
	v_cmp_eq_u32_e32 vcc, s29, v4
	v_cmp_ne_u32_e64 s[0:1], 0, v8
	v_cndmask_b32_e32 v3, v9, v3, vcc
	v_cmp_ne_u32_e32 vcc, 0, v3
	v_cndmask_b32_e64 v4, v12, v10, s[0:1]
	v_cndmask_b32_e64 v8, v13, v11, s[0:1]
	v_cndmask_b32_e32 v4, v5, v4, vcc
	v_xor_b32_e32 v5, s24, v7
	v_cndmask_b32_e32 v3, v6, v8, vcc
	v_xor_b32_e32 v4, v4, v5
	v_xor_b32_e32 v3, v3, v5
	v_sub_co_u32_e32 v4, vcc, v4, v5
	v_subb_co_u32_e32 v5, vcc, v3, v5, vcc
.LBB4_5:                                ;   in Loop: Header=BB4_3 Depth=1
	s_andn2_saveexec_b64 s[0:1], s[26:27]
	s_cbranch_execz .LBB4_7
; %bb.6:                                ;   in Loop: Header=BB4_3 Depth=1
	v_cvt_f32_u32_e32 v3, s33
	s_sub_i32 s16, 0, s33
	v_rcp_iflag_f32_e32 v3, v3
	v_mul_f32_e32 v3, 0x4f7ffffe, v3
	v_cvt_u32_f32_e32 v3, v3
	v_mul_lo_u32 v4, s16, v3
	v_mul_hi_u32 v4, v3, v4
	v_add_u32_e32 v3, v3, v4
	v_mul_hi_u32 v3, v0, v3
	v_mul_lo_u32 v4, v3, s33
	v_add_u32_e32 v5, 1, v3
	v_sub_u32_e32 v4, v0, v4
	v_subrev_u32_e32 v6, s33, v4
	v_cmp_le_u32_e32 vcc, s33, v4
	v_cndmask_b32_e32 v4, v4, v6, vcc
	v_cndmask_b32_e32 v3, v3, v5, vcc
	v_add_u32_e32 v5, 1, v3
	v_cmp_le_u32_e32 vcc, s33, v4
	v_cndmask_b32_e32 v4, v3, v5, vcc
	v_mov_b32_e32 v5, v2
.LBB4_7:                                ;   in Loop: Header=BB4_3 Depth=1
	s_or_b64 exec, exec, s[0:1]
	v_or_b32_e32 v3, s46, v5
	v_cmp_ne_u64_e32 vcc, 0, v[2:3]
                                        ; implicit-def: $vgpr7_vgpr8
	s_and_saveexec_b64 s[0:1], vcc
	s_xor_b64 s[26:27], exec, s[0:1]
	s_cbranch_execz .LBB4_9
; %bb.8:                                ;   in Loop: Header=BB4_3 Depth=1
	s_ashr_i32 s28, s46, 31
	s_add_u32 s0, s45, s28
	s_mov_b32 s29, s28
	s_addc_u32 s1, s46, s28
	s_xor_b64 s[30:31], s[0:1], s[28:29]
	v_cvt_f32_u32_e32 v3, s30
	v_cvt_f32_u32_e32 v6, s31
	s_sub_u32 s16, 0, s30
	s_subb_u32 s25, 0, s31
	v_mac_f32_e32 v3, 0x4f800000, v6
	v_rcp_f32_e32 v3, v3
	v_mul_f32_e32 v3, 0x5f7ffffc, v3
	v_mul_f32_e32 v6, 0x2f800000, v3
	v_trunc_f32_e32 v6, v6
	v_mac_f32_e32 v3, 0xcf800000, v6
	v_cvt_u32_f32_e32 v6, v6
	v_cvt_u32_f32_e32 v3, v3
	v_readfirstlane_b32 s29, v6
	v_readfirstlane_b32 s0, v3
	s_mul_i32 s1, s16, s29
	s_mul_hi_u32 s35, s16, s0
	s_mul_i32 s34, s25, s0
	s_add_i32 s1, s35, s1
	s_add_i32 s1, s1, s34
	s_mul_i32 s36, s16, s0
	s_mul_i32 s35, s0, s1
	s_mul_hi_u32 s37, s0, s36
	s_mul_hi_u32 s34, s0, s1
	s_add_u32 s35, s37, s35
	s_addc_u32 s34, 0, s34
	s_mul_hi_u32 s38, s29, s36
	s_mul_i32 s36, s29, s36
	s_add_u32 s35, s35, s36
	s_mul_hi_u32 s37, s29, s1
	s_addc_u32 s34, s34, s38
	s_addc_u32 s35, s37, 0
	s_mul_i32 s1, s29, s1
	s_add_u32 s1, s34, s1
	s_addc_u32 s34, 0, s35
	s_add_u32 s35, s0, s1
	s_cselect_b64 s[0:1], -1, 0
	s_cmp_lg_u64 s[0:1], 0
	s_addc_u32 s29, s29, s34
	s_mul_i32 s0, s16, s29
	s_mul_hi_u32 s1, s16, s35
	s_add_i32 s0, s1, s0
	s_mul_i32 s25, s25, s35
	s_add_i32 s0, s0, s25
	s_mul_i32 s16, s16, s35
	s_mul_hi_u32 s25, s29, s16
	s_mul_i32 s34, s29, s16
	s_mul_i32 s37, s35, s0
	s_mul_hi_u32 s16, s35, s16
	s_mul_hi_u32 s36, s35, s0
	s_add_u32 s16, s16, s37
	s_addc_u32 s36, 0, s36
	s_add_u32 s16, s16, s34
	s_mul_hi_u32 s1, s29, s0
	s_addc_u32 s16, s36, s25
	s_addc_u32 s1, s1, 0
	s_mul_i32 s0, s29, s0
	s_add_u32 s0, s16, s0
	s_addc_u32 s16, 0, s1
	s_add_u32 s25, s35, s0
	s_cselect_b64 s[0:1], -1, 0
	v_ashrrev_i32_e32 v3, 31, v5
	s_cmp_lg_u64 s[0:1], 0
	v_add_co_u32_e32 v6, vcc, v4, v3
	s_addc_u32 s16, s29, s16
	v_xor_b32_e32 v9, v6, v3
	v_addc_co_u32_e32 v7, vcc, v5, v3, vcc
	v_mad_u64_u32 v[5:6], s[0:1], v9, s16, 0
	v_mul_hi_u32 v8, v9, s25
	v_xor_b32_e32 v10, v7, v3
	v_xor_b32_e32 v3, s28, v3
	v_add_co_u32_e32 v11, vcc, v8, v5
	v_addc_co_u32_e32 v12, vcc, 0, v6, vcc
	v_mad_u64_u32 v[5:6], s[0:1], v10, s25, 0
	v_mad_u64_u32 v[7:8], s[0:1], v10, s16, 0
	v_add_co_u32_e32 v5, vcc, v11, v5
	v_addc_co_u32_e32 v5, vcc, v12, v6, vcc
	v_addc_co_u32_e32 v6, vcc, 0, v8, vcc
	v_add_co_u32_e32 v7, vcc, v5, v7
	v_addc_co_u32_e32 v8, vcc, 0, v6, vcc
	v_mul_lo_u32 v11, s31, v7
	v_mul_lo_u32 v12, s30, v8
	v_mad_u64_u32 v[5:6], s[0:1], s30, v7, 0
	v_add3_u32 v6, v6, v12, v11
	v_sub_u32_e32 v11, v10, v6
	v_mov_b32_e32 v12, s31
	v_sub_co_u32_e32 v5, vcc, v9, v5
	v_subb_co_u32_e64 v9, s[0:1], v11, v12, vcc
	v_subrev_co_u32_e64 v11, s[0:1], s30, v5
	v_subbrev_co_u32_e64 v9, s[0:1], 0, v9, s[0:1]
	v_cmp_le_u32_e64 s[0:1], s31, v9
	v_cndmask_b32_e64 v12, 0, -1, s[0:1]
	v_cmp_le_u32_e64 s[0:1], s30, v11
	v_cndmask_b32_e64 v11, 0, -1, s[0:1]
	v_cmp_eq_u32_e64 s[0:1], s31, v9
	v_cndmask_b32_e64 v9, v12, v11, s[0:1]
	v_add_co_u32_e64 v11, s[0:1], 2, v7
	v_subb_co_u32_e32 v6, vcc, v10, v6, vcc
	v_addc_co_u32_e64 v12, s[0:1], 0, v8, s[0:1]
	v_cmp_le_u32_e32 vcc, s31, v6
	v_add_co_u32_e64 v13, s[0:1], 1, v7
	v_cndmask_b32_e64 v10, 0, -1, vcc
	v_cmp_le_u32_e32 vcc, s30, v5
	v_addc_co_u32_e64 v14, s[0:1], 0, v8, s[0:1]
	v_cndmask_b32_e64 v5, 0, -1, vcc
	v_cmp_eq_u32_e32 vcc, s31, v6
	v_cmp_ne_u32_e64 s[0:1], 0, v9
	v_cndmask_b32_e32 v5, v10, v5, vcc
	v_cmp_ne_u32_e32 vcc, 0, v5
	v_cndmask_b32_e64 v6, v13, v11, s[0:1]
	v_cndmask_b32_e64 v9, v14, v12, s[0:1]
	v_cndmask_b32_e32 v6, v7, v6, vcc
	v_cndmask_b32_e32 v5, v8, v9, vcc
	v_xor_b32_e32 v6, v6, v3
	v_xor_b32_e32 v5, v5, v3
	v_sub_co_u32_e32 v7, vcc, v6, v3
	v_subb_co_u32_e32 v8, vcc, v5, v3, vcc
.LBB4_9:                                ;   in Loop: Header=BB4_3 Depth=1
	s_andn2_saveexec_b64 s[0:1], s[26:27]
	s_cbranch_execz .LBB4_11
; %bb.10:                               ;   in Loop: Header=BB4_3 Depth=1
	v_cvt_f32_u32_e32 v3, s45
	s_sub_i32 s16, 0, s45
	v_mov_b32_e32 v8, v2
	v_rcp_iflag_f32_e32 v3, v3
	v_mul_f32_e32 v3, 0x4f7ffffe, v3
	v_cvt_u32_f32_e32 v3, v3
	v_mul_lo_u32 v5, s16, v3
	v_mul_hi_u32 v5, v3, v5
	v_add_u32_e32 v3, v3, v5
	v_mul_hi_u32 v3, v4, v3
	v_mul_lo_u32 v5, v3, s45
	v_add_u32_e32 v6, 1, v3
	v_sub_u32_e32 v5, v4, v5
	v_subrev_u32_e32 v7, s45, v5
	v_cmp_le_u32_e32 vcc, s45, v5
	v_cndmask_b32_e32 v5, v5, v7, vcc
	v_cndmask_b32_e32 v3, v3, v6, vcc
	v_add_u32_e32 v6, 1, v3
	v_cmp_le_u32_e32 vcc, s45, v5
	v_cndmask_b32_e32 v7, v3, v6, vcc
.LBB4_11:                               ;   in Loop: Header=BB4_3 Depth=1
	s_or_b64 exec, exec, s[0:1]
	v_mad_u64_u32 v[5:6], s[0:1], v4, s33, 0
	v_mad_u64_u32 v[9:10], s[0:1], v7, s45, 0
	v_sub_co_u32_e32 v26, vcc, v0, v5
	v_sub_co_u32_e32 v25, vcc, v4, v9
	v_sub_u32_e32 v6, v26, v25
	v_add_u32_e32 v3, 4, v6
	v_ashrrev_i32_e32 v4, 31, v3
	v_cmp_lt_i64_e32 vcc, s[8:9], v[3:4]
	s_and_saveexec_b64 s[26:27], vcc
	s_cbranch_execz .LBB4_2
; %bb.12:                               ;   in Loop: Header=BB4_3 Depth=1
	s_load_dwordx2 s[28:29], s[14:15], 0x64
	s_andn2_b64 vcc, exec, s[6:7]
	s_waitcnt lgkmcnt(0)
	v_mul_lo_u32 v3, s29, v26
	v_mad_u64_u32 v[4:5], s[0:1], s28, v25, v[3:4]
	s_cbranch_vccnz .LBB4_57
; %bb.13:                               ;   in Loop: Header=BB4_3 Depth=1
	s_andn2_b64 vcc, exec, s[18:19]
	s_mov_b32 s25, s49
	s_mov_b32 s16, s47
	;; [unrolled: 1-line block ×3, first 2 shown]
	s_cbranch_vccnz .LBB4_21
.LBB4_14:                               ;   Parent Loop BB4_3 Depth=1
                                        ; =>  This Inner Loop Header: Depth=2
	s_lshl_b64 s[30:31], s[16:17], 2
	s_add_u32 s0, s42, s30
	s_addc_u32 s1, s43, s31
	s_load_dword s28, s[0:1], 0x8
                                        ; implicit-def: $vgpr9_vgpr10
	s_waitcnt lgkmcnt(0)
	s_ashr_i32 s0, s28, 31
	v_or_b32_e32 v3, s0, v8
	v_cmp_ne_u64_e32 vcc, 0, v[2:3]
	s_and_saveexec_b64 s[34:35], vcc
	s_xor_b64 s[34:35], exec, s[34:35]
	s_cbranch_execz .LBB4_16
; %bb.15:                               ;   in Loop: Header=BB4_14 Depth=2
	s_ashr_i32 s36, s0, 31
	s_add_u32 s38, s28, s36
	s_mov_b32 s37, s36
	s_addc_u32 s39, s0, s36
	s_xor_b64 s[38:39], s[38:39], s[36:37]
	v_cvt_f32_u32_e32 v3, s38
	v_cvt_f32_u32_e32 v5, s39
	s_sub_u32 s37, 0, s38
	s_subb_u32 s40, 0, s39
	v_mac_f32_e32 v3, 0x4f800000, v5
	v_rcp_f32_e32 v3, v3
	v_mul_f32_e32 v3, 0x5f7ffffc, v3
	v_mul_f32_e32 v5, 0x2f800000, v3
	v_trunc_f32_e32 v5, v5
	v_mac_f32_e32 v3, 0xcf800000, v5
	v_cvt_u32_f32_e32 v5, v5
	v_cvt_u32_f32_e32 v3, v3
	v_readfirstlane_b32 s41, v5
	v_readfirstlane_b32 s0, v3
	s_mul_i32 s1, s37, s41
	s_mul_hi_u32 s51, s37, s0
	s_mul_i32 s50, s40, s0
	s_add_i32 s1, s51, s1
	s_add_i32 s1, s1, s50
	s_mul_i32 s52, s37, s0
	s_mul_i32 s51, s0, s1
	s_mul_hi_u32 s53, s0, s52
	s_mul_hi_u32 s50, s0, s1
	s_add_u32 s51, s53, s51
	s_addc_u32 s50, 0, s50
	s_mul_hi_u32 s54, s41, s52
	s_mul_i32 s52, s41, s52
	s_add_u32 s51, s51, s52
	s_mul_hi_u32 s53, s41, s1
	s_addc_u32 s50, s50, s54
	s_addc_u32 s51, s53, 0
	s_mul_i32 s1, s41, s1
	s_add_u32 s1, s50, s1
	s_addc_u32 s50, 0, s51
	s_add_u32 s51, s0, s1
	s_cselect_b64 s[0:1], -1, 0
	s_cmp_lg_u64 s[0:1], 0
	s_addc_u32 s41, s41, s50
	s_mul_i32 s0, s37, s41
	s_mul_hi_u32 s1, s37, s51
	s_add_i32 s0, s1, s0
	s_mul_i32 s40, s40, s51
	s_add_i32 s0, s0, s40
	s_mul_i32 s37, s37, s51
	s_mul_hi_u32 s40, s41, s37
	s_mul_i32 s50, s41, s37
	s_mul_i32 s53, s51, s0
	s_mul_hi_u32 s37, s51, s37
	s_mul_hi_u32 s52, s51, s0
	s_add_u32 s37, s37, s53
	s_addc_u32 s52, 0, s52
	s_add_u32 s37, s37, s50
	s_mul_hi_u32 s1, s41, s0
	s_addc_u32 s37, s52, s40
	s_addc_u32 s1, s1, 0
	s_mul_i32 s0, s41, s0
	s_add_u32 s0, s37, s0
	s_addc_u32 s37, 0, s1
	s_add_u32 s40, s51, s0
	s_cselect_b64 s[0:1], -1, 0
	v_ashrrev_i32_e32 v3, 31, v8
	s_cmp_lg_u64 s[0:1], 0
	v_add_co_u32_e32 v5, vcc, v7, v3
	s_addc_u32 s37, s41, s37
	v_xor_b32_e32 v5, v5, v3
	v_addc_co_u32_e32 v10, vcc, v8, v3, vcc
	v_mad_u64_u32 v[8:9], s[0:1], v5, s37, 0
	v_mul_hi_u32 v11, v5, s40
	v_xor_b32_e32 v12, v10, v3
	v_xor_b32_e32 v3, s36, v3
	v_add_co_u32_e32 v13, vcc, v11, v8
	v_addc_co_u32_e32 v14, vcc, 0, v9, vcc
	v_mad_u64_u32 v[8:9], s[0:1], v12, s40, 0
	v_mad_u64_u32 v[10:11], s[0:1], v12, s37, 0
	v_add_co_u32_e32 v8, vcc, v13, v8
	v_addc_co_u32_e32 v8, vcc, v14, v9, vcc
	v_addc_co_u32_e32 v9, vcc, 0, v11, vcc
	v_add_co_u32_e32 v10, vcc, v8, v10
	v_addc_co_u32_e32 v11, vcc, 0, v9, vcc
	v_mul_lo_u32 v13, s39, v10
	v_mul_lo_u32 v14, s38, v11
	v_mad_u64_u32 v[8:9], s[0:1], s38, v10, 0
	v_add3_u32 v9, v9, v14, v13
	v_sub_u32_e32 v13, v12, v9
	v_mov_b32_e32 v14, s39
	v_sub_co_u32_e32 v5, vcc, v5, v8
	v_subb_co_u32_e64 v8, s[0:1], v13, v14, vcc
	v_subrev_co_u32_e64 v13, s[0:1], s38, v5
	v_subbrev_co_u32_e64 v8, s[0:1], 0, v8, s[0:1]
	v_cmp_le_u32_e64 s[0:1], s39, v8
	v_cndmask_b32_e64 v14, 0, -1, s[0:1]
	v_cmp_le_u32_e64 s[0:1], s38, v13
	v_cndmask_b32_e64 v13, 0, -1, s[0:1]
	v_cmp_eq_u32_e64 s[0:1], s39, v8
	v_cndmask_b32_e64 v8, v14, v13, s[0:1]
	v_add_co_u32_e64 v13, s[0:1], 2, v10
	v_subb_co_u32_e32 v9, vcc, v12, v9, vcc
	v_addc_co_u32_e64 v14, s[0:1], 0, v11, s[0:1]
	v_cmp_le_u32_e32 vcc, s39, v9
	v_add_co_u32_e64 v15, s[0:1], 1, v10
	v_cndmask_b32_e64 v12, 0, -1, vcc
	v_cmp_le_u32_e32 vcc, s38, v5
	v_addc_co_u32_e64 v16, s[0:1], 0, v11, s[0:1]
	v_cndmask_b32_e64 v5, 0, -1, vcc
	v_cmp_eq_u32_e32 vcc, s39, v9
	v_cmp_ne_u32_e64 s[0:1], 0, v8
	v_cndmask_b32_e32 v5, v12, v5, vcc
	v_cndmask_b32_e64 v8, v16, v14, s[0:1]
	v_cmp_ne_u32_e32 vcc, 0, v5
	v_cndmask_b32_e32 v5, v11, v8, vcc
	v_cndmask_b32_e64 v8, v15, v13, s[0:1]
	v_cndmask_b32_e32 v8, v10, v8, vcc
	v_xor_b32_e32 v8, v8, v3
	v_xor_b32_e32 v5, v5, v3
	v_sub_co_u32_e32 v9, vcc, v8, v3
	v_subb_co_u32_e32 v10, vcc, v5, v3, vcc
.LBB4_16:                               ;   in Loop: Header=BB4_14 Depth=2
	s_andn2_saveexec_b64 s[0:1], s[34:35]
	s_cbranch_execz .LBB4_18
; %bb.17:                               ;   in Loop: Header=BB4_14 Depth=2
	v_cvt_f32_u32_e32 v3, s28
	s_sub_i32 s34, 0, s28
	v_mov_b32_e32 v10, v2
	v_rcp_iflag_f32_e32 v3, v3
	v_mul_f32_e32 v3, 0x4f7ffffe, v3
	v_cvt_u32_f32_e32 v3, v3
	v_mul_lo_u32 v5, s34, v3
	v_mul_hi_u32 v5, v3, v5
	v_add_u32_e32 v3, v3, v5
	v_mul_hi_u32 v3, v7, v3
	v_mul_lo_u32 v5, v3, s28
	v_add_u32_e32 v8, 1, v3
	v_sub_u32_e32 v5, v7, v5
	v_subrev_u32_e32 v9, s28, v5
	v_cmp_le_u32_e32 vcc, s28, v5
	v_cndmask_b32_e32 v5, v5, v9, vcc
	v_cndmask_b32_e32 v3, v3, v8, vcc
	v_add_u32_e32 v8, 1, v3
	v_cmp_le_u32_e32 vcc, s28, v5
	v_cndmask_b32_e32 v9, v3, v8, vcc
.LBB4_18:                               ;   in Loop: Header=BB4_14 Depth=2
	s_or_b64 exec, exec, s[0:1]
	s_add_u32 s0, s4, s30
	s_addc_u32 s1, s5, s31
	v_mul_lo_u32 v3, v9, s28
	s_load_dword s0, s[0:1], 0x6c
	s_add_i32 s16, s16, -1
	s_add_i32 s25, s25, -1
	v_sub_u32_e32 v3, v7, v3
	s_cmp_lg_u32 s25, 0
	s_waitcnt lgkmcnt(0)
	v_mad_u64_u32 v[4:5], s[0:1], s0, v3, v[4:5]
	s_cbranch_scc0 .LBB4_20
; %bb.19:                               ;   in Loop: Header=BB4_14 Depth=2
	v_mov_b32_e32 v7, v9
	v_mov_b32_e32 v8, v10
	s_branch .LBB4_14
.LBB4_20:                               ;   in Loop: Header=BB4_3 Depth=1
	v_mov_b32_e32 v7, v9
	s_mov_b32 s0, s16
	v_mov_b32_e32 v8, v10
.LBB4_21:                               ;   in Loop: Header=BB4_3 Depth=1
	s_andn2_b64 vcc, exec, s[20:21]
	s_cbranch_vccnz .LBB4_57
; %bb.22:                               ;   in Loop: Header=BB4_3 Depth=1
	s_add_i32 s30, s0, -7
.LBB4_23:                               ;   Parent Loop BB4_3 Depth=1
                                        ; =>  This Inner Loop Header: Depth=2
	s_add_i32 s16, s30, 7
	s_lshl_b64 s[34:35], s[16:17], 2
	s_add_u32 s0, s42, s34
	s_addc_u32 s1, s43, s35
	s_load_dword s25, s[0:1], 0x8
                                        ; implicit-def: $vgpr9_vgpr10
	s_waitcnt lgkmcnt(0)
	s_ashr_i32 s0, s25, 31
	v_or_b32_e32 v3, s0, v8
	v_cmp_ne_u64_e32 vcc, 0, v[2:3]
	s_and_saveexec_b64 s[36:37], vcc
	s_xor_b64 s[36:37], exec, s[36:37]
	s_cbranch_execz .LBB4_25
; %bb.24:                               ;   in Loop: Header=BB4_23 Depth=2
	s_ashr_i32 s38, s0, 31
	s_add_u32 s40, s25, s38
	s_mov_b32 s39, s38
	s_addc_u32 s41, s0, s38
	s_xor_b64 s[40:41], s[40:41], s[38:39]
	v_cvt_f32_u32_e32 v3, s40
	v_cvt_f32_u32_e32 v5, s41
	s_sub_u32 s16, 0, s40
	s_subb_u32 s28, 0, s41
	v_mac_f32_e32 v3, 0x4f800000, v5
	v_rcp_f32_e32 v3, v3
	v_mul_f32_e32 v3, 0x5f7ffffc, v3
	v_mul_f32_e32 v5, 0x2f800000, v3
	v_trunc_f32_e32 v5, v5
	v_mac_f32_e32 v3, 0xcf800000, v5
	v_cvt_u32_f32_e32 v5, v5
	v_cvt_u32_f32_e32 v3, v3
	v_readfirstlane_b32 s31, v5
	v_readfirstlane_b32 s0, v3
	s_mul_i32 s1, s16, s31
	s_mul_hi_u32 s50, s16, s0
	s_mul_i32 s39, s28, s0
	s_add_i32 s1, s50, s1
	s_add_i32 s1, s1, s39
	s_mul_i32 s51, s16, s0
	s_mul_i32 s50, s0, s1
	s_mul_hi_u32 s52, s0, s51
	s_mul_hi_u32 s39, s0, s1
	s_add_u32 s50, s52, s50
	s_addc_u32 s39, 0, s39
	s_mul_hi_u32 s53, s31, s51
	s_mul_i32 s51, s31, s51
	s_add_u32 s50, s50, s51
	s_mul_hi_u32 s52, s31, s1
	s_addc_u32 s39, s39, s53
	s_addc_u32 s50, s52, 0
	s_mul_i32 s1, s31, s1
	s_add_u32 s1, s39, s1
	s_addc_u32 s39, 0, s50
	s_add_u32 s50, s0, s1
	s_cselect_b64 s[0:1], -1, 0
	s_cmp_lg_u64 s[0:1], 0
	s_addc_u32 s31, s31, s39
	s_mul_i32 s0, s16, s31
	s_mul_hi_u32 s1, s16, s50
	s_add_i32 s0, s1, s0
	s_mul_i32 s28, s28, s50
	s_add_i32 s0, s0, s28
	s_mul_i32 s16, s16, s50
	s_mul_hi_u32 s28, s31, s16
	s_mul_i32 s39, s31, s16
	s_mul_i32 s52, s50, s0
	s_mul_hi_u32 s16, s50, s16
	s_mul_hi_u32 s51, s50, s0
	s_add_u32 s16, s16, s52
	s_addc_u32 s51, 0, s51
	s_add_u32 s16, s16, s39
	s_mul_hi_u32 s1, s31, s0
	s_addc_u32 s16, s51, s28
	s_addc_u32 s1, s1, 0
	s_mul_i32 s0, s31, s0
	s_add_u32 s0, s16, s0
	s_addc_u32 s16, 0, s1
	s_add_u32 s28, s50, s0
	s_cselect_b64 s[0:1], -1, 0
	v_ashrrev_i32_e32 v3, 31, v8
	s_cmp_lg_u64 s[0:1], 0
	v_add_co_u32_e32 v5, vcc, v7, v3
	s_addc_u32 s16, s31, s16
	v_xor_b32_e32 v5, v5, v3
	v_addc_co_u32_e32 v10, vcc, v8, v3, vcc
	v_mad_u64_u32 v[8:9], s[0:1], v5, s16, 0
	v_mul_hi_u32 v11, v5, s28
	v_xor_b32_e32 v12, v10, v3
	v_xor_b32_e32 v3, s38, v3
	v_add_co_u32_e32 v13, vcc, v11, v8
	v_addc_co_u32_e32 v14, vcc, 0, v9, vcc
	v_mad_u64_u32 v[8:9], s[0:1], v12, s28, 0
	v_mad_u64_u32 v[10:11], s[0:1], v12, s16, 0
	v_add_co_u32_e32 v8, vcc, v13, v8
	v_addc_co_u32_e32 v8, vcc, v14, v9, vcc
	v_addc_co_u32_e32 v9, vcc, 0, v11, vcc
	v_add_co_u32_e32 v10, vcc, v8, v10
	v_addc_co_u32_e32 v11, vcc, 0, v9, vcc
	v_mul_lo_u32 v13, s41, v10
	v_mul_lo_u32 v14, s40, v11
	v_mad_u64_u32 v[8:9], s[0:1], s40, v10, 0
	v_add3_u32 v9, v9, v14, v13
	v_sub_u32_e32 v13, v12, v9
	v_mov_b32_e32 v14, s41
	v_sub_co_u32_e32 v5, vcc, v5, v8
	v_subb_co_u32_e64 v8, s[0:1], v13, v14, vcc
	v_subrev_co_u32_e64 v13, s[0:1], s40, v5
	v_subbrev_co_u32_e64 v8, s[0:1], 0, v8, s[0:1]
	v_cmp_le_u32_e64 s[0:1], s41, v8
	v_cndmask_b32_e64 v14, 0, -1, s[0:1]
	v_cmp_le_u32_e64 s[0:1], s40, v13
	v_cndmask_b32_e64 v13, 0, -1, s[0:1]
	v_cmp_eq_u32_e64 s[0:1], s41, v8
	v_cndmask_b32_e64 v8, v14, v13, s[0:1]
	v_add_co_u32_e64 v13, s[0:1], 2, v10
	v_subb_co_u32_e32 v9, vcc, v12, v9, vcc
	v_addc_co_u32_e64 v14, s[0:1], 0, v11, s[0:1]
	v_cmp_le_u32_e32 vcc, s41, v9
	v_add_co_u32_e64 v15, s[0:1], 1, v10
	v_cndmask_b32_e64 v12, 0, -1, vcc
	v_cmp_le_u32_e32 vcc, s40, v5
	v_addc_co_u32_e64 v16, s[0:1], 0, v11, s[0:1]
	v_cndmask_b32_e64 v5, 0, -1, vcc
	v_cmp_eq_u32_e32 vcc, s41, v9
	v_cmp_ne_u32_e64 s[0:1], 0, v8
	v_cndmask_b32_e32 v5, v12, v5, vcc
	v_cndmask_b32_e64 v8, v16, v14, s[0:1]
	v_cmp_ne_u32_e32 vcc, 0, v5
	v_cndmask_b32_e32 v5, v11, v8, vcc
	v_cndmask_b32_e64 v8, v15, v13, s[0:1]
	v_cndmask_b32_e32 v8, v10, v8, vcc
	v_xor_b32_e32 v8, v8, v3
	v_xor_b32_e32 v5, v5, v3
	v_sub_co_u32_e32 v9, vcc, v8, v3
	v_subb_co_u32_e32 v10, vcc, v5, v3, vcc
.LBB4_25:                               ;   in Loop: Header=BB4_23 Depth=2
	s_andn2_saveexec_b64 s[0:1], s[36:37]
	s_cbranch_execz .LBB4_27
; %bb.26:                               ;   in Loop: Header=BB4_23 Depth=2
	v_cvt_f32_u32_e32 v3, s25
	s_sub_i32 s16, 0, s25
	v_mov_b32_e32 v10, v2
	v_rcp_iflag_f32_e32 v3, v3
	v_mul_f32_e32 v3, 0x4f7ffffe, v3
	v_cvt_u32_f32_e32 v3, v3
	v_mul_lo_u32 v5, s16, v3
	v_mul_hi_u32 v5, v3, v5
	v_add_u32_e32 v3, v3, v5
	v_mul_hi_u32 v3, v7, v3
	v_mul_lo_u32 v5, v3, s25
	v_add_u32_e32 v8, 1, v3
	v_sub_u32_e32 v5, v7, v5
	v_subrev_u32_e32 v9, s25, v5
	v_cmp_le_u32_e32 vcc, s25, v5
	v_cndmask_b32_e32 v5, v5, v9, vcc
	v_cndmask_b32_e32 v3, v3, v8, vcc
	v_add_u32_e32 v8, 1, v3
	v_cmp_le_u32_e32 vcc, s25, v5
	v_cndmask_b32_e32 v9, v3, v8, vcc
.LBB4_27:                               ;   in Loop: Header=BB4_23 Depth=2
	s_or_b64 exec, exec, s[0:1]
	s_add_u32 s0, s4, s34
	s_addc_u32 s1, s5, s35
	s_add_i32 s16, s30, 6
	s_lshl_b64 s[34:35], s[16:17], 2
	s_add_u32 s36, s42, s34
	s_addc_u32 s37, s43, s35
	s_load_dword s50, s[36:37], 0x8
	s_load_dword s28, s[0:1], 0x6c
                                        ; implicit-def: $vgpr11_vgpr12
	s_waitcnt lgkmcnt(0)
	s_ashr_i32 s0, s50, 31
	v_or_b32_e32 v3, s0, v10
	v_cmp_ne_u64_e32 vcc, 0, v[2:3]
	s_and_saveexec_b64 s[36:37], vcc
	s_xor_b64 s[36:37], exec, s[36:37]
	s_cbranch_execz .LBB4_29
; %bb.28:                               ;   in Loop: Header=BB4_23 Depth=2
	s_ashr_i32 s38, s0, 31
	s_add_u32 s40, s50, s38
	s_mov_b32 s39, s38
	s_addc_u32 s41, s0, s38
	s_xor_b64 s[40:41], s[40:41], s[38:39]
	v_cvt_f32_u32_e32 v3, s40
	v_cvt_f32_u32_e32 v5, s41
	s_sub_u32 s16, 0, s40
	s_subb_u32 s31, 0, s41
	v_mac_f32_e32 v3, 0x4f800000, v5
	v_rcp_f32_e32 v3, v3
	v_mul_f32_e32 v3, 0x5f7ffffc, v3
	v_mul_f32_e32 v5, 0x2f800000, v3
	v_trunc_f32_e32 v5, v5
	v_mac_f32_e32 v3, 0xcf800000, v5
	v_cvt_u32_f32_e32 v5, v5
	v_cvt_u32_f32_e32 v3, v3
	v_readfirstlane_b32 s39, v5
	v_readfirstlane_b32 s0, v3
	s_mul_i32 s1, s16, s39
	s_mul_hi_u32 s52, s16, s0
	s_mul_i32 s51, s31, s0
	s_add_i32 s1, s52, s1
	s_add_i32 s1, s1, s51
	s_mul_i32 s53, s16, s0
	s_mul_i32 s52, s0, s1
	s_mul_hi_u32 s54, s0, s53
	s_mul_hi_u32 s51, s0, s1
	s_add_u32 s52, s54, s52
	s_addc_u32 s51, 0, s51
	s_mul_hi_u32 s55, s39, s53
	s_mul_i32 s53, s39, s53
	s_add_u32 s52, s52, s53
	s_mul_hi_u32 s54, s39, s1
	s_addc_u32 s51, s51, s55
	s_addc_u32 s52, s54, 0
	s_mul_i32 s1, s39, s1
	s_add_u32 s1, s51, s1
	s_addc_u32 s51, 0, s52
	s_add_u32 s52, s0, s1
	s_cselect_b64 s[0:1], -1, 0
	s_cmp_lg_u64 s[0:1], 0
	s_addc_u32 s39, s39, s51
	s_mul_i32 s0, s16, s39
	s_mul_hi_u32 s1, s16, s52
	s_add_i32 s0, s1, s0
	s_mul_i32 s31, s31, s52
	s_add_i32 s0, s0, s31
	s_mul_i32 s16, s16, s52
	s_mul_hi_u32 s31, s39, s16
	s_mul_i32 s51, s39, s16
	s_mul_i32 s54, s52, s0
	s_mul_hi_u32 s16, s52, s16
	s_mul_hi_u32 s53, s52, s0
	s_add_u32 s16, s16, s54
	s_addc_u32 s53, 0, s53
	s_add_u32 s16, s16, s51
	s_mul_hi_u32 s1, s39, s0
	s_addc_u32 s16, s53, s31
	s_addc_u32 s1, s1, 0
	s_mul_i32 s0, s39, s0
	s_add_u32 s0, s16, s0
	s_addc_u32 s16, 0, s1
	s_add_u32 s31, s52, s0
	s_cselect_b64 s[0:1], -1, 0
	v_ashrrev_i32_e32 v3, 31, v10
	s_cmp_lg_u64 s[0:1], 0
	v_add_co_u32_e32 v5, vcc, v9, v3
	s_addc_u32 s16, s39, s16
	v_xor_b32_e32 v5, v5, v3
	v_addc_co_u32_e32 v8, vcc, v10, v3, vcc
	v_mad_u64_u32 v[10:11], s[0:1], v5, s16, 0
	v_mul_hi_u32 v12, v5, s31
	v_xor_b32_e32 v8, v8, v3
	v_xor_b32_e32 v3, s38, v3
	v_add_co_u32_e32 v14, vcc, v12, v10
	v_addc_co_u32_e32 v15, vcc, 0, v11, vcc
	v_mad_u64_u32 v[10:11], s[0:1], v8, s31, 0
	v_mad_u64_u32 v[12:13], s[0:1], v8, s16, 0
	v_add_co_u32_e32 v10, vcc, v14, v10
	v_addc_co_u32_e32 v10, vcc, v15, v11, vcc
	v_addc_co_u32_e32 v11, vcc, 0, v13, vcc
	v_add_co_u32_e32 v12, vcc, v10, v12
	v_addc_co_u32_e32 v13, vcc, 0, v11, vcc
	v_mul_lo_u32 v14, s41, v12
	v_mul_lo_u32 v15, s40, v13
	v_mad_u64_u32 v[10:11], s[0:1], s40, v12, 0
	v_add3_u32 v11, v11, v15, v14
	v_sub_u32_e32 v14, v8, v11
	v_mov_b32_e32 v15, s41
	v_sub_co_u32_e32 v5, vcc, v5, v10
	v_subb_co_u32_e64 v10, s[0:1], v14, v15, vcc
	v_subrev_co_u32_e64 v14, s[0:1], s40, v5
	v_subbrev_co_u32_e64 v10, s[0:1], 0, v10, s[0:1]
	v_cmp_le_u32_e64 s[0:1], s41, v10
	v_cndmask_b32_e64 v15, 0, -1, s[0:1]
	v_cmp_le_u32_e64 s[0:1], s40, v14
	v_cndmask_b32_e64 v14, 0, -1, s[0:1]
	v_cmp_eq_u32_e64 s[0:1], s41, v10
	v_cndmask_b32_e64 v10, v15, v14, s[0:1]
	v_add_co_u32_e64 v14, s[0:1], 2, v12
	v_subb_co_u32_e32 v8, vcc, v8, v11, vcc
	v_addc_co_u32_e64 v15, s[0:1], 0, v13, s[0:1]
	v_cmp_le_u32_e32 vcc, s41, v8
	v_add_co_u32_e64 v16, s[0:1], 1, v12
	v_cndmask_b32_e64 v11, 0, -1, vcc
	v_cmp_le_u32_e32 vcc, s40, v5
	v_addc_co_u32_e64 v17, s[0:1], 0, v13, s[0:1]
	v_cndmask_b32_e64 v5, 0, -1, vcc
	v_cmp_eq_u32_e32 vcc, s41, v8
	v_cmp_ne_u32_e64 s[0:1], 0, v10
	v_cndmask_b32_e32 v5, v11, v5, vcc
	v_cmp_ne_u32_e32 vcc, 0, v5
	v_cndmask_b32_e64 v8, v16, v14, s[0:1]
	v_cndmask_b32_e64 v10, v17, v15, s[0:1]
	v_cndmask_b32_e32 v8, v12, v8, vcc
	v_cndmask_b32_e32 v5, v13, v10, vcc
	v_xor_b32_e32 v8, v8, v3
	v_xor_b32_e32 v5, v5, v3
	v_sub_co_u32_e32 v11, vcc, v8, v3
	v_subb_co_u32_e32 v12, vcc, v5, v3, vcc
.LBB4_29:                               ;   in Loop: Header=BB4_23 Depth=2
	s_andn2_saveexec_b64 s[0:1], s[36:37]
	s_cbranch_execz .LBB4_31
; %bb.30:                               ;   in Loop: Header=BB4_23 Depth=2
	v_cvt_f32_u32_e32 v3, s50
	s_sub_i32 s16, 0, s50
	v_mov_b32_e32 v12, v2
	v_rcp_iflag_f32_e32 v3, v3
	v_mul_f32_e32 v3, 0x4f7ffffe, v3
	v_cvt_u32_f32_e32 v3, v3
	v_mul_lo_u32 v5, s16, v3
	v_mul_hi_u32 v5, v3, v5
	v_add_u32_e32 v3, v3, v5
	v_mul_hi_u32 v3, v9, v3
	v_mul_lo_u32 v5, v3, s50
	v_add_u32_e32 v8, 1, v3
	v_sub_u32_e32 v5, v9, v5
	v_subrev_u32_e32 v10, s50, v5
	v_cmp_le_u32_e32 vcc, s50, v5
	v_cndmask_b32_e32 v5, v5, v10, vcc
	v_cndmask_b32_e32 v3, v3, v8, vcc
	v_add_u32_e32 v8, 1, v3
	v_cmp_le_u32_e32 vcc, s50, v5
	v_cndmask_b32_e32 v11, v3, v8, vcc
.LBB4_31:                               ;   in Loop: Header=BB4_23 Depth=2
	s_or_b64 exec, exec, s[0:1]
	s_add_u32 s0, s4, s34
	s_addc_u32 s1, s5, s35
	s_add_i32 s16, s30, 5
	s_lshl_b64 s[34:35], s[16:17], 2
	s_add_u32 s36, s42, s34
	s_addc_u32 s37, s43, s35
	s_load_dword s52, s[36:37], 0x8
	s_load_dword s51, s[0:1], 0x6c
                                        ; implicit-def: $vgpr13_vgpr14
	s_waitcnt lgkmcnt(0)
	s_ashr_i32 s0, s52, 31
	v_or_b32_e32 v3, s0, v12
	v_cmp_ne_u64_e32 vcc, 0, v[2:3]
	s_and_saveexec_b64 s[36:37], vcc
	s_xor_b64 s[36:37], exec, s[36:37]
	s_cbranch_execz .LBB4_33
; %bb.32:                               ;   in Loop: Header=BB4_23 Depth=2
	s_ashr_i32 s38, s0, 31
	s_add_u32 s40, s52, s38
	s_mov_b32 s39, s38
	s_addc_u32 s41, s0, s38
	s_xor_b64 s[40:41], s[40:41], s[38:39]
	v_cvt_f32_u32_e32 v3, s40
	v_cvt_f32_u32_e32 v5, s41
	s_sub_u32 s16, 0, s40
	s_subb_u32 s31, 0, s41
	v_mac_f32_e32 v3, 0x4f800000, v5
	v_rcp_f32_e32 v3, v3
	v_mul_f32_e32 v3, 0x5f7ffffc, v3
	v_mul_f32_e32 v5, 0x2f800000, v3
	v_trunc_f32_e32 v5, v5
	v_mac_f32_e32 v3, 0xcf800000, v5
	v_cvt_u32_f32_e32 v5, v5
	v_cvt_u32_f32_e32 v3, v3
	v_readfirstlane_b32 s39, v5
	v_readfirstlane_b32 s0, v3
	s_mul_i32 s1, s16, s39
	s_mul_hi_u32 s54, s16, s0
	s_mul_i32 s53, s31, s0
	s_add_i32 s1, s54, s1
	s_add_i32 s1, s1, s53
	s_mul_i32 s55, s16, s0
	s_mul_i32 s54, s0, s1
	s_mul_hi_u32 s56, s0, s55
	s_mul_hi_u32 s53, s0, s1
	s_add_u32 s54, s56, s54
	s_addc_u32 s53, 0, s53
	s_mul_hi_u32 s57, s39, s55
	s_mul_i32 s55, s39, s55
	s_add_u32 s54, s54, s55
	s_mul_hi_u32 s56, s39, s1
	s_addc_u32 s53, s53, s57
	s_addc_u32 s54, s56, 0
	s_mul_i32 s1, s39, s1
	s_add_u32 s1, s53, s1
	s_addc_u32 s53, 0, s54
	s_add_u32 s54, s0, s1
	s_cselect_b64 s[0:1], -1, 0
	s_cmp_lg_u64 s[0:1], 0
	s_addc_u32 s39, s39, s53
	s_mul_i32 s0, s16, s39
	s_mul_hi_u32 s1, s16, s54
	s_add_i32 s0, s1, s0
	s_mul_i32 s31, s31, s54
	s_add_i32 s0, s0, s31
	s_mul_i32 s16, s16, s54
	s_mul_hi_u32 s31, s39, s16
	s_mul_i32 s53, s39, s16
	s_mul_i32 s56, s54, s0
	s_mul_hi_u32 s16, s54, s16
	s_mul_hi_u32 s55, s54, s0
	s_add_u32 s16, s16, s56
	s_addc_u32 s55, 0, s55
	s_add_u32 s16, s16, s53
	s_mul_hi_u32 s1, s39, s0
	s_addc_u32 s16, s55, s31
	s_addc_u32 s1, s1, 0
	s_mul_i32 s0, s39, s0
	s_add_u32 s0, s16, s0
	s_addc_u32 s16, 0, s1
	s_add_u32 s31, s54, s0
	s_cselect_b64 s[0:1], -1, 0
	v_ashrrev_i32_e32 v3, 31, v12
	s_cmp_lg_u64 s[0:1], 0
	v_add_co_u32_e32 v5, vcc, v11, v3
	s_addc_u32 s16, s39, s16
	v_xor_b32_e32 v5, v5, v3
	v_addc_co_u32_e32 v8, vcc, v12, v3, vcc
	v_mad_u64_u32 v[12:13], s[0:1], v5, s16, 0
	v_mul_hi_u32 v10, v5, s31
	v_xor_b32_e32 v8, v8, v3
	v_mad_u64_u32 v[14:15], s[0:1], v8, s16, 0
	v_add_co_u32_e32 v10, vcc, v10, v12
	v_addc_co_u32_e32 v16, vcc, 0, v13, vcc
	v_mad_u64_u32 v[12:13], s[0:1], v8, s31, 0
	v_xor_b32_e32 v3, s38, v3
	v_add_co_u32_e32 v10, vcc, v10, v12
	v_addc_co_u32_e32 v10, vcc, v16, v13, vcc
	v_addc_co_u32_e32 v12, vcc, 0, v15, vcc
	v_add_co_u32_e32 v10, vcc, v10, v14
	v_addc_co_u32_e32 v14, vcc, 0, v12, vcc
	v_mul_lo_u32 v15, s41, v10
	v_mul_lo_u32 v16, s40, v14
	v_mad_u64_u32 v[12:13], s[0:1], s40, v10, 0
	v_add3_u32 v13, v13, v16, v15
	v_sub_u32_e32 v15, v8, v13
	v_mov_b32_e32 v16, s41
	v_sub_co_u32_e32 v5, vcc, v5, v12
	v_subb_co_u32_e64 v12, s[0:1], v15, v16, vcc
	v_subrev_co_u32_e64 v15, s[0:1], s40, v5
	v_subbrev_co_u32_e64 v12, s[0:1], 0, v12, s[0:1]
	v_cmp_le_u32_e64 s[0:1], s41, v12
	v_cndmask_b32_e64 v16, 0, -1, s[0:1]
	v_cmp_le_u32_e64 s[0:1], s40, v15
	v_cndmask_b32_e64 v15, 0, -1, s[0:1]
	v_cmp_eq_u32_e64 s[0:1], s41, v12
	v_cndmask_b32_e64 v12, v16, v15, s[0:1]
	v_add_co_u32_e64 v15, s[0:1], 2, v10
	v_subb_co_u32_e32 v8, vcc, v8, v13, vcc
	v_addc_co_u32_e64 v16, s[0:1], 0, v14, s[0:1]
	v_cmp_le_u32_e32 vcc, s41, v8
	v_add_co_u32_e64 v17, s[0:1], 1, v10
	v_cndmask_b32_e64 v13, 0, -1, vcc
	v_cmp_le_u32_e32 vcc, s40, v5
	v_addc_co_u32_e64 v18, s[0:1], 0, v14, s[0:1]
	v_cndmask_b32_e64 v5, 0, -1, vcc
	v_cmp_eq_u32_e32 vcc, s41, v8
	v_cmp_ne_u32_e64 s[0:1], 0, v12
	v_cndmask_b32_e32 v5, v13, v5, vcc
	v_cmp_ne_u32_e32 vcc, 0, v5
	v_cndmask_b32_e64 v8, v17, v15, s[0:1]
	v_cndmask_b32_e64 v12, v18, v16, s[0:1]
	v_cndmask_b32_e32 v8, v10, v8, vcc
	v_cndmask_b32_e32 v5, v14, v12, vcc
	v_xor_b32_e32 v8, v8, v3
	v_xor_b32_e32 v5, v5, v3
	v_sub_co_u32_e32 v13, vcc, v8, v3
	v_subb_co_u32_e32 v14, vcc, v5, v3, vcc
.LBB4_33:                               ;   in Loop: Header=BB4_23 Depth=2
	s_andn2_saveexec_b64 s[0:1], s[36:37]
	s_cbranch_execz .LBB4_35
; %bb.34:                               ;   in Loop: Header=BB4_23 Depth=2
	v_cvt_f32_u32_e32 v3, s52
	s_sub_i32 s16, 0, s52
	v_mov_b32_e32 v14, v2
	v_rcp_iflag_f32_e32 v3, v3
	v_mul_f32_e32 v3, 0x4f7ffffe, v3
	v_cvt_u32_f32_e32 v3, v3
	v_mul_lo_u32 v5, s16, v3
	v_mul_hi_u32 v5, v3, v5
	v_add_u32_e32 v3, v3, v5
	v_mul_hi_u32 v3, v11, v3
	v_mul_lo_u32 v5, v3, s52
	v_add_u32_e32 v8, 1, v3
	v_sub_u32_e32 v5, v11, v5
	v_subrev_u32_e32 v10, s52, v5
	v_cmp_le_u32_e32 vcc, s52, v5
	v_cndmask_b32_e32 v5, v5, v10, vcc
	v_cndmask_b32_e32 v3, v3, v8, vcc
	v_add_u32_e32 v8, 1, v3
	v_cmp_le_u32_e32 vcc, s52, v5
	v_cndmask_b32_e32 v13, v3, v8, vcc
.LBB4_35:                               ;   in Loop: Header=BB4_23 Depth=2
	s_or_b64 exec, exec, s[0:1]
	s_add_u32 s0, s4, s34
	s_addc_u32 s1, s5, s35
	s_add_i32 s16, s30, 4
	s_lshl_b64 s[34:35], s[16:17], 2
	s_add_u32 s36, s42, s34
	s_addc_u32 s37, s43, s35
	s_load_dword s54, s[36:37], 0x8
	s_load_dword s53, s[0:1], 0x6c
                                        ; implicit-def: $vgpr15_vgpr16
	s_waitcnt lgkmcnt(0)
	s_ashr_i32 s0, s54, 31
	v_or_b32_e32 v3, s0, v14
	v_cmp_ne_u64_e32 vcc, 0, v[2:3]
	s_and_saveexec_b64 s[36:37], vcc
	s_xor_b64 s[36:37], exec, s[36:37]
	s_cbranch_execz .LBB4_37
; %bb.36:                               ;   in Loop: Header=BB4_23 Depth=2
	s_ashr_i32 s38, s0, 31
	s_add_u32 s40, s54, s38
	s_mov_b32 s39, s38
	s_addc_u32 s41, s0, s38
	s_xor_b64 s[40:41], s[40:41], s[38:39]
	v_cvt_f32_u32_e32 v3, s40
	v_cvt_f32_u32_e32 v5, s41
	s_sub_u32 s16, 0, s40
	s_subb_u32 s31, 0, s41
	v_mac_f32_e32 v3, 0x4f800000, v5
	v_rcp_f32_e32 v3, v3
	v_mul_f32_e32 v3, 0x5f7ffffc, v3
	v_mul_f32_e32 v5, 0x2f800000, v3
	v_trunc_f32_e32 v5, v5
	v_mac_f32_e32 v3, 0xcf800000, v5
	v_cvt_u32_f32_e32 v5, v5
	v_cvt_u32_f32_e32 v3, v3
	v_readfirstlane_b32 s39, v5
	v_readfirstlane_b32 s0, v3
	s_mul_i32 s1, s16, s39
	s_mul_hi_u32 s56, s16, s0
	s_mul_i32 s55, s31, s0
	s_add_i32 s1, s56, s1
	s_add_i32 s1, s1, s55
	s_mul_i32 s57, s16, s0
	s_mul_i32 s56, s0, s1
	s_mul_hi_u32 s58, s0, s57
	s_mul_hi_u32 s55, s0, s1
	s_add_u32 s56, s58, s56
	s_addc_u32 s55, 0, s55
	s_mul_hi_u32 s59, s39, s57
	s_mul_i32 s57, s39, s57
	s_add_u32 s56, s56, s57
	s_mul_hi_u32 s58, s39, s1
	s_addc_u32 s55, s55, s59
	s_addc_u32 s56, s58, 0
	s_mul_i32 s1, s39, s1
	s_add_u32 s1, s55, s1
	s_addc_u32 s55, 0, s56
	s_add_u32 s56, s0, s1
	s_cselect_b64 s[0:1], -1, 0
	s_cmp_lg_u64 s[0:1], 0
	s_addc_u32 s39, s39, s55
	s_mul_i32 s0, s16, s39
	s_mul_hi_u32 s1, s16, s56
	s_add_i32 s0, s1, s0
	s_mul_i32 s31, s31, s56
	s_add_i32 s0, s0, s31
	s_mul_i32 s16, s16, s56
	s_mul_hi_u32 s31, s39, s16
	s_mul_i32 s55, s39, s16
	s_mul_i32 s58, s56, s0
	s_mul_hi_u32 s16, s56, s16
	s_mul_hi_u32 s57, s56, s0
	s_add_u32 s16, s16, s58
	s_addc_u32 s57, 0, s57
	s_add_u32 s16, s16, s55
	s_mul_hi_u32 s1, s39, s0
	s_addc_u32 s16, s57, s31
	s_addc_u32 s1, s1, 0
	s_mul_i32 s0, s39, s0
	s_add_u32 s0, s16, s0
	s_addc_u32 s16, 0, s1
	s_add_u32 s31, s56, s0
	s_cselect_b64 s[0:1], -1, 0
	v_ashrrev_i32_e32 v3, 31, v14
	s_cmp_lg_u64 s[0:1], 0
	v_add_co_u32_e32 v5, vcc, v13, v3
	s_addc_u32 s16, s39, s16
	v_xor_b32_e32 v5, v5, v3
	v_addc_co_u32_e32 v8, vcc, v14, v3, vcc
	v_mad_u64_u32 v[14:15], s[0:1], v5, s16, 0
	v_mul_hi_u32 v10, v5, s31
	v_xor_b32_e32 v8, v8, v3
	v_mad_u64_u32 v[16:17], s[0:1], v8, s16, 0
	v_add_co_u32_e32 v10, vcc, v10, v14
	v_addc_co_u32_e32 v12, vcc, 0, v15, vcc
	v_mad_u64_u32 v[14:15], s[0:1], v8, s31, 0
	v_xor_b32_e32 v3, s38, v3
	v_add_co_u32_e32 v10, vcc, v10, v14
	v_addc_co_u32_e32 v10, vcc, v12, v15, vcc
	v_addc_co_u32_e32 v12, vcc, 0, v17, vcc
	v_add_co_u32_e32 v10, vcc, v10, v16
	v_addc_co_u32_e32 v12, vcc, 0, v12, vcc
	v_mul_lo_u32 v16, s41, v10
	v_mul_lo_u32 v17, s40, v12
	v_mad_u64_u32 v[14:15], s[0:1], s40, v10, 0
	v_add3_u32 v15, v15, v17, v16
	v_sub_u32_e32 v16, v8, v15
	v_mov_b32_e32 v17, s41
	v_sub_co_u32_e32 v5, vcc, v5, v14
	v_subb_co_u32_e64 v14, s[0:1], v16, v17, vcc
	v_subrev_co_u32_e64 v16, s[0:1], s40, v5
	v_subbrev_co_u32_e64 v14, s[0:1], 0, v14, s[0:1]
	v_cmp_le_u32_e64 s[0:1], s41, v14
	v_cndmask_b32_e64 v17, 0, -1, s[0:1]
	v_cmp_le_u32_e64 s[0:1], s40, v16
	v_cndmask_b32_e64 v16, 0, -1, s[0:1]
	v_cmp_eq_u32_e64 s[0:1], s41, v14
	v_cndmask_b32_e64 v14, v17, v16, s[0:1]
	v_add_co_u32_e64 v16, s[0:1], 2, v10
	v_subb_co_u32_e32 v8, vcc, v8, v15, vcc
	v_addc_co_u32_e64 v17, s[0:1], 0, v12, s[0:1]
	v_cmp_le_u32_e32 vcc, s41, v8
	v_add_co_u32_e64 v18, s[0:1], 1, v10
	v_cndmask_b32_e64 v15, 0, -1, vcc
	v_cmp_le_u32_e32 vcc, s40, v5
	v_addc_co_u32_e64 v19, s[0:1], 0, v12, s[0:1]
	v_cndmask_b32_e64 v5, 0, -1, vcc
	v_cmp_eq_u32_e32 vcc, s41, v8
	v_cmp_ne_u32_e64 s[0:1], 0, v14
	v_cndmask_b32_e32 v5, v15, v5, vcc
	v_cmp_ne_u32_e32 vcc, 0, v5
	v_cndmask_b32_e64 v8, v18, v16, s[0:1]
	v_cndmask_b32_e64 v14, v19, v17, s[0:1]
	v_cndmask_b32_e32 v8, v10, v8, vcc
	v_cndmask_b32_e32 v5, v12, v14, vcc
	v_xor_b32_e32 v8, v8, v3
	v_xor_b32_e32 v5, v5, v3
	v_sub_co_u32_e32 v15, vcc, v8, v3
	v_subb_co_u32_e32 v16, vcc, v5, v3, vcc
.LBB4_37:                               ;   in Loop: Header=BB4_23 Depth=2
	s_andn2_saveexec_b64 s[0:1], s[36:37]
	s_cbranch_execz .LBB4_39
; %bb.38:                               ;   in Loop: Header=BB4_23 Depth=2
	v_cvt_f32_u32_e32 v3, s54
	s_sub_i32 s16, 0, s54
	v_mov_b32_e32 v16, v2
	v_rcp_iflag_f32_e32 v3, v3
	v_mul_f32_e32 v3, 0x4f7ffffe, v3
	v_cvt_u32_f32_e32 v3, v3
	v_mul_lo_u32 v5, s16, v3
	v_mul_hi_u32 v5, v3, v5
	v_add_u32_e32 v3, v3, v5
	v_mul_hi_u32 v3, v13, v3
	v_mul_lo_u32 v5, v3, s54
	v_add_u32_e32 v8, 1, v3
	v_sub_u32_e32 v5, v13, v5
	v_subrev_u32_e32 v10, s54, v5
	v_cmp_le_u32_e32 vcc, s54, v5
	v_cndmask_b32_e32 v5, v5, v10, vcc
	v_cndmask_b32_e32 v3, v3, v8, vcc
	v_add_u32_e32 v8, 1, v3
	v_cmp_le_u32_e32 vcc, s54, v5
	v_cndmask_b32_e32 v15, v3, v8, vcc
.LBB4_39:                               ;   in Loop: Header=BB4_23 Depth=2
	s_or_b64 exec, exec, s[0:1]
	s_add_u32 s0, s4, s34
	s_addc_u32 s1, s5, s35
	s_add_i32 s16, s30, 3
	s_lshl_b64 s[34:35], s[16:17], 2
	s_add_u32 s36, s42, s34
	s_addc_u32 s37, s43, s35
	s_load_dword s55, s[36:37], 0x8
	s_load_dword s56, s[0:1], 0x6c
                                        ; implicit-def: $vgpr17_vgpr18
	s_waitcnt lgkmcnt(0)
	s_ashr_i32 s0, s55, 31
	v_or_b32_e32 v3, s0, v16
	v_cmp_ne_u64_e32 vcc, 0, v[2:3]
	s_and_saveexec_b64 s[36:37], vcc
	s_xor_b64 s[36:37], exec, s[36:37]
	s_cbranch_execz .LBB4_41
; %bb.40:                               ;   in Loop: Header=BB4_23 Depth=2
	s_ashr_i32 s38, s0, 31
	s_add_u32 s40, s55, s38
	s_mov_b32 s39, s38
	s_addc_u32 s41, s0, s38
	s_xor_b64 s[40:41], s[40:41], s[38:39]
	v_cvt_f32_u32_e32 v3, s40
	v_cvt_f32_u32_e32 v5, s41
	s_sub_u32 s16, 0, s40
	s_subb_u32 s31, 0, s41
	v_mac_f32_e32 v3, 0x4f800000, v5
	v_rcp_f32_e32 v3, v3
	v_mul_f32_e32 v3, 0x5f7ffffc, v3
	v_mul_f32_e32 v5, 0x2f800000, v3
	v_trunc_f32_e32 v5, v5
	v_mac_f32_e32 v3, 0xcf800000, v5
	v_cvt_u32_f32_e32 v5, v5
	v_cvt_u32_f32_e32 v3, v3
	v_readfirstlane_b32 s39, v5
	v_readfirstlane_b32 s0, v3
	s_mul_i32 s1, s16, s39
	s_mul_hi_u32 s58, s16, s0
	s_mul_i32 s57, s31, s0
	s_add_i32 s1, s58, s1
	s_add_i32 s1, s1, s57
	s_mul_i32 s59, s16, s0
	s_mul_i32 s58, s0, s1
	s_mul_hi_u32 s60, s0, s59
	s_mul_hi_u32 s57, s0, s1
	s_add_u32 s58, s60, s58
	s_addc_u32 s57, 0, s57
	s_mul_hi_u32 s61, s39, s59
	s_mul_i32 s59, s39, s59
	s_add_u32 s58, s58, s59
	s_mul_hi_u32 s60, s39, s1
	s_addc_u32 s57, s57, s61
	s_addc_u32 s58, s60, 0
	s_mul_i32 s1, s39, s1
	s_add_u32 s1, s57, s1
	s_addc_u32 s57, 0, s58
	s_add_u32 s58, s0, s1
	s_cselect_b64 s[0:1], -1, 0
	s_cmp_lg_u64 s[0:1], 0
	s_addc_u32 s39, s39, s57
	s_mul_i32 s0, s16, s39
	s_mul_hi_u32 s1, s16, s58
	s_add_i32 s0, s1, s0
	s_mul_i32 s31, s31, s58
	s_add_i32 s0, s0, s31
	s_mul_i32 s16, s16, s58
	s_mul_hi_u32 s31, s39, s16
	s_mul_i32 s57, s39, s16
	s_mul_i32 s60, s58, s0
	s_mul_hi_u32 s16, s58, s16
	s_mul_hi_u32 s59, s58, s0
	s_add_u32 s16, s16, s60
	s_addc_u32 s59, 0, s59
	s_add_u32 s16, s16, s57
	s_mul_hi_u32 s1, s39, s0
	s_addc_u32 s16, s59, s31
	s_addc_u32 s1, s1, 0
	s_mul_i32 s0, s39, s0
	s_add_u32 s0, s16, s0
	s_addc_u32 s16, 0, s1
	s_add_u32 s31, s58, s0
	s_cselect_b64 s[0:1], -1, 0
	v_ashrrev_i32_e32 v3, 31, v16
	s_cmp_lg_u64 s[0:1], 0
	v_add_co_u32_e32 v5, vcc, v15, v3
	s_addc_u32 s16, s39, s16
	v_xor_b32_e32 v5, v5, v3
	v_addc_co_u32_e32 v8, vcc, v16, v3, vcc
	v_mad_u64_u32 v[16:17], s[0:1], v5, s16, 0
	v_mul_hi_u32 v10, v5, s31
	v_xor_b32_e32 v8, v8, v3
	v_mad_u64_u32 v[18:19], s[0:1], v8, s16, 0
	v_add_co_u32_e32 v10, vcc, v10, v16
	v_addc_co_u32_e32 v12, vcc, 0, v17, vcc
	v_mad_u64_u32 v[16:17], s[0:1], v8, s31, 0
	v_xor_b32_e32 v3, s38, v3
	v_add_co_u32_e32 v10, vcc, v10, v16
	v_addc_co_u32_e32 v10, vcc, v12, v17, vcc
	v_addc_co_u32_e32 v12, vcc, 0, v19, vcc
	v_add_co_u32_e32 v10, vcc, v10, v18
	v_addc_co_u32_e32 v12, vcc, 0, v12, vcc
	v_mul_lo_u32 v14, s41, v10
	v_mul_lo_u32 v18, s40, v12
	v_mad_u64_u32 v[16:17], s[0:1], s40, v10, 0
	v_add3_u32 v14, v17, v18, v14
	v_sub_u32_e32 v17, v8, v14
	v_mov_b32_e32 v18, s41
	v_sub_co_u32_e32 v5, vcc, v5, v16
	v_subb_co_u32_e64 v16, s[0:1], v17, v18, vcc
	v_subrev_co_u32_e64 v17, s[0:1], s40, v5
	v_subbrev_co_u32_e64 v16, s[0:1], 0, v16, s[0:1]
	v_cmp_le_u32_e64 s[0:1], s41, v16
	v_cndmask_b32_e64 v18, 0, -1, s[0:1]
	v_cmp_le_u32_e64 s[0:1], s40, v17
	v_cndmask_b32_e64 v17, 0, -1, s[0:1]
	v_cmp_eq_u32_e64 s[0:1], s41, v16
	v_cndmask_b32_e64 v16, v18, v17, s[0:1]
	v_add_co_u32_e64 v17, s[0:1], 2, v10
	v_subb_co_u32_e32 v8, vcc, v8, v14, vcc
	v_addc_co_u32_e64 v18, s[0:1], 0, v12, s[0:1]
	v_cmp_le_u32_e32 vcc, s41, v8
	v_add_co_u32_e64 v19, s[0:1], 1, v10
	v_cndmask_b32_e64 v14, 0, -1, vcc
	v_cmp_le_u32_e32 vcc, s40, v5
	v_addc_co_u32_e64 v20, s[0:1], 0, v12, s[0:1]
	v_cndmask_b32_e64 v5, 0, -1, vcc
	v_cmp_eq_u32_e32 vcc, s41, v8
	v_cmp_ne_u32_e64 s[0:1], 0, v16
	v_cndmask_b32_e32 v5, v14, v5, vcc
	v_cmp_ne_u32_e32 vcc, 0, v5
	v_cndmask_b32_e64 v8, v19, v17, s[0:1]
	v_cndmask_b32_e64 v16, v20, v18, s[0:1]
	v_cndmask_b32_e32 v8, v10, v8, vcc
	v_cndmask_b32_e32 v5, v12, v16, vcc
	v_xor_b32_e32 v8, v8, v3
	v_xor_b32_e32 v5, v5, v3
	v_sub_co_u32_e32 v17, vcc, v8, v3
	v_subb_co_u32_e32 v18, vcc, v5, v3, vcc
.LBB4_41:                               ;   in Loop: Header=BB4_23 Depth=2
	s_andn2_saveexec_b64 s[0:1], s[36:37]
	s_cbranch_execz .LBB4_43
; %bb.42:                               ;   in Loop: Header=BB4_23 Depth=2
	v_cvt_f32_u32_e32 v3, s55
	s_sub_i32 s16, 0, s55
	v_mov_b32_e32 v18, v2
	v_rcp_iflag_f32_e32 v3, v3
	v_mul_f32_e32 v3, 0x4f7ffffe, v3
	v_cvt_u32_f32_e32 v3, v3
	v_mul_lo_u32 v5, s16, v3
	v_mul_hi_u32 v5, v3, v5
	v_add_u32_e32 v3, v3, v5
	v_mul_hi_u32 v3, v15, v3
	v_mul_lo_u32 v5, v3, s55
	v_add_u32_e32 v8, 1, v3
	v_sub_u32_e32 v5, v15, v5
	v_subrev_u32_e32 v10, s55, v5
	v_cmp_le_u32_e32 vcc, s55, v5
	v_cndmask_b32_e32 v5, v5, v10, vcc
	v_cndmask_b32_e32 v3, v3, v8, vcc
	v_add_u32_e32 v8, 1, v3
	v_cmp_le_u32_e32 vcc, s55, v5
	v_cndmask_b32_e32 v17, v3, v8, vcc
.LBB4_43:                               ;   in Loop: Header=BB4_23 Depth=2
	s_or_b64 exec, exec, s[0:1]
	s_add_u32 s0, s4, s34
	s_addc_u32 s1, s5, s35
	s_add_i32 s16, s30, 2
	s_lshl_b64 s[34:35], s[16:17], 2
	s_add_u32 s36, s42, s34
	s_addc_u32 s37, s43, s35
	s_load_dword s58, s[36:37], 0x8
	s_load_dword s57, s[0:1], 0x6c
                                        ; implicit-def: $vgpr19_vgpr20
	s_waitcnt lgkmcnt(0)
	s_ashr_i32 s0, s58, 31
	v_or_b32_e32 v3, s0, v18
	v_cmp_ne_u64_e32 vcc, 0, v[2:3]
	s_and_saveexec_b64 s[36:37], vcc
	s_xor_b64 s[36:37], exec, s[36:37]
	s_cbranch_execz .LBB4_45
; %bb.44:                               ;   in Loop: Header=BB4_23 Depth=2
	s_ashr_i32 s38, s0, 31
	s_add_u32 s40, s58, s38
	s_mov_b32 s39, s38
	s_addc_u32 s41, s0, s38
	s_xor_b64 s[40:41], s[40:41], s[38:39]
	v_cvt_f32_u32_e32 v3, s40
	v_cvt_f32_u32_e32 v5, s41
	s_sub_u32 s16, 0, s40
	s_subb_u32 s31, 0, s41
	v_mac_f32_e32 v3, 0x4f800000, v5
	v_rcp_f32_e32 v3, v3
	v_mul_f32_e32 v3, 0x5f7ffffc, v3
	v_mul_f32_e32 v5, 0x2f800000, v3
	v_trunc_f32_e32 v5, v5
	v_mac_f32_e32 v3, 0xcf800000, v5
	v_cvt_u32_f32_e32 v5, v5
	v_cvt_u32_f32_e32 v3, v3
	v_readfirstlane_b32 s39, v5
	v_readfirstlane_b32 s0, v3
	s_mul_i32 s1, s16, s39
	s_mul_hi_u32 s60, s16, s0
	s_mul_i32 s59, s31, s0
	s_add_i32 s1, s60, s1
	s_add_i32 s1, s1, s59
	s_mul_i32 s61, s16, s0
	s_mul_i32 s60, s0, s1
	s_mul_hi_u32 s62, s0, s61
	s_mul_hi_u32 s59, s0, s1
	s_add_u32 s60, s62, s60
	s_addc_u32 s59, 0, s59
	s_mul_hi_u32 s63, s39, s61
	s_mul_i32 s61, s39, s61
	s_add_u32 s60, s60, s61
	s_mul_hi_u32 s62, s39, s1
	s_addc_u32 s59, s59, s63
	s_addc_u32 s60, s62, 0
	s_mul_i32 s1, s39, s1
	s_add_u32 s1, s59, s1
	s_addc_u32 s59, 0, s60
	s_add_u32 s60, s0, s1
	s_cselect_b64 s[0:1], -1, 0
	s_cmp_lg_u64 s[0:1], 0
	s_addc_u32 s39, s39, s59
	s_mul_i32 s0, s16, s39
	s_mul_hi_u32 s1, s16, s60
	s_add_i32 s0, s1, s0
	s_mul_i32 s31, s31, s60
	s_add_i32 s0, s0, s31
	s_mul_i32 s16, s16, s60
	s_mul_hi_u32 s31, s39, s16
	s_mul_i32 s59, s39, s16
	s_mul_i32 s62, s60, s0
	s_mul_hi_u32 s16, s60, s16
	s_mul_hi_u32 s61, s60, s0
	s_add_u32 s16, s16, s62
	s_addc_u32 s61, 0, s61
	s_add_u32 s16, s16, s59
	s_mul_hi_u32 s1, s39, s0
	s_addc_u32 s16, s61, s31
	s_addc_u32 s1, s1, 0
	s_mul_i32 s0, s39, s0
	s_add_u32 s0, s16, s0
	s_addc_u32 s16, 0, s1
	s_add_u32 s31, s60, s0
	s_cselect_b64 s[0:1], -1, 0
	v_ashrrev_i32_e32 v3, 31, v18
	s_cmp_lg_u64 s[0:1], 0
	v_add_co_u32_e32 v5, vcc, v17, v3
	s_addc_u32 s16, s39, s16
	v_xor_b32_e32 v5, v5, v3
	v_addc_co_u32_e32 v8, vcc, v18, v3, vcc
	v_mad_u64_u32 v[18:19], s[0:1], v5, s16, 0
	v_mul_hi_u32 v10, v5, s31
	v_xor_b32_e32 v8, v8, v3
	v_mad_u64_u32 v[20:21], s[0:1], v8, s16, 0
	v_add_co_u32_e32 v10, vcc, v10, v18
	v_addc_co_u32_e32 v12, vcc, 0, v19, vcc
	v_mad_u64_u32 v[18:19], s[0:1], v8, s31, 0
	v_xor_b32_e32 v3, s38, v3
	v_add_co_u32_e32 v10, vcc, v10, v18
	v_addc_co_u32_e32 v10, vcc, v12, v19, vcc
	v_addc_co_u32_e32 v12, vcc, 0, v21, vcc
	v_add_co_u32_e32 v10, vcc, v10, v20
	v_addc_co_u32_e32 v12, vcc, 0, v12, vcc
	v_mul_lo_u32 v14, s41, v10
	v_mul_lo_u32 v16, s40, v12
	v_mad_u64_u32 v[18:19], s[0:1], s40, v10, 0
	v_add3_u32 v14, v19, v16, v14
	v_sub_u32_e32 v16, v8, v14
	v_mov_b32_e32 v19, s41
	v_sub_co_u32_e32 v5, vcc, v5, v18
	v_subb_co_u32_e64 v16, s[0:1], v16, v19, vcc
	v_subrev_co_u32_e64 v18, s[0:1], s40, v5
	v_subbrev_co_u32_e64 v16, s[0:1], 0, v16, s[0:1]
	v_cmp_le_u32_e64 s[0:1], s41, v16
	v_cndmask_b32_e64 v19, 0, -1, s[0:1]
	v_cmp_le_u32_e64 s[0:1], s40, v18
	v_cndmask_b32_e64 v18, 0, -1, s[0:1]
	v_cmp_eq_u32_e64 s[0:1], s41, v16
	v_cndmask_b32_e64 v16, v19, v18, s[0:1]
	v_add_co_u32_e64 v18, s[0:1], 2, v10
	v_subb_co_u32_e32 v8, vcc, v8, v14, vcc
	v_addc_co_u32_e64 v19, s[0:1], 0, v12, s[0:1]
	v_cmp_le_u32_e32 vcc, s41, v8
	v_add_co_u32_e64 v20, s[0:1], 1, v10
	v_cndmask_b32_e64 v14, 0, -1, vcc
	v_cmp_le_u32_e32 vcc, s40, v5
	v_addc_co_u32_e64 v21, s[0:1], 0, v12, s[0:1]
	v_cndmask_b32_e64 v5, 0, -1, vcc
	v_cmp_eq_u32_e32 vcc, s41, v8
	v_cmp_ne_u32_e64 s[0:1], 0, v16
	v_cndmask_b32_e32 v5, v14, v5, vcc
	v_cmp_ne_u32_e32 vcc, 0, v5
	v_cndmask_b32_e64 v8, v20, v18, s[0:1]
	v_cndmask_b32_e64 v16, v21, v19, s[0:1]
	v_cndmask_b32_e32 v8, v10, v8, vcc
	v_cndmask_b32_e32 v5, v12, v16, vcc
	v_xor_b32_e32 v8, v8, v3
	v_xor_b32_e32 v5, v5, v3
	v_sub_co_u32_e32 v19, vcc, v8, v3
	v_subb_co_u32_e32 v20, vcc, v5, v3, vcc
.LBB4_45:                               ;   in Loop: Header=BB4_23 Depth=2
	s_andn2_saveexec_b64 s[0:1], s[36:37]
	s_cbranch_execz .LBB4_47
; %bb.46:                               ;   in Loop: Header=BB4_23 Depth=2
	v_cvt_f32_u32_e32 v3, s58
	s_sub_i32 s16, 0, s58
	v_mov_b32_e32 v20, v2
	v_rcp_iflag_f32_e32 v3, v3
	v_mul_f32_e32 v3, 0x4f7ffffe, v3
	v_cvt_u32_f32_e32 v3, v3
	v_mul_lo_u32 v5, s16, v3
	v_mul_hi_u32 v5, v3, v5
	v_add_u32_e32 v3, v3, v5
	v_mul_hi_u32 v3, v17, v3
	v_mul_lo_u32 v5, v3, s58
	v_add_u32_e32 v8, 1, v3
	v_sub_u32_e32 v5, v17, v5
	v_subrev_u32_e32 v10, s58, v5
	v_cmp_le_u32_e32 vcc, s58, v5
	v_cndmask_b32_e32 v5, v5, v10, vcc
	v_cndmask_b32_e32 v3, v3, v8, vcc
	v_add_u32_e32 v8, 1, v3
	v_cmp_le_u32_e32 vcc, s58, v5
	v_cndmask_b32_e32 v19, v3, v8, vcc
.LBB4_47:                               ;   in Loop: Header=BB4_23 Depth=2
	s_or_b64 exec, exec, s[0:1]
	s_add_u32 s0, s4, s34
	s_addc_u32 s1, s5, s35
	s_add_i32 s16, s30, 1
	s_lshl_b64 s[34:35], s[16:17], 2
	s_add_u32 s36, s42, s34
	s_addc_u32 s37, s43, s35
	s_load_dword s59, s[36:37], 0x8
	s_load_dword s16, s[0:1], 0x6c
                                        ; implicit-def: $vgpr21_vgpr22
	s_waitcnt lgkmcnt(0)
	s_ashr_i32 s0, s59, 31
	v_or_b32_e32 v3, s0, v20
	v_cmp_ne_u64_e32 vcc, 0, v[2:3]
	s_and_saveexec_b64 s[36:37], vcc
	s_xor_b64 s[36:37], exec, s[36:37]
	s_cbranch_execz .LBB4_49
; %bb.48:                               ;   in Loop: Header=BB4_23 Depth=2
	s_ashr_i32 s38, s0, 31
	s_add_u32 s40, s59, s38
	s_mov_b32 s39, s38
	s_addc_u32 s41, s0, s38
	s_xor_b64 s[40:41], s[40:41], s[38:39]
	v_cvt_f32_u32_e32 v3, s40
	v_cvt_f32_u32_e32 v5, s41
	s_sub_u32 s31, 0, s40
	s_subb_u32 s39, 0, s41
	v_mov_b32_e32 v18, s41
	v_mac_f32_e32 v3, 0x4f800000, v5
	v_rcp_f32_e32 v3, v3
	v_mul_f32_e32 v3, 0x5f7ffffc, v3
	v_mul_f32_e32 v5, 0x2f800000, v3
	v_trunc_f32_e32 v5, v5
	v_mac_f32_e32 v3, 0xcf800000, v5
	v_cvt_u32_f32_e32 v5, v5
	v_cvt_u32_f32_e32 v3, v3
	v_readfirstlane_b32 s60, v5
	v_readfirstlane_b32 s0, v3
	s_mul_i32 s1, s31, s60
	s_mul_hi_u32 s62, s31, s0
	s_mul_i32 s61, s39, s0
	s_add_i32 s1, s62, s1
	s_add_i32 s1, s1, s61
	s_mul_i32 s63, s31, s0
	s_mul_i32 s62, s0, s1
	s_mul_hi_u32 s64, s0, s63
	s_mul_hi_u32 s61, s0, s1
	s_add_u32 s62, s64, s62
	s_addc_u32 s61, 0, s61
	s_mul_hi_u32 s65, s60, s63
	s_mul_i32 s63, s60, s63
	s_add_u32 s62, s62, s63
	s_mul_hi_u32 s64, s60, s1
	s_addc_u32 s61, s61, s65
	s_addc_u32 s62, s64, 0
	s_mul_i32 s1, s60, s1
	s_add_u32 s1, s61, s1
	s_addc_u32 s61, 0, s62
	s_add_u32 s62, s0, s1
	s_cselect_b64 s[0:1], -1, 0
	s_cmp_lg_u64 s[0:1], 0
	s_addc_u32 s60, s60, s61
	s_mul_i32 s0, s31, s60
	s_mul_hi_u32 s1, s31, s62
	s_add_i32 s0, s1, s0
	s_mul_i32 s39, s39, s62
	s_add_i32 s0, s0, s39
	s_mul_i32 s31, s31, s62
	s_mul_hi_u32 s39, s60, s31
	s_mul_i32 s61, s60, s31
	s_mul_i32 s64, s62, s0
	s_mul_hi_u32 s31, s62, s31
	s_mul_hi_u32 s63, s62, s0
	s_add_u32 s31, s31, s64
	s_addc_u32 s63, 0, s63
	s_add_u32 s31, s31, s61
	s_mul_hi_u32 s1, s60, s0
	s_addc_u32 s31, s63, s39
	s_addc_u32 s1, s1, 0
	s_mul_i32 s0, s60, s0
	s_add_u32 s0, s31, s0
	s_addc_u32 s31, 0, s1
	s_add_u32 s39, s62, s0
	s_cselect_b64 s[0:1], -1, 0
	v_ashrrev_i32_e32 v3, 31, v20
	s_cmp_lg_u64 s[0:1], 0
	v_add_co_u32_e32 v5, vcc, v19, v3
	s_addc_u32 s31, s60, s31
	v_xor_b32_e32 v5, v5, v3
	v_addc_co_u32_e32 v8, vcc, v20, v3, vcc
	v_mad_u64_u32 v[20:21], s[0:1], v5, s31, 0
	v_mul_hi_u32 v10, v5, s39
	v_xor_b32_e32 v8, v8, v3
	v_mad_u64_u32 v[22:23], s[0:1], v8, s31, 0
	v_add_co_u32_e32 v10, vcc, v10, v20
	v_addc_co_u32_e32 v12, vcc, 0, v21, vcc
	v_mad_u64_u32 v[20:21], s[0:1], v8, s39, 0
	v_xor_b32_e32 v3, s38, v3
	v_add_co_u32_e32 v10, vcc, v10, v20
	v_addc_co_u32_e32 v10, vcc, v12, v21, vcc
	v_addc_co_u32_e32 v12, vcc, 0, v23, vcc
	v_add_co_u32_e32 v10, vcc, v10, v22
	v_addc_co_u32_e32 v12, vcc, 0, v12, vcc
	v_mul_lo_u32 v14, s41, v10
	v_mul_lo_u32 v16, s40, v12
	v_mad_u64_u32 v[20:21], s[0:1], s40, v10, 0
	v_add3_u32 v14, v21, v16, v14
	v_sub_u32_e32 v16, v8, v14
	v_sub_co_u32_e32 v5, vcc, v5, v20
	v_subb_co_u32_e64 v16, s[0:1], v16, v18, vcc
	v_subrev_co_u32_e64 v18, s[0:1], s40, v5
	v_subbrev_co_u32_e64 v16, s[0:1], 0, v16, s[0:1]
	v_cmp_le_u32_e64 s[0:1], s41, v16
	v_cndmask_b32_e64 v20, 0, -1, s[0:1]
	v_cmp_le_u32_e64 s[0:1], s40, v18
	v_cndmask_b32_e64 v18, 0, -1, s[0:1]
	v_cmp_eq_u32_e64 s[0:1], s41, v16
	v_cndmask_b32_e64 v16, v20, v18, s[0:1]
	v_add_co_u32_e64 v18, s[0:1], 2, v10
	v_subb_co_u32_e32 v8, vcc, v8, v14, vcc
	v_addc_co_u32_e64 v20, s[0:1], 0, v12, s[0:1]
	v_cmp_le_u32_e32 vcc, s41, v8
	v_add_co_u32_e64 v21, s[0:1], 1, v10
	v_cndmask_b32_e64 v14, 0, -1, vcc
	v_cmp_le_u32_e32 vcc, s40, v5
	v_addc_co_u32_e64 v22, s[0:1], 0, v12, s[0:1]
	v_cndmask_b32_e64 v5, 0, -1, vcc
	v_cmp_eq_u32_e32 vcc, s41, v8
	v_cmp_ne_u32_e64 s[0:1], 0, v16
	v_cndmask_b32_e32 v5, v14, v5, vcc
	v_cmp_ne_u32_e32 vcc, 0, v5
	v_cndmask_b32_e64 v8, v21, v18, s[0:1]
	v_cndmask_b32_e64 v16, v22, v20, s[0:1]
	v_cndmask_b32_e32 v8, v10, v8, vcc
	v_cndmask_b32_e32 v5, v12, v16, vcc
	v_xor_b32_e32 v8, v8, v3
	v_xor_b32_e32 v5, v5, v3
	v_sub_co_u32_e32 v21, vcc, v8, v3
	v_subb_co_u32_e32 v22, vcc, v5, v3, vcc
.LBB4_49:                               ;   in Loop: Header=BB4_23 Depth=2
	s_andn2_saveexec_b64 s[0:1], s[36:37]
	s_cbranch_execz .LBB4_51
; %bb.50:                               ;   in Loop: Header=BB4_23 Depth=2
	v_cvt_f32_u32_e32 v3, s59
	s_sub_i32 s31, 0, s59
	v_mov_b32_e32 v22, v2
	v_rcp_iflag_f32_e32 v3, v3
	v_mul_f32_e32 v3, 0x4f7ffffe, v3
	v_cvt_u32_f32_e32 v3, v3
	v_mul_lo_u32 v5, s31, v3
	v_mul_hi_u32 v5, v3, v5
	v_add_u32_e32 v3, v3, v5
	v_mul_hi_u32 v3, v19, v3
	v_mul_lo_u32 v5, v3, s59
	v_add_u32_e32 v8, 1, v3
	v_sub_u32_e32 v5, v19, v5
	v_subrev_u32_e32 v10, s59, v5
	v_cmp_le_u32_e32 vcc, s59, v5
	v_cndmask_b32_e32 v5, v5, v10, vcc
	v_cndmask_b32_e32 v3, v3, v8, vcc
	v_add_u32_e32 v8, 1, v3
	v_cmp_le_u32_e32 vcc, s59, v5
	v_cndmask_b32_e32 v21, v3, v8, vcc
.LBB4_51:                               ;   in Loop: Header=BB4_23 Depth=2
	s_or_b64 exec, exec, s[0:1]
	s_add_u32 s0, s4, s34
	s_mov_b32 s31, s17
	s_addc_u32 s1, s5, s35
	s_lshl_b64 s[34:35], s[30:31], 2
	s_add_u32 s36, s42, s34
	s_addc_u32 s37, s43, s35
	s_load_dword s60, s[36:37], 0x8
	s_load_dword s31, s[0:1], 0x6c
                                        ; implicit-def: $vgpr23_vgpr24
	s_waitcnt lgkmcnt(0)
	s_ashr_i32 s0, s60, 31
	v_or_b32_e32 v3, s0, v22
	v_cmp_ne_u64_e32 vcc, 0, v[2:3]
	s_and_saveexec_b64 s[36:37], vcc
	s_xor_b64 s[36:37], exec, s[36:37]
	s_cbranch_execz .LBB4_53
; %bb.52:                               ;   in Loop: Header=BB4_23 Depth=2
	s_ashr_i32 s38, s0, 31
	s_add_u32 s40, s60, s38
	s_mov_b32 s39, s38
	s_addc_u32 s41, s0, s38
	s_xor_b64 s[40:41], s[40:41], s[38:39]
	v_cvt_f32_u32_e32 v3, s40
	v_cvt_f32_u32_e32 v5, s41
	s_sub_u32 s39, 0, s40
	s_subb_u32 s61, 0, s41
	v_mov_b32_e32 v18, s41
	v_mac_f32_e32 v3, 0x4f800000, v5
	v_rcp_f32_e32 v3, v3
	v_mul_f32_e32 v3, 0x5f7ffffc, v3
	v_mul_f32_e32 v5, 0x2f800000, v3
	v_trunc_f32_e32 v5, v5
	v_mac_f32_e32 v3, 0xcf800000, v5
	v_cvt_u32_f32_e32 v5, v5
	v_cvt_u32_f32_e32 v3, v3
	v_readfirstlane_b32 s62, v5
	v_readfirstlane_b32 s0, v3
	s_mul_i32 s1, s39, s62
	s_mul_hi_u32 s64, s39, s0
	s_mul_i32 s63, s61, s0
	s_add_i32 s1, s64, s1
	s_add_i32 s1, s1, s63
	s_mul_i32 s65, s39, s0
	s_mul_i32 s64, s0, s1
	s_mul_hi_u32 s66, s0, s65
	s_mul_hi_u32 s63, s0, s1
	s_add_u32 s64, s66, s64
	s_addc_u32 s63, 0, s63
	s_mul_hi_u32 s67, s62, s65
	s_mul_i32 s65, s62, s65
	s_add_u32 s64, s64, s65
	s_mul_hi_u32 s66, s62, s1
	s_addc_u32 s63, s63, s67
	s_addc_u32 s64, s66, 0
	s_mul_i32 s1, s62, s1
	s_add_u32 s1, s63, s1
	s_addc_u32 s63, 0, s64
	s_add_u32 s64, s0, s1
	s_cselect_b64 s[0:1], -1, 0
	s_cmp_lg_u64 s[0:1], 0
	s_addc_u32 s62, s62, s63
	s_mul_i32 s0, s39, s62
	s_mul_hi_u32 s1, s39, s64
	s_add_i32 s0, s1, s0
	s_mul_i32 s61, s61, s64
	s_add_i32 s0, s0, s61
	s_mul_i32 s39, s39, s64
	s_mul_hi_u32 s61, s62, s39
	s_mul_i32 s63, s62, s39
	s_mul_i32 s66, s64, s0
	s_mul_hi_u32 s39, s64, s39
	s_mul_hi_u32 s65, s64, s0
	s_add_u32 s39, s39, s66
	s_addc_u32 s65, 0, s65
	s_add_u32 s39, s39, s63
	s_mul_hi_u32 s1, s62, s0
	s_addc_u32 s39, s65, s61
	s_addc_u32 s1, s1, 0
	s_mul_i32 s0, s62, s0
	s_add_u32 s0, s39, s0
	s_addc_u32 s39, 0, s1
	s_add_u32 s61, s64, s0
	s_cselect_b64 s[0:1], -1, 0
	v_ashrrev_i32_e32 v3, 31, v22
	s_cmp_lg_u64 s[0:1], 0
	v_add_co_u32_e32 v5, vcc, v21, v3
	s_addc_u32 s39, s62, s39
	v_xor_b32_e32 v5, v5, v3
	v_addc_co_u32_e32 v8, vcc, v22, v3, vcc
	v_mad_u64_u32 v[22:23], s[0:1], v5, s39, 0
	v_mul_hi_u32 v10, v5, s61
	v_xor_b32_e32 v8, v8, v3
	v_mad_u64_u32 v[27:28], s[0:1], v8, s39, 0
	v_add_co_u32_e32 v10, vcc, v10, v22
	v_addc_co_u32_e32 v12, vcc, 0, v23, vcc
	v_mad_u64_u32 v[22:23], s[0:1], v8, s61, 0
	v_xor_b32_e32 v3, s38, v3
	v_add_co_u32_e32 v10, vcc, v10, v22
	v_addc_co_u32_e32 v10, vcc, v12, v23, vcc
	v_addc_co_u32_e32 v12, vcc, 0, v28, vcc
	v_add_co_u32_e32 v10, vcc, v10, v27
	v_addc_co_u32_e32 v12, vcc, 0, v12, vcc
	v_mul_lo_u32 v14, s41, v10
	v_mul_lo_u32 v16, s40, v12
	v_mad_u64_u32 v[22:23], s[0:1], s40, v10, 0
	v_add3_u32 v14, v23, v16, v14
	v_sub_u32_e32 v16, v8, v14
	v_sub_co_u32_e32 v5, vcc, v5, v22
	v_subb_co_u32_e64 v16, s[0:1], v16, v18, vcc
	v_subrev_co_u32_e64 v18, s[0:1], s40, v5
	v_subbrev_co_u32_e64 v16, s[0:1], 0, v16, s[0:1]
	v_cmp_le_u32_e64 s[0:1], s41, v16
	v_cndmask_b32_e64 v20, 0, -1, s[0:1]
	v_cmp_le_u32_e64 s[0:1], s40, v18
	v_cndmask_b32_e64 v18, 0, -1, s[0:1]
	v_cmp_eq_u32_e64 s[0:1], s41, v16
	v_cndmask_b32_e64 v16, v20, v18, s[0:1]
	v_add_co_u32_e64 v18, s[0:1], 2, v10
	v_subb_co_u32_e32 v8, vcc, v8, v14, vcc
	v_addc_co_u32_e64 v20, s[0:1], 0, v12, s[0:1]
	v_cmp_le_u32_e32 vcc, s41, v8
	v_add_co_u32_e64 v22, s[0:1], 1, v10
	v_cndmask_b32_e64 v14, 0, -1, vcc
	v_cmp_le_u32_e32 vcc, s40, v5
	v_addc_co_u32_e64 v23, s[0:1], 0, v12, s[0:1]
	v_cndmask_b32_e64 v5, 0, -1, vcc
	v_cmp_eq_u32_e32 vcc, s41, v8
	v_cmp_ne_u32_e64 s[0:1], 0, v16
	v_cndmask_b32_e32 v5, v14, v5, vcc
	v_cmp_ne_u32_e32 vcc, 0, v5
	v_cndmask_b32_e64 v8, v22, v18, s[0:1]
	v_cndmask_b32_e64 v16, v23, v20, s[0:1]
	v_cndmask_b32_e32 v8, v10, v8, vcc
	v_cndmask_b32_e32 v5, v12, v16, vcc
	v_xor_b32_e32 v8, v8, v3
	v_xor_b32_e32 v5, v5, v3
	v_sub_co_u32_e32 v23, vcc, v8, v3
	v_subb_co_u32_e32 v24, vcc, v5, v3, vcc
.LBB4_53:                               ;   in Loop: Header=BB4_23 Depth=2
	s_andn2_saveexec_b64 s[0:1], s[36:37]
	s_cbranch_execz .LBB4_55
; %bb.54:                               ;   in Loop: Header=BB4_23 Depth=2
	v_cvt_f32_u32_e32 v3, s60
	s_sub_i32 s36, 0, s60
	v_mov_b32_e32 v24, v2
	v_rcp_iflag_f32_e32 v3, v3
	v_mul_f32_e32 v3, 0x4f7ffffe, v3
	v_cvt_u32_f32_e32 v3, v3
	v_mul_lo_u32 v5, s36, v3
	v_mul_hi_u32 v5, v3, v5
	v_add_u32_e32 v3, v3, v5
	v_mul_hi_u32 v3, v21, v3
	v_mul_lo_u32 v5, v3, s60
	v_add_u32_e32 v8, 1, v3
	v_sub_u32_e32 v5, v21, v5
	v_subrev_u32_e32 v10, s60, v5
	v_cmp_le_u32_e32 vcc, s60, v5
	v_cndmask_b32_e32 v5, v5, v10, vcc
	v_cndmask_b32_e32 v3, v3, v8, vcc
	v_add_u32_e32 v8, 1, v3
	v_cmp_le_u32_e32 vcc, s60, v5
	v_cndmask_b32_e32 v23, v3, v8, vcc
.LBB4_55:                               ;   in Loop: Header=BB4_23 Depth=2
	s_or_b64 exec, exec, s[0:1]
	v_mul_lo_u32 v3, v9, s25
	v_mul_lo_u32 v5, v11, s50
	;; [unrolled: 1-line block ×3, first 2 shown]
	s_add_u32 s0, s4, s34
	v_sub_u32_e32 v3, v7, v3
	v_mul_lo_u32 v7, v15, s54
	v_sub_u32_e32 v5, v9, v5
	v_mul_lo_u32 v3, s28, v3
	v_mul_lo_u32 v5, s51, v5
	v_sub_u32_e32 v8, v11, v8
	v_sub_u32_e32 v7, v13, v7
	v_mul_lo_u32 v8, s53, v8
	v_mul_lo_u32 v7, s56, v7
	;; [unrolled: 1-line block ×3, first 2 shown]
	v_add3_u32 v3, v3, v4, v5
	v_mul_lo_u32 v4, v19, s58
	s_addc_u32 s1, s5, s35
	v_add3_u32 v3, v8, v3, v7
	v_mul_lo_u32 v7, v21, s59
	v_mul_lo_u32 v8, v23, s60
	s_load_dword s0, s[0:1], 0x6c
	v_sub_u32_e32 v5, v15, v9
	v_sub_u32_e32 v4, v17, v4
	v_mul_lo_u32 v5, s57, v5
	v_mul_lo_u32 v4, s16, v4
	v_sub_u32_e32 v7, v19, v7
	v_sub_u32_e32 v8, v21, v8
	v_mul_lo_u32 v7, s31, v7
	s_waitcnt lgkmcnt(0)
	v_mul_lo_u32 v8, s0, v8
	v_add3_u32 v3, v5, v3, v4
	s_add_i32 s30, s30, -8
	s_cmp_eq_u32 s30, -8
	v_add3_u32 v4, v7, v3, v8
	s_cbranch_scc1 .LBB4_57
; %bb.56:                               ;   in Loop: Header=BB4_23 Depth=2
	v_mov_b32_e32 v7, v23
	v_mov_b32_e32 v8, v24
	s_branch .LBB4_23
.LBB4_57:                               ;   in Loop: Header=BB4_3 Depth=1
	s_load_dword s16, s[2:3], 0x4
	s_waitcnt lgkmcnt(0)
	v_cmp_gt_i32_e32 vcc, s16, v26
	s_and_b64 exec, exec, vcc
	s_cbranch_execz .LBB4_2
; %bb.58:                               ;   in Loop: Header=BB4_3 Depth=1
	v_ashrrev_i32_e32 v7, 31, v6
	v_cmp_lt_i64_e32 vcc, s[8:9], v[6:7]
	s_and_saveexec_b64 s[0:1], vcc
	s_cbranch_execz .LBB4_60
; %bb.59:                               ;   in Loop: Header=BB4_3 Depth=1
	v_ashrrev_i32_e32 v3, 31, v4
	v_mov_b32_e32 v6, s13
	v_add_co_u32_e32 v5, vcc, s12, v4
	v_addc_co_u32_e32 v6, vcc, v6, v3, vcc
	global_store_byte v[5:6], v2, off
.LBB4_60:                               ;   in Loop: Header=BB4_3 Depth=1
	s_or_b64 exec, exec, s[0:1]
	v_add_u32_e32 v3, 1, v26
	v_cmp_gt_i32_e32 vcc, s16, v3
	s_and_b64 exec, exec, vcc
	s_cbranch_execz .LBB4_2
; %bb.61:                               ;   in Loop: Header=BB4_3 Depth=1
	v_sub_u32_e32 v5, v3, v25
	v_ashrrev_i32_e32 v6, 31, v5
	v_cmp_lt_i64_e32 vcc, s[8:9], v[5:6]
	s_and_saveexec_b64 s[0:1], vcc
	s_cbranch_execz .LBB4_63
; %bb.62:                               ;   in Loop: Header=BB4_3 Depth=1
	v_add_u32_e32 v3, s29, v4
	v_ashrrev_i32_e32 v6, 31, v3
	v_mov_b32_e32 v7, s13
	v_add_co_u32_e32 v5, vcc, s12, v3
	v_addc_co_u32_e32 v6, vcc, v7, v6, vcc
	global_store_byte v[5:6], v2, off
.LBB4_63:                               ;   in Loop: Header=BB4_3 Depth=1
	s_or_b64 exec, exec, s[0:1]
	v_add_u32_e32 v3, 2, v26
	v_cmp_gt_i32_e32 vcc, s16, v3
	s_and_b64 exec, exec, vcc
	s_cbranch_execz .LBB4_2
; %bb.64:                               ;   in Loop: Header=BB4_3 Depth=1
	v_sub_u32_e32 v5, v3, v25
	v_ashrrev_i32_e32 v6, 31, v5
	v_cmp_lt_i64_e32 vcc, s[8:9], v[5:6]
	s_and_saveexec_b64 s[0:1], vcc
	s_cbranch_execz .LBB4_66
; %bb.65:                               ;   in Loop: Header=BB4_3 Depth=1
	v_lshl_add_u32 v3, s29, 1, v4
	v_ashrrev_i32_e32 v6, 31, v3
	v_mov_b32_e32 v7, s13
	v_add_co_u32_e32 v5, vcc, s12, v3
	v_addc_co_u32_e32 v6, vcc, v7, v6, vcc
	global_store_byte v[5:6], v2, off
.LBB4_66:                               ;   in Loop: Header=BB4_3 Depth=1
	s_or_b64 exec, exec, s[0:1]
	v_add_u32_e32 v3, 3, v26
	v_cmp_gt_i32_e32 vcc, s16, v3
	s_and_b64 exec, exec, vcc
	s_cbranch_execz .LBB4_2
; %bb.67:                               ;   in Loop: Header=BB4_3 Depth=1
	v_sub_u32_e32 v5, v3, v25
	v_ashrrev_i32_e32 v6, 31, v5
	v_cmp_lt_i64_e32 vcc, s[8:9], v[5:6]
	s_and_b64 exec, exec, vcc
	s_cbranch_execz .LBB4_2
; %bb.68:                               ;   in Loop: Header=BB4_3 Depth=1
	v_mad_u64_u32 v[3:4], s[0:1], s29, 3, v[4:5]
	v_mov_b32_e32 v4, s13
	v_ashrrev_i32_e32 v5, 31, v3
	v_add_co_u32_e32 v3, vcc, s12, v3
	v_addc_co_u32_e32 v4, vcc, v4, v5, vcc
	global_store_byte v[3:4], v2, off
	s_branch .LBB4_2
.LBB4_69:
	s_endpgm
	.section	.rodata,"a",@progbits
	.p2align	6, 0x0
	.amdhsa_kernel _ZN2at6native16triu_tril_kernelIaiLb0ELi4ELb1EEEvNS_4cuda6detail10TensorInfoIT_T0_EENS4_IKS5_S6_EEllS6_
		.amdhsa_group_segment_fixed_size 0
		.amdhsa_private_segment_fixed_size 0
		.amdhsa_kernarg_size 712
		.amdhsa_user_sgpr_count 6
		.amdhsa_user_sgpr_private_segment_buffer 1
		.amdhsa_user_sgpr_dispatch_ptr 0
		.amdhsa_user_sgpr_queue_ptr 0
		.amdhsa_user_sgpr_kernarg_segment_ptr 1
		.amdhsa_user_sgpr_dispatch_id 0
		.amdhsa_user_sgpr_flat_scratch_init 0
		.amdhsa_user_sgpr_private_segment_size 0
		.amdhsa_uses_dynamic_stack 0
		.amdhsa_system_sgpr_private_segment_wavefront_offset 0
		.amdhsa_system_sgpr_workgroup_id_x 1
		.amdhsa_system_sgpr_workgroup_id_y 0
		.amdhsa_system_sgpr_workgroup_id_z 0
		.amdhsa_system_sgpr_workgroup_info 0
		.amdhsa_system_vgpr_workitem_id 0
		.amdhsa_next_free_vgpr 29
		.amdhsa_next_free_sgpr 68
		.amdhsa_reserve_vcc 1
		.amdhsa_reserve_flat_scratch 0
		.amdhsa_float_round_mode_32 0
		.amdhsa_float_round_mode_16_64 0
		.amdhsa_float_denorm_mode_32 3
		.amdhsa_float_denorm_mode_16_64 3
		.amdhsa_dx10_clamp 1
		.amdhsa_ieee_mode 1
		.amdhsa_fp16_overflow 0
		.amdhsa_exception_fp_ieee_invalid_op 0
		.amdhsa_exception_fp_denorm_src 0
		.amdhsa_exception_fp_ieee_div_zero 0
		.amdhsa_exception_fp_ieee_overflow 0
		.amdhsa_exception_fp_ieee_underflow 0
		.amdhsa_exception_fp_ieee_inexact 0
		.amdhsa_exception_int_div_zero 0
	.end_amdhsa_kernel
	.section	.text._ZN2at6native16triu_tril_kernelIaiLb0ELi4ELb1EEEvNS_4cuda6detail10TensorInfoIT_T0_EENS4_IKS5_S6_EEllS6_,"axG",@progbits,_ZN2at6native16triu_tril_kernelIaiLb0ELi4ELb1EEEvNS_4cuda6detail10TensorInfoIT_T0_EENS4_IKS5_S6_EEllS6_,comdat
.Lfunc_end4:
	.size	_ZN2at6native16triu_tril_kernelIaiLb0ELi4ELb1EEEvNS_4cuda6detail10TensorInfoIT_T0_EENS4_IKS5_S6_EEllS6_, .Lfunc_end4-_ZN2at6native16triu_tril_kernelIaiLb0ELi4ELb1EEEvNS_4cuda6detail10TensorInfoIT_T0_EENS4_IKS5_S6_EEllS6_
                                        ; -- End function
	.set _ZN2at6native16triu_tril_kernelIaiLb0ELi4ELb1EEEvNS_4cuda6detail10TensorInfoIT_T0_EENS4_IKS5_S6_EEllS6_.num_vgpr, 29
	.set _ZN2at6native16triu_tril_kernelIaiLb0ELi4ELb1EEEvNS_4cuda6detail10TensorInfoIT_T0_EENS4_IKS5_S6_EEllS6_.num_agpr, 0
	.set _ZN2at6native16triu_tril_kernelIaiLb0ELi4ELb1EEEvNS_4cuda6detail10TensorInfoIT_T0_EENS4_IKS5_S6_EEllS6_.numbered_sgpr, 68
	.set _ZN2at6native16triu_tril_kernelIaiLb0ELi4ELb1EEEvNS_4cuda6detail10TensorInfoIT_T0_EENS4_IKS5_S6_EEllS6_.num_named_barrier, 0
	.set _ZN2at6native16triu_tril_kernelIaiLb0ELi4ELb1EEEvNS_4cuda6detail10TensorInfoIT_T0_EENS4_IKS5_S6_EEllS6_.private_seg_size, 0
	.set _ZN2at6native16triu_tril_kernelIaiLb0ELi4ELb1EEEvNS_4cuda6detail10TensorInfoIT_T0_EENS4_IKS5_S6_EEllS6_.uses_vcc, 1
	.set _ZN2at6native16triu_tril_kernelIaiLb0ELi4ELb1EEEvNS_4cuda6detail10TensorInfoIT_T0_EENS4_IKS5_S6_EEllS6_.uses_flat_scratch, 0
	.set _ZN2at6native16triu_tril_kernelIaiLb0ELi4ELb1EEEvNS_4cuda6detail10TensorInfoIT_T0_EENS4_IKS5_S6_EEllS6_.has_dyn_sized_stack, 0
	.set _ZN2at6native16triu_tril_kernelIaiLb0ELi4ELb1EEEvNS_4cuda6detail10TensorInfoIT_T0_EENS4_IKS5_S6_EEllS6_.has_recursion, 0
	.set _ZN2at6native16triu_tril_kernelIaiLb0ELi4ELb1EEEvNS_4cuda6detail10TensorInfoIT_T0_EENS4_IKS5_S6_EEllS6_.has_indirect_call, 0
	.section	.AMDGPU.csdata,"",@progbits
; Kernel info:
; codeLenInByte = 9468
; TotalNumSgprs: 72
; NumVgprs: 29
; ScratchSize: 0
; MemoryBound: 0
; FloatMode: 240
; IeeeMode: 1
; LDSByteSize: 0 bytes/workgroup (compile time only)
; SGPRBlocks: 8
; VGPRBlocks: 7
; NumSGPRsForWavesPerEU: 72
; NumVGPRsForWavesPerEU: 29
; Occupancy: 8
; WaveLimiterHint : 0
; COMPUTE_PGM_RSRC2:SCRATCH_EN: 0
; COMPUTE_PGM_RSRC2:USER_SGPR: 6
; COMPUTE_PGM_RSRC2:TRAP_HANDLER: 0
; COMPUTE_PGM_RSRC2:TGID_X_EN: 1
; COMPUTE_PGM_RSRC2:TGID_Y_EN: 0
; COMPUTE_PGM_RSRC2:TGID_Z_EN: 0
; COMPUTE_PGM_RSRC2:TIDIG_COMP_CNT: 0
	.section	.text._ZN2at6native16triu_tril_kernelIaiLb0ELi4ELb0EEEvNS_4cuda6detail10TensorInfoIT_T0_EENS4_IKS5_S6_EEllS6_,"axG",@progbits,_ZN2at6native16triu_tril_kernelIaiLb0ELi4ELb0EEEvNS_4cuda6detail10TensorInfoIT_T0_EENS4_IKS5_S6_EEllS6_,comdat
	.protected	_ZN2at6native16triu_tril_kernelIaiLb0ELi4ELb0EEEvNS_4cuda6detail10TensorInfoIT_T0_EENS4_IKS5_S6_EEllS6_ ; -- Begin function _ZN2at6native16triu_tril_kernelIaiLb0ELi4ELb0EEEvNS_4cuda6detail10TensorInfoIT_T0_EENS4_IKS5_S6_EEllS6_
	.globl	_ZN2at6native16triu_tril_kernelIaiLb0ELi4ELb0EEEvNS_4cuda6detail10TensorInfoIT_T0_EENS4_IKS5_S6_EEllS6_
	.p2align	8
	.type	_ZN2at6native16triu_tril_kernelIaiLb0ELi4ELb0EEEvNS_4cuda6detail10TensorInfoIT_T0_EENS4_IKS5_S6_EEllS6_,@function
_ZN2at6native16triu_tril_kernelIaiLb0ELi4ELb0EEEvNS_4cuda6detail10TensorInfoIT_T0_EENS4_IKS5_S6_EEllS6_: ; @_ZN2at6native16triu_tril_kernelIaiLb0ELi4ELb0EEEvNS_4cuda6detail10TensorInfoIT_T0_EENS4_IKS5_S6_EEllS6_
; %bb.0:
	s_load_dword s2, s[4:5], 0x1d4
	s_load_dwordx4 s[8:11], s[4:5], 0x1b0
	s_add_u32 s0, s4, 0x1c8
	v_mov_b32_e32 v2, 0
	s_addc_u32 s1, s5, 0
	s_waitcnt lgkmcnt(0)
	s_and_b32 s12, s2, 0xffff
	v_mov_b32_e32 v1, v2
	v_mov_b32_e32 v3, s6
	v_mad_u64_u32 v[0:1], s[2:3], s12, v3, v[0:1]
	v_lshlrev_b64 v[0:1], 2, v[0:1]
	v_cmp_gt_i64_e32 vcc, s[10:11], v[0:1]
	s_and_saveexec_b64 s[2:3], vcc
	s_cbranch_execz .LBB5_54
; %bb.1:
	s_load_dword s33, s[4:5], 0x1c0
	s_load_dwordx2 s[2:3], s[4:5], 0xd8
	s_load_dwordx2 s[18:19], s[4:5], 0x0
	s_load_dword s20, s[4:5], 0x1a8
	s_load_dword s13, s[0:1], 0x0
	s_add_u32 s48, s4, 0xd8
	s_addc_u32 s49, s5, 0
	s_waitcnt lgkmcnt(0)
	s_ashr_i32 s50, s33, 31
	s_ashr_i32 s21, s20, 31
	s_lshl_b64 s[0:1], s[20:21], 2
	s_add_u32 s16, s48, s0
	s_addc_u32 s17, s49, s1
	s_load_dwordx2 s[6:7], s[16:17], 0x0
	s_load_dwordx2 s[14:15], s[16:17], 0x64
	s_mul_i32 s22, s13, s12
	v_cmp_gt_i64_e64 s[12:13], s[20:21], 2
	s_mov_b32 s21, 0
	s_waitcnt lgkmcnt(0)
	s_ashr_i32 s51, s6, 31
	s_add_u32 s0, s4, s0
	s_addc_u32 s1, s5, s1
	s_load_dwordx2 s[16:17], s[0:1], 0x64
	s_add_i32 s52, s20, -3
	s_lshl_b32 s53, s22, 2
	s_and_b32 s54, s20, 3
	s_cmp_lg_u32 s54, 2
	s_cselect_b64 s[30:31], -1, 0
	s_cmp_gt_u32 s52, 2
	s_mov_b32 s22, s8
	s_mov_b32 s23, s9
	s_mov_b32 s24, s8
	s_mov_b32 s25, s9
	s_mov_b32 s26, s8
	s_mov_b32 s27, s9
	s_mov_b32 s28, s8
	s_mov_b32 s29, s9
	s_cselect_b64 s[34:35], -1, 0
	s_ashr_i32 s55, s15, 31
	s_mov_b32 s56, s15
	s_add_i32 s15, s15, s15
	s_waitcnt lgkmcnt(0)
	s_ashr_i32 s57, s17, 31
	s_mov_b32 s58, s17
	s_add_i32 s17, s17, s17
	s_mov_b64 s[36:37], 0
	s_branch .LBB5_3
.LBB5_2:                                ;   in Loop: Header=BB5_3 Depth=1
	s_or_b64 exec, exec, s[0:1]
	v_add_co_u32_e32 v0, vcc, s53, v0
	v_addc_co_u32_e32 v1, vcc, 0, v1, vcc
	v_cmp_le_i64_e32 vcc, s[10:11], v[0:1]
	s_or_b64 s[36:37], vcc, s[36:37]
	s_andn2_b64 exec, exec, s[36:37]
	s_cbranch_execz .LBB5_54
.LBB5_3:                                ; =>This Loop Header: Depth=1
                                        ;     Child Loop BB5_13 Depth 2
                                        ;     Child Loop BB5_21 Depth 2
	v_or_b32_e32 v3, s50, v1
	v_cmp_ne_u64_e32 vcc, 0, v[2:3]
                                        ; implicit-def: $vgpr4_vgpr5
	s_and_saveexec_b64 s[0:1], vcc
	s_xor_b64 s[38:39], exec, s[0:1]
	s_cbranch_execz .LBB5_5
; %bb.4:                                ;   in Loop: Header=BB5_3 Depth=1
	s_ashr_i32 s40, s50, 31
	s_add_u32 s0, s33, s40
	s_mov_b32 s41, s40
	s_addc_u32 s1, s50, s40
	s_xor_b64 s[42:43], s[0:1], s[40:41]
	v_cvt_f32_u32_e32 v3, s42
	v_cvt_f32_u32_e32 v4, s43
	s_sub_u32 s20, 0, s42
	s_subb_u32 s41, 0, s43
	v_ashrrev_i32_e32 v7, 31, v1
	v_mac_f32_e32 v3, 0x4f800000, v4
	v_rcp_f32_e32 v3, v3
	v_mul_f32_e32 v3, 0x5f7ffffc, v3
	v_mul_f32_e32 v4, 0x2f800000, v3
	v_trunc_f32_e32 v4, v4
	v_mac_f32_e32 v3, 0xcf800000, v4
	v_cvt_u32_f32_e32 v4, v4
	v_cvt_u32_f32_e32 v3, v3
	v_readfirstlane_b32 s44, v4
	v_readfirstlane_b32 s0, v3
	s_mul_i32 s1, s20, s44
	s_mul_hi_u32 s46, s20, s0
	s_mul_i32 s45, s41, s0
	s_add_i32 s1, s46, s1
	s_add_i32 s1, s1, s45
	s_mul_i32 s47, s20, s0
	s_mul_i32 s46, s0, s1
	s_mul_hi_u32 s59, s0, s47
	s_mul_hi_u32 s45, s0, s1
	s_add_u32 s46, s59, s46
	s_addc_u32 s45, 0, s45
	s_mul_hi_u32 s60, s44, s47
	s_mul_i32 s47, s44, s47
	s_add_u32 s46, s46, s47
	s_mul_hi_u32 s59, s44, s1
	s_addc_u32 s45, s45, s60
	s_addc_u32 s46, s59, 0
	s_mul_i32 s1, s44, s1
	s_add_u32 s1, s45, s1
	s_addc_u32 s45, 0, s46
	s_add_u32 s46, s0, s1
	s_cselect_b64 s[0:1], -1, 0
	s_cmp_lg_u64 s[0:1], 0
	s_addc_u32 s44, s44, s45
	s_mul_i32 s0, s20, s44
	s_mul_hi_u32 s1, s20, s46
	s_add_i32 s0, s1, s0
	s_mul_i32 s41, s41, s46
	s_add_i32 s0, s0, s41
	s_mul_i32 s20, s20, s46
	s_mul_hi_u32 s41, s44, s20
	s_mul_i32 s45, s44, s20
	s_mul_i32 s59, s46, s0
	s_mul_hi_u32 s20, s46, s20
	s_mul_hi_u32 s47, s46, s0
	s_add_u32 s20, s20, s59
	s_addc_u32 s47, 0, s47
	s_add_u32 s20, s20, s45
	s_mul_hi_u32 s1, s44, s0
	s_addc_u32 s20, s47, s41
	s_addc_u32 s1, s1, 0
	s_mul_i32 s0, s44, s0
	s_add_u32 s0, s20, s0
	s_addc_u32 s20, 0, s1
	s_add_u32 s41, s46, s0
	s_cselect_b64 s[0:1], -1, 0
	s_cmp_lg_u64 s[0:1], 0
	v_add_co_u32_e32 v3, vcc, v0, v7
	s_addc_u32 s20, s44, s20
	v_xor_b32_e32 v8, v3, v7
	v_mad_u64_u32 v[3:4], s[0:1], v8, s20, 0
	v_mul_hi_u32 v6, v8, s41
	v_addc_co_u32_e32 v5, vcc, v1, v7, vcc
	v_xor_b32_e32 v9, v5, v7
	v_add_co_u32_e32 v10, vcc, v6, v3
	v_addc_co_u32_e32 v11, vcc, 0, v4, vcc
	v_mad_u64_u32 v[3:4], s[0:1], v9, s41, 0
	v_mad_u64_u32 v[5:6], s[0:1], v9, s20, 0
	v_add_co_u32_e32 v3, vcc, v10, v3
	v_addc_co_u32_e32 v3, vcc, v11, v4, vcc
	v_addc_co_u32_e32 v4, vcc, 0, v6, vcc
	v_add_co_u32_e32 v5, vcc, v3, v5
	v_addc_co_u32_e32 v6, vcc, 0, v4, vcc
	v_mul_lo_u32 v10, s43, v5
	v_mul_lo_u32 v11, s42, v6
	v_mad_u64_u32 v[3:4], s[0:1], s42, v5, 0
	v_add3_u32 v4, v4, v11, v10
	v_sub_u32_e32 v10, v9, v4
	v_mov_b32_e32 v11, s43
	v_sub_co_u32_e32 v3, vcc, v8, v3
	v_subb_co_u32_e64 v8, s[0:1], v10, v11, vcc
	v_subrev_co_u32_e64 v10, s[0:1], s42, v3
	v_subbrev_co_u32_e64 v8, s[0:1], 0, v8, s[0:1]
	v_cmp_le_u32_e64 s[0:1], s43, v8
	v_cndmask_b32_e64 v11, 0, -1, s[0:1]
	v_cmp_le_u32_e64 s[0:1], s42, v10
	v_cndmask_b32_e64 v10, 0, -1, s[0:1]
	v_cmp_eq_u32_e64 s[0:1], s43, v8
	v_cndmask_b32_e64 v8, v11, v10, s[0:1]
	v_add_co_u32_e64 v10, s[0:1], 2, v5
	v_subb_co_u32_e32 v4, vcc, v9, v4, vcc
	v_addc_co_u32_e64 v11, s[0:1], 0, v6, s[0:1]
	v_cmp_le_u32_e32 vcc, s43, v4
	v_add_co_u32_e64 v12, s[0:1], 1, v5
	v_cndmask_b32_e64 v9, 0, -1, vcc
	v_cmp_le_u32_e32 vcc, s42, v3
	v_addc_co_u32_e64 v13, s[0:1], 0, v6, s[0:1]
	v_cndmask_b32_e64 v3, 0, -1, vcc
	v_cmp_eq_u32_e32 vcc, s43, v4
	v_cmp_ne_u32_e64 s[0:1], 0, v8
	v_cndmask_b32_e32 v3, v9, v3, vcc
	v_cmp_ne_u32_e32 vcc, 0, v3
	v_cndmask_b32_e64 v4, v12, v10, s[0:1]
	v_cndmask_b32_e64 v8, v13, v11, s[0:1]
	v_cndmask_b32_e32 v4, v5, v4, vcc
	v_xor_b32_e32 v5, s40, v7
	v_cndmask_b32_e32 v3, v6, v8, vcc
	v_xor_b32_e32 v4, v4, v5
	v_xor_b32_e32 v3, v3, v5
	v_sub_co_u32_e32 v4, vcc, v4, v5
	v_subb_co_u32_e32 v5, vcc, v3, v5, vcc
.LBB5_5:                                ;   in Loop: Header=BB5_3 Depth=1
	s_andn2_saveexec_b64 s[0:1], s[38:39]
	s_cbranch_execz .LBB5_7
; %bb.6:                                ;   in Loop: Header=BB5_3 Depth=1
	v_cvt_f32_u32_e32 v3, s33
	s_sub_i32 s20, 0, s33
	v_rcp_iflag_f32_e32 v3, v3
	v_mul_f32_e32 v3, 0x4f7ffffe, v3
	v_cvt_u32_f32_e32 v3, v3
	v_mul_lo_u32 v4, s20, v3
	v_mul_hi_u32 v4, v3, v4
	v_add_u32_e32 v3, v3, v4
	v_mul_hi_u32 v3, v0, v3
	v_mul_lo_u32 v4, v3, s33
	v_add_u32_e32 v5, 1, v3
	v_sub_u32_e32 v4, v0, v4
	v_subrev_u32_e32 v6, s33, v4
	v_cmp_le_u32_e32 vcc, s33, v4
	v_cndmask_b32_e32 v4, v4, v6, vcc
	v_cndmask_b32_e32 v3, v3, v5, vcc
	v_add_u32_e32 v5, 1, v3
	v_cmp_le_u32_e32 vcc, s33, v4
	v_cndmask_b32_e32 v4, v3, v5, vcc
	v_mov_b32_e32 v5, v2
.LBB5_7:                                ;   in Loop: Header=BB5_3 Depth=1
	s_or_b64 exec, exec, s[0:1]
	v_or_b32_e32 v3, s51, v5
	v_cmp_ne_u64_e32 vcc, 0, v[2:3]
                                        ; implicit-def: $vgpr8_vgpr9
	s_and_saveexec_b64 s[0:1], vcc
	s_xor_b64 s[38:39], exec, s[0:1]
	s_cbranch_execz .LBB5_9
; %bb.8:                                ;   in Loop: Header=BB5_3 Depth=1
	s_ashr_i32 s40, s51, 31
	s_add_u32 s0, s6, s40
	s_mov_b32 s41, s40
	s_addc_u32 s1, s51, s40
	s_xor_b64 s[42:43], s[0:1], s[40:41]
	v_cvt_f32_u32_e32 v3, s42
	v_cvt_f32_u32_e32 v6, s43
	s_sub_u32 s20, 0, s42
	s_subb_u32 s41, 0, s43
	v_mac_f32_e32 v3, 0x4f800000, v6
	v_rcp_f32_e32 v3, v3
	v_mul_f32_e32 v3, 0x5f7ffffc, v3
	v_mul_f32_e32 v6, 0x2f800000, v3
	v_trunc_f32_e32 v6, v6
	v_mac_f32_e32 v3, 0xcf800000, v6
	v_cvt_u32_f32_e32 v6, v6
	v_cvt_u32_f32_e32 v3, v3
	v_readfirstlane_b32 s44, v6
	v_readfirstlane_b32 s0, v3
	s_mul_i32 s1, s20, s44
	s_mul_hi_u32 s46, s20, s0
	s_mul_i32 s45, s41, s0
	s_add_i32 s1, s46, s1
	s_add_i32 s1, s1, s45
	s_mul_i32 s47, s20, s0
	s_mul_i32 s46, s0, s1
	s_mul_hi_u32 s59, s0, s47
	s_mul_hi_u32 s45, s0, s1
	s_add_u32 s46, s59, s46
	s_addc_u32 s45, 0, s45
	s_mul_hi_u32 s60, s44, s47
	s_mul_i32 s47, s44, s47
	s_add_u32 s46, s46, s47
	s_mul_hi_u32 s59, s44, s1
	s_addc_u32 s45, s45, s60
	s_addc_u32 s46, s59, 0
	s_mul_i32 s1, s44, s1
	s_add_u32 s1, s45, s1
	s_addc_u32 s45, 0, s46
	s_add_u32 s46, s0, s1
	s_cselect_b64 s[0:1], -1, 0
	s_cmp_lg_u64 s[0:1], 0
	s_addc_u32 s44, s44, s45
	s_mul_i32 s0, s20, s44
	s_mul_hi_u32 s1, s20, s46
	s_add_i32 s0, s1, s0
	s_mul_i32 s41, s41, s46
	s_add_i32 s0, s0, s41
	s_mul_i32 s20, s20, s46
	s_mul_hi_u32 s41, s44, s20
	s_mul_i32 s45, s44, s20
	s_mul_i32 s59, s46, s0
	s_mul_hi_u32 s20, s46, s20
	s_mul_hi_u32 s47, s46, s0
	s_add_u32 s20, s20, s59
	s_addc_u32 s47, 0, s47
	s_add_u32 s20, s20, s45
	s_mul_hi_u32 s1, s44, s0
	s_addc_u32 s20, s47, s41
	s_addc_u32 s1, s1, 0
	s_mul_i32 s0, s44, s0
	s_add_u32 s0, s20, s0
	s_addc_u32 s20, 0, s1
	s_add_u32 s41, s46, s0
	s_cselect_b64 s[0:1], -1, 0
	v_ashrrev_i32_e32 v3, 31, v5
	s_cmp_lg_u64 s[0:1], 0
	v_add_co_u32_e32 v6, vcc, v4, v3
	s_addc_u32 s20, s44, s20
	v_xor_b32_e32 v9, v6, v3
	v_addc_co_u32_e32 v7, vcc, v5, v3, vcc
	v_mad_u64_u32 v[5:6], s[0:1], v9, s20, 0
	v_mul_hi_u32 v8, v9, s41
	v_xor_b32_e32 v10, v7, v3
	v_xor_b32_e32 v3, s40, v3
	v_add_co_u32_e32 v11, vcc, v8, v5
	v_addc_co_u32_e32 v12, vcc, 0, v6, vcc
	v_mad_u64_u32 v[5:6], s[0:1], v10, s41, 0
	v_mad_u64_u32 v[7:8], s[0:1], v10, s20, 0
	v_add_co_u32_e32 v5, vcc, v11, v5
	v_addc_co_u32_e32 v5, vcc, v12, v6, vcc
	v_addc_co_u32_e32 v6, vcc, 0, v8, vcc
	v_add_co_u32_e32 v7, vcc, v5, v7
	v_addc_co_u32_e32 v8, vcc, 0, v6, vcc
	v_mul_lo_u32 v11, s43, v7
	v_mul_lo_u32 v12, s42, v8
	v_mad_u64_u32 v[5:6], s[0:1], s42, v7, 0
	v_add3_u32 v6, v6, v12, v11
	v_sub_u32_e32 v11, v10, v6
	v_mov_b32_e32 v12, s43
	v_sub_co_u32_e32 v5, vcc, v9, v5
	v_subb_co_u32_e64 v9, s[0:1], v11, v12, vcc
	v_subrev_co_u32_e64 v11, s[0:1], s42, v5
	v_subbrev_co_u32_e64 v9, s[0:1], 0, v9, s[0:1]
	v_cmp_le_u32_e64 s[0:1], s43, v9
	v_cndmask_b32_e64 v12, 0, -1, s[0:1]
	v_cmp_le_u32_e64 s[0:1], s42, v11
	v_cndmask_b32_e64 v11, 0, -1, s[0:1]
	v_cmp_eq_u32_e64 s[0:1], s43, v9
	v_cndmask_b32_e64 v9, v12, v11, s[0:1]
	v_add_co_u32_e64 v11, s[0:1], 2, v7
	v_subb_co_u32_e32 v6, vcc, v10, v6, vcc
	v_addc_co_u32_e64 v12, s[0:1], 0, v8, s[0:1]
	v_cmp_le_u32_e32 vcc, s43, v6
	v_add_co_u32_e64 v13, s[0:1], 1, v7
	v_cndmask_b32_e64 v10, 0, -1, vcc
	v_cmp_le_u32_e32 vcc, s42, v5
	v_addc_co_u32_e64 v14, s[0:1], 0, v8, s[0:1]
	v_cndmask_b32_e64 v5, 0, -1, vcc
	v_cmp_eq_u32_e32 vcc, s43, v6
	v_cmp_ne_u32_e64 s[0:1], 0, v9
	v_cndmask_b32_e32 v5, v10, v5, vcc
	v_cmp_ne_u32_e32 vcc, 0, v5
	v_cndmask_b32_e64 v6, v13, v11, s[0:1]
	v_cndmask_b32_e64 v9, v14, v12, s[0:1]
	v_cndmask_b32_e32 v6, v7, v6, vcc
	v_cndmask_b32_e32 v5, v8, v9, vcc
	v_xor_b32_e32 v6, v6, v3
	v_xor_b32_e32 v5, v5, v3
	v_sub_co_u32_e32 v8, vcc, v6, v3
	v_subb_co_u32_e32 v9, vcc, v5, v3, vcc
.LBB5_9:                                ;   in Loop: Header=BB5_3 Depth=1
	s_andn2_saveexec_b64 s[0:1], s[38:39]
	s_cbranch_execz .LBB5_11
; %bb.10:                               ;   in Loop: Header=BB5_3 Depth=1
	v_cvt_f32_u32_e32 v3, s6
	s_sub_i32 s20, 0, s6
	v_mov_b32_e32 v9, v2
	v_rcp_iflag_f32_e32 v3, v3
	v_mul_f32_e32 v3, 0x4f7ffffe, v3
	v_cvt_u32_f32_e32 v3, v3
	v_mul_lo_u32 v5, s20, v3
	v_mul_hi_u32 v5, v3, v5
	v_add_u32_e32 v3, v3, v5
	v_mul_hi_u32 v3, v4, v3
	v_mul_lo_u32 v5, v3, s6
	v_add_u32_e32 v6, 1, v3
	v_sub_u32_e32 v5, v4, v5
	v_subrev_u32_e32 v7, s6, v5
	v_cmp_le_u32_e32 vcc, s6, v5
	v_cndmask_b32_e32 v5, v5, v7, vcc
	v_cndmask_b32_e32 v3, v3, v6, vcc
	v_add_u32_e32 v6, 1, v3
	v_cmp_le_u32_e32 vcc, s6, v5
	v_cndmask_b32_e32 v8, v3, v6, vcc
.LBB5_11:                               ;   in Loop: Header=BB5_3 Depth=1
	s_or_b64 exec, exec, s[0:1]
	v_mad_u64_u32 v[5:6], s[0:1], v4, s33, 0
	v_mad_u64_u32 v[6:7], s[0:1], v8, s6, 0
	v_sub_co_u32_e32 v18, vcc, v0, v5
	v_mul_lo_u32 v3, s56, v18
	v_sub_co_u32_e32 v19, vcc, v4, v6
	v_mul_lo_u32 v4, s58, v18
	s_andn2_b64 vcc, exec, s[12:13]
	v_mad_u64_u32 v[6:7], s[0:1], s14, v19, v[3:4]
	v_mad_u64_u32 v[4:5], s[0:1], s16, v19, v[4:5]
	s_cbranch_vccnz .LBB5_39
; %bb.12:                               ;   in Loop: Header=BB5_3 Depth=1
	s_mov_b32 s59, 1
	s_andn2_b64 vcc, exec, s[30:31]
	s_mov_b32 s20, s52
	s_mov_b32 s0, s52
	s_cbranch_vccnz .LBB5_20
.LBB5_13:                               ;   Parent Loop BB5_3 Depth=1
                                        ; =>  This Inner Loop Header: Depth=2
	s_lshl_b64 s[38:39], s[20:21], 2
	s_add_u32 s40, s48, s38
	s_addc_u32 s41, s49, s39
	s_load_dword s60, s[40:41], 0x8
                                        ; implicit-def: $vgpr10_vgpr11
	s_waitcnt lgkmcnt(0)
	s_ashr_i32 s0, s60, 31
	v_or_b32_e32 v3, s0, v9
	v_cmp_ne_u64_e32 vcc, 0, v[2:3]
	s_and_saveexec_b64 s[42:43], vcc
	s_xor_b64 s[42:43], exec, s[42:43]
	s_cbranch_execz .LBB5_15
; %bb.14:                               ;   in Loop: Header=BB5_13 Depth=2
	s_ashr_i32 s44, s0, 31
	s_add_u32 s46, s60, s44
	s_mov_b32 s45, s44
	s_addc_u32 s47, s0, s44
	s_xor_b64 s[46:47], s[46:47], s[44:45]
	v_cvt_f32_u32_e32 v3, s46
	v_cvt_f32_u32_e32 v5, s47
	s_sub_u32 s45, 0, s46
	s_subb_u32 s61, 0, s47
	v_mac_f32_e32 v3, 0x4f800000, v5
	v_rcp_f32_e32 v3, v3
	v_mul_f32_e32 v3, 0x5f7ffffc, v3
	v_mul_f32_e32 v5, 0x2f800000, v3
	v_trunc_f32_e32 v5, v5
	v_mac_f32_e32 v3, 0xcf800000, v5
	v_cvt_u32_f32_e32 v5, v5
	v_cvt_u32_f32_e32 v3, v3
	v_readfirstlane_b32 s62, v5
	v_readfirstlane_b32 s0, v3
	s_mul_i32 s1, s45, s62
	s_mul_hi_u32 s64, s45, s0
	s_mul_i32 s63, s61, s0
	s_add_i32 s1, s64, s1
	s_add_i32 s1, s1, s63
	s_mul_i32 s65, s45, s0
	s_mul_i32 s64, s0, s1
	s_mul_hi_u32 s66, s0, s65
	s_mul_hi_u32 s63, s0, s1
	s_add_u32 s64, s66, s64
	s_addc_u32 s63, 0, s63
	s_mul_hi_u32 s67, s62, s65
	s_mul_i32 s65, s62, s65
	s_add_u32 s64, s64, s65
	s_mul_hi_u32 s66, s62, s1
	s_addc_u32 s63, s63, s67
	s_addc_u32 s64, s66, 0
	s_mul_i32 s1, s62, s1
	s_add_u32 s1, s63, s1
	s_addc_u32 s63, 0, s64
	s_add_u32 s64, s0, s1
	s_cselect_b64 s[0:1], -1, 0
	s_cmp_lg_u64 s[0:1], 0
	s_addc_u32 s62, s62, s63
	s_mul_i32 s0, s45, s62
	s_mul_hi_u32 s1, s45, s64
	s_add_i32 s0, s1, s0
	s_mul_i32 s61, s61, s64
	s_add_i32 s0, s0, s61
	s_mul_i32 s45, s45, s64
	s_mul_hi_u32 s61, s62, s45
	s_mul_i32 s63, s62, s45
	s_mul_i32 s66, s64, s0
	s_mul_hi_u32 s45, s64, s45
	s_mul_hi_u32 s65, s64, s0
	s_add_u32 s45, s45, s66
	s_addc_u32 s65, 0, s65
	s_add_u32 s45, s45, s63
	s_mul_hi_u32 s1, s62, s0
	s_addc_u32 s45, s65, s61
	s_addc_u32 s1, s1, 0
	s_mul_i32 s0, s62, s0
	s_add_u32 s0, s45, s0
	s_addc_u32 s45, 0, s1
	s_add_u32 s61, s64, s0
	s_cselect_b64 s[0:1], -1, 0
	v_ashrrev_i32_e32 v3, 31, v9
	s_cmp_lg_u64 s[0:1], 0
	v_add_co_u32_e32 v5, vcc, v8, v3
	s_addc_u32 s45, s62, s45
	v_xor_b32_e32 v5, v5, v3
	v_addc_co_u32_e32 v7, vcc, v9, v3, vcc
	v_mad_u64_u32 v[9:10], s[0:1], v5, s45, 0
	v_mul_hi_u32 v11, v5, s61
	v_xor_b32_e32 v7, v7, v3
	v_xor_b32_e32 v3, s44, v3
	v_add_co_u32_e32 v13, vcc, v11, v9
	v_addc_co_u32_e32 v14, vcc, 0, v10, vcc
	v_mad_u64_u32 v[9:10], s[0:1], v7, s61, 0
	v_mad_u64_u32 v[11:12], s[0:1], v7, s45, 0
	v_add_co_u32_e32 v9, vcc, v13, v9
	v_addc_co_u32_e32 v9, vcc, v14, v10, vcc
	v_addc_co_u32_e32 v10, vcc, 0, v12, vcc
	v_add_co_u32_e32 v11, vcc, v9, v11
	v_addc_co_u32_e32 v12, vcc, 0, v10, vcc
	v_mul_lo_u32 v13, s47, v11
	v_mul_lo_u32 v14, s46, v12
	v_mad_u64_u32 v[9:10], s[0:1], s46, v11, 0
	v_add3_u32 v10, v10, v14, v13
	v_sub_u32_e32 v13, v7, v10
	v_mov_b32_e32 v14, s47
	v_sub_co_u32_e32 v5, vcc, v5, v9
	v_subb_co_u32_e64 v9, s[0:1], v13, v14, vcc
	v_subrev_co_u32_e64 v13, s[0:1], s46, v5
	v_subbrev_co_u32_e64 v9, s[0:1], 0, v9, s[0:1]
	v_cmp_le_u32_e64 s[0:1], s47, v9
	v_cndmask_b32_e64 v14, 0, -1, s[0:1]
	v_cmp_le_u32_e64 s[0:1], s46, v13
	v_cndmask_b32_e64 v13, 0, -1, s[0:1]
	v_cmp_eq_u32_e64 s[0:1], s47, v9
	v_cndmask_b32_e64 v9, v14, v13, s[0:1]
	v_add_co_u32_e64 v13, s[0:1], 2, v11
	v_subb_co_u32_e32 v7, vcc, v7, v10, vcc
	v_addc_co_u32_e64 v14, s[0:1], 0, v12, s[0:1]
	v_cmp_le_u32_e32 vcc, s47, v7
	v_add_co_u32_e64 v15, s[0:1], 1, v11
	v_cndmask_b32_e64 v10, 0, -1, vcc
	v_cmp_le_u32_e32 vcc, s46, v5
	v_addc_co_u32_e64 v16, s[0:1], 0, v12, s[0:1]
	v_cndmask_b32_e64 v5, 0, -1, vcc
	v_cmp_eq_u32_e32 vcc, s47, v7
	v_cmp_ne_u32_e64 s[0:1], 0, v9
	v_cndmask_b32_e32 v5, v10, v5, vcc
	v_cmp_ne_u32_e32 vcc, 0, v5
	v_cndmask_b32_e64 v7, v15, v13, s[0:1]
	v_cndmask_b32_e64 v9, v16, v14, s[0:1]
	v_cndmask_b32_e32 v7, v11, v7, vcc
	v_cndmask_b32_e32 v5, v12, v9, vcc
	v_xor_b32_e32 v7, v7, v3
	v_xor_b32_e32 v5, v5, v3
	v_sub_co_u32_e32 v10, vcc, v7, v3
	v_subb_co_u32_e32 v11, vcc, v5, v3, vcc
.LBB5_15:                               ;   in Loop: Header=BB5_13 Depth=2
	s_andn2_saveexec_b64 s[0:1], s[42:43]
	s_cbranch_execz .LBB5_17
; %bb.16:                               ;   in Loop: Header=BB5_13 Depth=2
	v_cvt_f32_u32_e32 v3, s60
	s_sub_i32 s42, 0, s60
	v_mov_b32_e32 v11, v2
	v_rcp_iflag_f32_e32 v3, v3
	v_mul_f32_e32 v3, 0x4f7ffffe, v3
	v_cvt_u32_f32_e32 v3, v3
	v_mul_lo_u32 v5, s42, v3
	v_mul_hi_u32 v5, v3, v5
	v_add_u32_e32 v3, v3, v5
	v_mul_hi_u32 v3, v8, v3
	v_mul_lo_u32 v5, v3, s60
	v_add_u32_e32 v7, 1, v3
	v_sub_u32_e32 v5, v8, v5
	v_subrev_u32_e32 v9, s60, v5
	v_cmp_le_u32_e32 vcc, s60, v5
	v_cndmask_b32_e32 v5, v5, v9, vcc
	v_cndmask_b32_e32 v3, v3, v7, vcc
	v_add_u32_e32 v7, 1, v3
	v_cmp_le_u32_e32 vcc, s60, v5
	v_cndmask_b32_e32 v10, v3, v7, vcc
.LBB5_17:                               ;   in Loop: Header=BB5_13 Depth=2
	s_or_b64 exec, exec, s[0:1]
	s_add_u32 s0, s4, s38
	s_addc_u32 s1, s5, s39
	v_mul_lo_u32 v3, v10, s60
	s_load_dword s40, s[40:41], 0x6c
	s_add_i32 s20, s20, -1
	s_load_dword s38, s[0:1], 0x6c
	v_sub_u32_e32 v3, v8, v3
	s_waitcnt lgkmcnt(0)
	v_mad_u64_u32 v[6:7], s[0:1], s40, v3, v[6:7]
	v_mad_u64_u32 v[4:5], s[0:1], s38, v3, v[4:5]
	s_xor_b32 s0, s54, s59
	s_add_i32 s59, s59, 1
	s_cmp_lg_u32 s0, 2
	s_cbranch_scc0 .LBB5_19
; %bb.18:                               ;   in Loop: Header=BB5_13 Depth=2
	v_mov_b32_e32 v8, v10
	v_mov_b32_e32 v9, v11
	s_branch .LBB5_13
.LBB5_19:                               ;   in Loop: Header=BB5_3 Depth=1
	v_mov_b32_e32 v8, v10
	s_mov_b32 s0, s20
	v_mov_b32_e32 v9, v11
.LBB5_20:                               ;   in Loop: Header=BB5_3 Depth=1
	s_and_b64 vcc, exec, s[34:35]
	s_mov_b32 s20, s0
	s_cbranch_vccz .LBB5_39
.LBB5_21:                               ;   Parent Loop BB5_3 Depth=1
                                        ; =>  This Inner Loop Header: Depth=2
	s_lshl_b64 s[38:39], s[20:21], 2
	s_add_u32 s40, s48, s38
	s_addc_u32 s41, s49, s39
	s_load_dword s59, s[40:41], 0x8
                                        ; implicit-def: $vgpr10_vgpr11
	s_waitcnt lgkmcnt(0)
	s_ashr_i32 s0, s59, 31
	v_or_b32_e32 v3, s0, v9
	v_cmp_ne_u64_e32 vcc, 0, v[2:3]
	s_and_saveexec_b64 s[42:43], vcc
	s_xor_b64 s[42:43], exec, s[42:43]
	s_cbranch_execz .LBB5_23
; %bb.22:                               ;   in Loop: Header=BB5_21 Depth=2
	s_ashr_i32 s44, s0, 31
	s_add_u32 s46, s59, s44
	s_mov_b32 s45, s44
	s_addc_u32 s47, s0, s44
	s_xor_b64 s[46:47], s[46:47], s[44:45]
	v_cvt_f32_u32_e32 v3, s46
	v_cvt_f32_u32_e32 v5, s47
	s_sub_u32 s45, 0, s46
	s_subb_u32 s60, 0, s47
	v_mac_f32_e32 v3, 0x4f800000, v5
	v_rcp_f32_e32 v3, v3
	v_mul_f32_e32 v3, 0x5f7ffffc, v3
	v_mul_f32_e32 v5, 0x2f800000, v3
	v_trunc_f32_e32 v5, v5
	v_mac_f32_e32 v3, 0xcf800000, v5
	v_cvt_u32_f32_e32 v5, v5
	v_cvt_u32_f32_e32 v3, v3
	v_readfirstlane_b32 s61, v5
	v_readfirstlane_b32 s0, v3
	s_mul_i32 s1, s45, s61
	s_mul_hi_u32 s63, s45, s0
	s_mul_i32 s62, s60, s0
	s_add_i32 s1, s63, s1
	s_add_i32 s1, s1, s62
	s_mul_i32 s64, s45, s0
	s_mul_i32 s63, s0, s1
	s_mul_hi_u32 s65, s0, s64
	s_mul_hi_u32 s62, s0, s1
	s_add_u32 s63, s65, s63
	s_addc_u32 s62, 0, s62
	s_mul_hi_u32 s66, s61, s64
	s_mul_i32 s64, s61, s64
	s_add_u32 s63, s63, s64
	s_mul_hi_u32 s65, s61, s1
	s_addc_u32 s62, s62, s66
	s_addc_u32 s63, s65, 0
	s_mul_i32 s1, s61, s1
	s_add_u32 s1, s62, s1
	s_addc_u32 s62, 0, s63
	s_add_u32 s63, s0, s1
	s_cselect_b64 s[0:1], -1, 0
	s_cmp_lg_u64 s[0:1], 0
	s_addc_u32 s61, s61, s62
	s_mul_i32 s0, s45, s61
	s_mul_hi_u32 s1, s45, s63
	s_add_i32 s0, s1, s0
	s_mul_i32 s60, s60, s63
	s_add_i32 s0, s0, s60
	s_mul_i32 s45, s45, s63
	s_mul_hi_u32 s60, s61, s45
	s_mul_i32 s62, s61, s45
	s_mul_i32 s65, s63, s0
	s_mul_hi_u32 s45, s63, s45
	s_mul_hi_u32 s64, s63, s0
	s_add_u32 s45, s45, s65
	s_addc_u32 s64, 0, s64
	s_add_u32 s45, s45, s62
	s_mul_hi_u32 s1, s61, s0
	s_addc_u32 s45, s64, s60
	s_addc_u32 s1, s1, 0
	s_mul_i32 s0, s61, s0
	s_add_u32 s0, s45, s0
	s_addc_u32 s45, 0, s1
	s_add_u32 s60, s63, s0
	s_cselect_b64 s[0:1], -1, 0
	v_ashrrev_i32_e32 v3, 31, v9
	s_cmp_lg_u64 s[0:1], 0
	v_add_co_u32_e32 v5, vcc, v8, v3
	s_addc_u32 s45, s61, s45
	v_xor_b32_e32 v5, v5, v3
	v_addc_co_u32_e32 v7, vcc, v9, v3, vcc
	v_mad_u64_u32 v[9:10], s[0:1], v5, s45, 0
	v_mul_hi_u32 v11, v5, s60
	v_xor_b32_e32 v7, v7, v3
	v_xor_b32_e32 v3, s44, v3
	v_add_co_u32_e32 v13, vcc, v11, v9
	v_addc_co_u32_e32 v14, vcc, 0, v10, vcc
	v_mad_u64_u32 v[9:10], s[0:1], v7, s60, 0
	v_mad_u64_u32 v[11:12], s[0:1], v7, s45, 0
	v_add_co_u32_e32 v9, vcc, v13, v9
	v_addc_co_u32_e32 v9, vcc, v14, v10, vcc
	v_addc_co_u32_e32 v10, vcc, 0, v12, vcc
	v_add_co_u32_e32 v11, vcc, v9, v11
	v_addc_co_u32_e32 v12, vcc, 0, v10, vcc
	v_mul_lo_u32 v13, s47, v11
	v_mul_lo_u32 v14, s46, v12
	v_mad_u64_u32 v[9:10], s[0:1], s46, v11, 0
	v_add3_u32 v10, v10, v14, v13
	v_sub_u32_e32 v13, v7, v10
	v_mov_b32_e32 v14, s47
	v_sub_co_u32_e32 v5, vcc, v5, v9
	v_subb_co_u32_e64 v9, s[0:1], v13, v14, vcc
	v_subrev_co_u32_e64 v13, s[0:1], s46, v5
	v_subbrev_co_u32_e64 v9, s[0:1], 0, v9, s[0:1]
	v_cmp_le_u32_e64 s[0:1], s47, v9
	v_cndmask_b32_e64 v14, 0, -1, s[0:1]
	v_cmp_le_u32_e64 s[0:1], s46, v13
	v_cndmask_b32_e64 v13, 0, -1, s[0:1]
	v_cmp_eq_u32_e64 s[0:1], s47, v9
	v_cndmask_b32_e64 v9, v14, v13, s[0:1]
	v_add_co_u32_e64 v13, s[0:1], 2, v11
	v_subb_co_u32_e32 v7, vcc, v7, v10, vcc
	v_addc_co_u32_e64 v14, s[0:1], 0, v12, s[0:1]
	v_cmp_le_u32_e32 vcc, s47, v7
	v_add_co_u32_e64 v15, s[0:1], 1, v11
	v_cndmask_b32_e64 v10, 0, -1, vcc
	v_cmp_le_u32_e32 vcc, s46, v5
	v_addc_co_u32_e64 v16, s[0:1], 0, v12, s[0:1]
	v_cndmask_b32_e64 v5, 0, -1, vcc
	v_cmp_eq_u32_e32 vcc, s47, v7
	v_cmp_ne_u32_e64 s[0:1], 0, v9
	v_cndmask_b32_e32 v5, v10, v5, vcc
	v_cmp_ne_u32_e32 vcc, 0, v5
	v_cndmask_b32_e64 v7, v15, v13, s[0:1]
	v_cndmask_b32_e64 v9, v16, v14, s[0:1]
	v_cndmask_b32_e32 v7, v11, v7, vcc
	v_cndmask_b32_e32 v5, v12, v9, vcc
	v_xor_b32_e32 v7, v7, v3
	v_xor_b32_e32 v5, v5, v3
	v_sub_co_u32_e32 v10, vcc, v7, v3
	v_subb_co_u32_e32 v11, vcc, v5, v3, vcc
.LBB5_23:                               ;   in Loop: Header=BB5_21 Depth=2
	s_andn2_saveexec_b64 s[0:1], s[42:43]
	s_cbranch_execz .LBB5_25
; %bb.24:                               ;   in Loop: Header=BB5_21 Depth=2
	v_cvt_f32_u32_e32 v3, s59
	s_sub_i32 s42, 0, s59
	v_mov_b32_e32 v11, v2
	v_rcp_iflag_f32_e32 v3, v3
	v_mul_f32_e32 v3, 0x4f7ffffe, v3
	v_cvt_u32_f32_e32 v3, v3
	v_mul_lo_u32 v5, s42, v3
	v_mul_hi_u32 v5, v3, v5
	v_add_u32_e32 v3, v3, v5
	v_mul_hi_u32 v3, v8, v3
	v_mul_lo_u32 v5, v3, s59
	v_add_u32_e32 v7, 1, v3
	v_sub_u32_e32 v5, v8, v5
	v_subrev_u32_e32 v9, s59, v5
	v_cmp_le_u32_e32 vcc, s59, v5
	v_cndmask_b32_e32 v5, v5, v9, vcc
	v_cndmask_b32_e32 v3, v3, v7, vcc
	v_add_u32_e32 v7, 1, v3
	v_cmp_le_u32_e32 vcc, s59, v5
	v_cndmask_b32_e32 v10, v3, v7, vcc
.LBB5_25:                               ;   in Loop: Header=BB5_21 Depth=2
	s_or_b64 exec, exec, s[0:1]
	s_add_u32 s0, s4, s38
	s_addc_u32 s1, s5, s39
	s_add_i32 s38, s20, -1
	s_mov_b32 s39, s21
	s_lshl_b64 s[42:43], s[38:39], 2
	s_add_u32 s38, s48, s42
	s_addc_u32 s39, s49, s43
	s_load_dword s62, s[38:39], 0x8
	s_load_dword s61, s[40:41], 0x6c
	;; [unrolled: 1-line block ×3, first 2 shown]
                                        ; implicit-def: $vgpr12_vgpr13
	s_waitcnt lgkmcnt(0)
	s_ashr_i32 s0, s62, 31
	v_or_b32_e32 v3, s0, v11
	v_cmp_ne_u64_e32 vcc, 0, v[2:3]
	s_and_saveexec_b64 s[40:41], vcc
	s_xor_b64 s[40:41], exec, s[40:41]
	s_cbranch_execz .LBB5_27
; %bb.26:                               ;   in Loop: Header=BB5_21 Depth=2
	s_ashr_i32 s44, s0, 31
	s_add_u32 s46, s62, s44
	s_mov_b32 s45, s44
	s_addc_u32 s47, s0, s44
	s_xor_b64 s[46:47], s[46:47], s[44:45]
	v_cvt_f32_u32_e32 v3, s46
	v_cvt_f32_u32_e32 v5, s47
	s_sub_u32 s45, 0, s46
	s_subb_u32 s63, 0, s47
	v_mac_f32_e32 v3, 0x4f800000, v5
	v_rcp_f32_e32 v3, v3
	v_mul_f32_e32 v3, 0x5f7ffffc, v3
	v_mul_f32_e32 v5, 0x2f800000, v3
	v_trunc_f32_e32 v5, v5
	v_mac_f32_e32 v3, 0xcf800000, v5
	v_cvt_u32_f32_e32 v5, v5
	v_cvt_u32_f32_e32 v3, v3
	v_readfirstlane_b32 s64, v5
	v_readfirstlane_b32 s0, v3
	s_mul_i32 s1, s45, s64
	s_mul_hi_u32 s66, s45, s0
	s_mul_i32 s65, s63, s0
	s_add_i32 s1, s66, s1
	s_add_i32 s1, s1, s65
	s_mul_i32 s67, s45, s0
	s_mul_i32 s66, s0, s1
	s_mul_hi_u32 s68, s0, s67
	s_mul_hi_u32 s65, s0, s1
	s_add_u32 s66, s68, s66
	s_addc_u32 s65, 0, s65
	s_mul_hi_u32 s69, s64, s67
	s_mul_i32 s67, s64, s67
	s_add_u32 s66, s66, s67
	s_mul_hi_u32 s68, s64, s1
	s_addc_u32 s65, s65, s69
	s_addc_u32 s66, s68, 0
	s_mul_i32 s1, s64, s1
	s_add_u32 s1, s65, s1
	s_addc_u32 s65, 0, s66
	s_add_u32 s66, s0, s1
	s_cselect_b64 s[0:1], -1, 0
	s_cmp_lg_u64 s[0:1], 0
	s_addc_u32 s64, s64, s65
	s_mul_i32 s0, s45, s64
	s_mul_hi_u32 s1, s45, s66
	s_add_i32 s0, s1, s0
	s_mul_i32 s63, s63, s66
	s_add_i32 s0, s0, s63
	s_mul_i32 s45, s45, s66
	s_mul_hi_u32 s63, s64, s45
	s_mul_i32 s65, s64, s45
	s_mul_i32 s68, s66, s0
	s_mul_hi_u32 s45, s66, s45
	s_mul_hi_u32 s67, s66, s0
	s_add_u32 s45, s45, s68
	s_addc_u32 s67, 0, s67
	s_add_u32 s45, s45, s65
	s_mul_hi_u32 s1, s64, s0
	s_addc_u32 s45, s67, s63
	s_addc_u32 s1, s1, 0
	s_mul_i32 s0, s64, s0
	s_add_u32 s0, s45, s0
	s_addc_u32 s45, 0, s1
	s_add_u32 s63, s66, s0
	s_cselect_b64 s[0:1], -1, 0
	v_ashrrev_i32_e32 v3, 31, v11
	s_cmp_lg_u64 s[0:1], 0
	v_add_co_u32_e32 v5, vcc, v10, v3
	s_addc_u32 s45, s64, s45
	v_xor_b32_e32 v5, v5, v3
	v_addc_co_u32_e32 v7, vcc, v11, v3, vcc
	v_mad_u64_u32 v[11:12], s[0:1], v5, s45, 0
	v_mul_hi_u32 v9, v5, s63
	v_xor_b32_e32 v7, v7, v3
	v_mad_u64_u32 v[13:14], s[0:1], v7, s45, 0
	v_add_co_u32_e32 v9, vcc, v9, v11
	v_addc_co_u32_e32 v15, vcc, 0, v12, vcc
	v_mad_u64_u32 v[11:12], s[0:1], v7, s63, 0
	v_xor_b32_e32 v3, s44, v3
	v_add_co_u32_e32 v9, vcc, v9, v11
	v_addc_co_u32_e32 v9, vcc, v15, v12, vcc
	v_addc_co_u32_e32 v11, vcc, 0, v14, vcc
	v_add_co_u32_e32 v9, vcc, v9, v13
	v_addc_co_u32_e32 v13, vcc, 0, v11, vcc
	v_mul_lo_u32 v14, s47, v9
	v_mul_lo_u32 v15, s46, v13
	v_mad_u64_u32 v[11:12], s[0:1], s46, v9, 0
	v_add3_u32 v12, v12, v15, v14
	v_sub_u32_e32 v14, v7, v12
	v_mov_b32_e32 v15, s47
	v_sub_co_u32_e32 v5, vcc, v5, v11
	v_subb_co_u32_e64 v11, s[0:1], v14, v15, vcc
	v_subrev_co_u32_e64 v14, s[0:1], s46, v5
	v_subbrev_co_u32_e64 v11, s[0:1], 0, v11, s[0:1]
	v_cmp_le_u32_e64 s[0:1], s47, v11
	v_cndmask_b32_e64 v15, 0, -1, s[0:1]
	v_cmp_le_u32_e64 s[0:1], s46, v14
	v_cndmask_b32_e64 v14, 0, -1, s[0:1]
	v_cmp_eq_u32_e64 s[0:1], s47, v11
	v_cndmask_b32_e64 v11, v15, v14, s[0:1]
	v_add_co_u32_e64 v14, s[0:1], 2, v9
	v_subb_co_u32_e32 v7, vcc, v7, v12, vcc
	v_addc_co_u32_e64 v15, s[0:1], 0, v13, s[0:1]
	v_cmp_le_u32_e32 vcc, s47, v7
	v_add_co_u32_e64 v16, s[0:1], 1, v9
	v_cndmask_b32_e64 v12, 0, -1, vcc
	v_cmp_le_u32_e32 vcc, s46, v5
	v_addc_co_u32_e64 v17, s[0:1], 0, v13, s[0:1]
	v_cndmask_b32_e64 v5, 0, -1, vcc
	v_cmp_eq_u32_e32 vcc, s47, v7
	v_cmp_ne_u32_e64 s[0:1], 0, v11
	v_cndmask_b32_e32 v5, v12, v5, vcc
	v_cmp_ne_u32_e32 vcc, 0, v5
	v_cndmask_b32_e64 v7, v16, v14, s[0:1]
	v_cndmask_b32_e64 v11, v17, v15, s[0:1]
	v_cndmask_b32_e32 v7, v9, v7, vcc
	v_cndmask_b32_e32 v5, v13, v11, vcc
	v_xor_b32_e32 v7, v7, v3
	v_xor_b32_e32 v5, v5, v3
	v_sub_co_u32_e32 v12, vcc, v7, v3
	v_subb_co_u32_e32 v13, vcc, v5, v3, vcc
.LBB5_27:                               ;   in Loop: Header=BB5_21 Depth=2
	s_andn2_saveexec_b64 s[0:1], s[40:41]
	s_cbranch_execz .LBB5_29
; %bb.28:                               ;   in Loop: Header=BB5_21 Depth=2
	v_cvt_f32_u32_e32 v3, s62
	s_sub_i32 s40, 0, s62
	v_mov_b32_e32 v13, v2
	v_rcp_iflag_f32_e32 v3, v3
	v_mul_f32_e32 v3, 0x4f7ffffe, v3
	v_cvt_u32_f32_e32 v3, v3
	v_mul_lo_u32 v5, s40, v3
	v_mul_hi_u32 v5, v3, v5
	v_add_u32_e32 v3, v3, v5
	v_mul_hi_u32 v3, v10, v3
	v_mul_lo_u32 v5, v3, s62
	v_add_u32_e32 v7, 1, v3
	v_sub_u32_e32 v5, v10, v5
	v_subrev_u32_e32 v9, s62, v5
	v_cmp_le_u32_e32 vcc, s62, v5
	v_cndmask_b32_e32 v5, v5, v9, vcc
	v_cndmask_b32_e32 v3, v3, v7, vcc
	v_add_u32_e32 v7, 1, v3
	v_cmp_le_u32_e32 vcc, s62, v5
	v_cndmask_b32_e32 v12, v3, v7, vcc
.LBB5_29:                               ;   in Loop: Header=BB5_21 Depth=2
	s_or_b64 exec, exec, s[0:1]
	s_add_u32 s0, s4, s42
	s_addc_u32 s1, s5, s43
	s_add_i32 s40, s20, -2
	s_mov_b32 s41, s21
	s_lshl_b64 s[40:41], s[40:41], 2
	s_add_u32 s42, s48, s40
	s_addc_u32 s43, s49, s41
	s_load_dword s64, s[42:43], 0x8
	s_load_dword s65, s[38:39], 0x6c
	;; [unrolled: 1-line block ×3, first 2 shown]
                                        ; implicit-def: $vgpr14_vgpr15
	s_waitcnt lgkmcnt(0)
	s_ashr_i32 s0, s64, 31
	v_or_b32_e32 v3, s0, v13
	v_cmp_ne_u64_e32 vcc, 0, v[2:3]
	s_and_saveexec_b64 s[38:39], vcc
	s_xor_b64 s[38:39], exec, s[38:39]
	s_cbranch_execz .LBB5_31
; %bb.30:                               ;   in Loop: Header=BB5_21 Depth=2
	s_ashr_i32 s44, s0, 31
	s_add_u32 s46, s64, s44
	s_mov_b32 s45, s44
	s_addc_u32 s47, s0, s44
	s_xor_b64 s[46:47], s[46:47], s[44:45]
	v_cvt_f32_u32_e32 v3, s46
	v_cvt_f32_u32_e32 v5, s47
	s_sub_u32 s45, 0, s46
	s_subb_u32 s66, 0, s47
	v_mac_f32_e32 v3, 0x4f800000, v5
	v_rcp_f32_e32 v3, v3
	v_mul_f32_e32 v3, 0x5f7ffffc, v3
	v_mul_f32_e32 v5, 0x2f800000, v3
	v_trunc_f32_e32 v5, v5
	v_mac_f32_e32 v3, 0xcf800000, v5
	v_cvt_u32_f32_e32 v5, v5
	v_cvt_u32_f32_e32 v3, v3
	v_readfirstlane_b32 s67, v5
	v_readfirstlane_b32 s0, v3
	s_mul_i32 s1, s45, s67
	s_mul_hi_u32 s69, s45, s0
	s_mul_i32 s68, s66, s0
	s_add_i32 s1, s69, s1
	s_add_i32 s1, s1, s68
	s_mul_i32 s70, s45, s0
	s_mul_i32 s69, s0, s1
	s_mul_hi_u32 s71, s0, s70
	s_mul_hi_u32 s68, s0, s1
	s_add_u32 s69, s71, s69
	s_addc_u32 s68, 0, s68
	s_mul_hi_u32 s72, s67, s70
	s_mul_i32 s70, s67, s70
	s_add_u32 s69, s69, s70
	s_mul_hi_u32 s71, s67, s1
	s_addc_u32 s68, s68, s72
	s_addc_u32 s69, s71, 0
	s_mul_i32 s1, s67, s1
	s_add_u32 s1, s68, s1
	s_addc_u32 s68, 0, s69
	s_add_u32 s69, s0, s1
	s_cselect_b64 s[0:1], -1, 0
	s_cmp_lg_u64 s[0:1], 0
	s_addc_u32 s67, s67, s68
	s_mul_i32 s0, s45, s67
	s_mul_hi_u32 s1, s45, s69
	s_add_i32 s0, s1, s0
	s_mul_i32 s66, s66, s69
	s_add_i32 s0, s0, s66
	s_mul_i32 s45, s45, s69
	s_mul_hi_u32 s66, s67, s45
	s_mul_i32 s68, s67, s45
	s_mul_i32 s71, s69, s0
	s_mul_hi_u32 s45, s69, s45
	s_mul_hi_u32 s70, s69, s0
	s_add_u32 s45, s45, s71
	s_addc_u32 s70, 0, s70
	s_add_u32 s45, s45, s68
	s_mul_hi_u32 s1, s67, s0
	s_addc_u32 s45, s70, s66
	s_addc_u32 s1, s1, 0
	s_mul_i32 s0, s67, s0
	s_add_u32 s0, s45, s0
	s_addc_u32 s45, 0, s1
	s_add_u32 s66, s69, s0
	s_cselect_b64 s[0:1], -1, 0
	v_ashrrev_i32_e32 v3, 31, v13
	s_cmp_lg_u64 s[0:1], 0
	v_add_co_u32_e32 v5, vcc, v12, v3
	s_addc_u32 s45, s67, s45
	v_xor_b32_e32 v5, v5, v3
	v_addc_co_u32_e32 v7, vcc, v13, v3, vcc
	v_mad_u64_u32 v[13:14], s[0:1], v5, s45, 0
	v_mul_hi_u32 v9, v5, s66
	v_xor_b32_e32 v7, v7, v3
	v_mad_u64_u32 v[15:16], s[0:1], v7, s45, 0
	v_add_co_u32_e32 v9, vcc, v9, v13
	v_addc_co_u32_e32 v11, vcc, 0, v14, vcc
	v_mad_u64_u32 v[13:14], s[0:1], v7, s66, 0
	v_xor_b32_e32 v3, s44, v3
	v_add_co_u32_e32 v9, vcc, v9, v13
	v_addc_co_u32_e32 v9, vcc, v11, v14, vcc
	v_addc_co_u32_e32 v11, vcc, 0, v16, vcc
	v_add_co_u32_e32 v9, vcc, v9, v15
	v_addc_co_u32_e32 v11, vcc, 0, v11, vcc
	v_mul_lo_u32 v15, s47, v9
	v_mul_lo_u32 v16, s46, v11
	v_mad_u64_u32 v[13:14], s[0:1], s46, v9, 0
	v_add3_u32 v14, v14, v16, v15
	v_sub_u32_e32 v15, v7, v14
	v_mov_b32_e32 v16, s47
	v_sub_co_u32_e32 v5, vcc, v5, v13
	v_subb_co_u32_e64 v13, s[0:1], v15, v16, vcc
	v_subrev_co_u32_e64 v15, s[0:1], s46, v5
	v_subbrev_co_u32_e64 v13, s[0:1], 0, v13, s[0:1]
	v_cmp_le_u32_e64 s[0:1], s47, v13
	v_cndmask_b32_e64 v16, 0, -1, s[0:1]
	v_cmp_le_u32_e64 s[0:1], s46, v15
	v_cndmask_b32_e64 v15, 0, -1, s[0:1]
	v_cmp_eq_u32_e64 s[0:1], s47, v13
	v_cndmask_b32_e64 v13, v16, v15, s[0:1]
	v_add_co_u32_e64 v15, s[0:1], 2, v9
	v_subb_co_u32_e32 v7, vcc, v7, v14, vcc
	v_addc_co_u32_e64 v16, s[0:1], 0, v11, s[0:1]
	v_cmp_le_u32_e32 vcc, s47, v7
	v_add_co_u32_e64 v17, s[0:1], 1, v9
	v_cndmask_b32_e64 v14, 0, -1, vcc
	v_cmp_le_u32_e32 vcc, s46, v5
	v_addc_co_u32_e64 v20, s[0:1], 0, v11, s[0:1]
	v_cndmask_b32_e64 v5, 0, -1, vcc
	v_cmp_eq_u32_e32 vcc, s47, v7
	v_cmp_ne_u32_e64 s[0:1], 0, v13
	v_cndmask_b32_e32 v5, v14, v5, vcc
	v_cmp_ne_u32_e32 vcc, 0, v5
	v_cndmask_b32_e64 v7, v17, v15, s[0:1]
	v_cndmask_b32_e64 v13, v20, v16, s[0:1]
	v_cndmask_b32_e32 v7, v9, v7, vcc
	v_cndmask_b32_e32 v5, v11, v13, vcc
	v_xor_b32_e32 v7, v7, v3
	v_xor_b32_e32 v5, v5, v3
	v_sub_co_u32_e32 v14, vcc, v7, v3
	v_subb_co_u32_e32 v15, vcc, v5, v3, vcc
.LBB5_31:                               ;   in Loop: Header=BB5_21 Depth=2
	s_andn2_saveexec_b64 s[0:1], s[38:39]
	s_cbranch_execz .LBB5_33
; %bb.32:                               ;   in Loop: Header=BB5_21 Depth=2
	v_cvt_f32_u32_e32 v3, s64
	s_sub_i32 s38, 0, s64
	v_mov_b32_e32 v15, v2
	v_rcp_iflag_f32_e32 v3, v3
	v_mul_f32_e32 v3, 0x4f7ffffe, v3
	v_cvt_u32_f32_e32 v3, v3
	v_mul_lo_u32 v5, s38, v3
	v_mul_hi_u32 v5, v3, v5
	v_add_u32_e32 v3, v3, v5
	v_mul_hi_u32 v3, v12, v3
	v_mul_lo_u32 v5, v3, s64
	v_add_u32_e32 v7, 1, v3
	v_sub_u32_e32 v5, v12, v5
	v_subrev_u32_e32 v9, s64, v5
	v_cmp_le_u32_e32 vcc, s64, v5
	v_cndmask_b32_e32 v5, v5, v9, vcc
	v_cndmask_b32_e32 v3, v3, v7, vcc
	v_add_u32_e32 v7, 1, v3
	v_cmp_le_u32_e32 vcc, s64, v5
	v_cndmask_b32_e32 v14, v3, v7, vcc
.LBB5_33:                               ;   in Loop: Header=BB5_21 Depth=2
	s_or_b64 exec, exec, s[0:1]
	s_add_u32 s0, s4, s40
	s_addc_u32 s1, s5, s41
	s_add_i32 s38, s20, -3
	s_mov_b32 s39, s21
	s_lshl_b64 s[38:39], s[38:39], 2
	s_add_u32 s40, s48, s38
	s_addc_u32 s41, s49, s39
	s_load_dword s67, s[40:41], 0x8
	s_load_dword s68, s[42:43], 0x6c
	;; [unrolled: 1-line block ×3, first 2 shown]
                                        ; implicit-def: $vgpr16_vgpr17
	s_waitcnt lgkmcnt(0)
	s_ashr_i32 s0, s67, 31
	v_or_b32_e32 v3, s0, v15
	v_cmp_ne_u64_e32 vcc, 0, v[2:3]
	s_and_saveexec_b64 s[42:43], vcc
	s_xor_b64 s[42:43], exec, s[42:43]
	s_cbranch_execz .LBB5_35
; %bb.34:                               ;   in Loop: Header=BB5_21 Depth=2
	s_ashr_i32 s44, s0, 31
	s_add_u32 s46, s67, s44
	s_mov_b32 s45, s44
	s_addc_u32 s47, s0, s44
	s_xor_b64 s[46:47], s[46:47], s[44:45]
	v_cvt_f32_u32_e32 v3, s46
	v_cvt_f32_u32_e32 v5, s47
	s_sub_u32 s45, 0, s46
	s_subb_u32 s69, 0, s47
	v_mac_f32_e32 v3, 0x4f800000, v5
	v_rcp_f32_e32 v3, v3
	v_mul_f32_e32 v3, 0x5f7ffffc, v3
	v_mul_f32_e32 v5, 0x2f800000, v3
	v_trunc_f32_e32 v5, v5
	v_mac_f32_e32 v3, 0xcf800000, v5
	v_cvt_u32_f32_e32 v5, v5
	v_cvt_u32_f32_e32 v3, v3
	v_readfirstlane_b32 s70, v5
	v_readfirstlane_b32 s0, v3
	s_mul_i32 s1, s45, s70
	s_mul_hi_u32 s72, s45, s0
	s_mul_i32 s71, s69, s0
	s_add_i32 s1, s72, s1
	s_add_i32 s1, s1, s71
	s_mul_i32 s73, s45, s0
	s_mul_i32 s72, s0, s1
	s_mul_hi_u32 s74, s0, s73
	s_mul_hi_u32 s71, s0, s1
	s_add_u32 s72, s74, s72
	s_addc_u32 s71, 0, s71
	s_mul_hi_u32 s75, s70, s73
	s_mul_i32 s73, s70, s73
	s_add_u32 s72, s72, s73
	s_mul_hi_u32 s74, s70, s1
	s_addc_u32 s71, s71, s75
	s_addc_u32 s72, s74, 0
	s_mul_i32 s1, s70, s1
	s_add_u32 s1, s71, s1
	s_addc_u32 s71, 0, s72
	s_add_u32 s72, s0, s1
	s_cselect_b64 s[0:1], -1, 0
	s_cmp_lg_u64 s[0:1], 0
	s_addc_u32 s70, s70, s71
	s_mul_i32 s0, s45, s70
	s_mul_hi_u32 s1, s45, s72
	s_add_i32 s0, s1, s0
	s_mul_i32 s69, s69, s72
	s_add_i32 s0, s0, s69
	s_mul_i32 s45, s45, s72
	s_mul_hi_u32 s69, s70, s45
	s_mul_i32 s71, s70, s45
	s_mul_i32 s74, s72, s0
	s_mul_hi_u32 s45, s72, s45
	s_mul_hi_u32 s73, s72, s0
	s_add_u32 s45, s45, s74
	s_addc_u32 s73, 0, s73
	s_add_u32 s45, s45, s71
	s_mul_hi_u32 s1, s70, s0
	s_addc_u32 s45, s73, s69
	s_addc_u32 s1, s1, 0
	s_mul_i32 s0, s70, s0
	s_add_u32 s0, s45, s0
	s_addc_u32 s45, 0, s1
	s_add_u32 s69, s72, s0
	s_cselect_b64 s[0:1], -1, 0
	v_ashrrev_i32_e32 v3, 31, v15
	s_cmp_lg_u64 s[0:1], 0
	v_add_co_u32_e32 v5, vcc, v14, v3
	s_addc_u32 s45, s70, s45
	v_xor_b32_e32 v5, v5, v3
	v_addc_co_u32_e32 v7, vcc, v15, v3, vcc
	v_mad_u64_u32 v[15:16], s[0:1], v5, s45, 0
	v_mul_hi_u32 v9, v5, s69
	v_xor_b32_e32 v7, v7, v3
	v_mad_u64_u32 v[20:21], s[0:1], v7, s45, 0
	v_add_co_u32_e32 v9, vcc, v9, v15
	v_addc_co_u32_e32 v11, vcc, 0, v16, vcc
	v_mad_u64_u32 v[15:16], s[0:1], v7, s69, 0
	v_xor_b32_e32 v3, s44, v3
	v_add_co_u32_e32 v9, vcc, v9, v15
	v_addc_co_u32_e32 v9, vcc, v11, v16, vcc
	v_addc_co_u32_e32 v11, vcc, 0, v21, vcc
	v_add_co_u32_e32 v9, vcc, v9, v20
	v_addc_co_u32_e32 v11, vcc, 0, v11, vcc
	v_mul_lo_u32 v13, s47, v9
	v_mul_lo_u32 v17, s46, v11
	v_mad_u64_u32 v[15:16], s[0:1], s46, v9, 0
	v_add3_u32 v13, v16, v17, v13
	v_sub_u32_e32 v16, v7, v13
	v_mov_b32_e32 v17, s47
	v_sub_co_u32_e32 v5, vcc, v5, v15
	v_subb_co_u32_e64 v15, s[0:1], v16, v17, vcc
	v_subrev_co_u32_e64 v16, s[0:1], s46, v5
	v_subbrev_co_u32_e64 v15, s[0:1], 0, v15, s[0:1]
	v_cmp_le_u32_e64 s[0:1], s47, v15
	v_cndmask_b32_e64 v17, 0, -1, s[0:1]
	v_cmp_le_u32_e64 s[0:1], s46, v16
	v_cndmask_b32_e64 v16, 0, -1, s[0:1]
	v_cmp_eq_u32_e64 s[0:1], s47, v15
	v_cndmask_b32_e64 v15, v17, v16, s[0:1]
	v_add_co_u32_e64 v16, s[0:1], 2, v9
	v_subb_co_u32_e32 v7, vcc, v7, v13, vcc
	v_addc_co_u32_e64 v17, s[0:1], 0, v11, s[0:1]
	v_cmp_le_u32_e32 vcc, s47, v7
	v_add_co_u32_e64 v20, s[0:1], 1, v9
	v_cndmask_b32_e64 v13, 0, -1, vcc
	v_cmp_le_u32_e32 vcc, s46, v5
	v_addc_co_u32_e64 v21, s[0:1], 0, v11, s[0:1]
	v_cndmask_b32_e64 v5, 0, -1, vcc
	v_cmp_eq_u32_e32 vcc, s47, v7
	v_cmp_ne_u32_e64 s[0:1], 0, v15
	v_cndmask_b32_e32 v5, v13, v5, vcc
	v_cmp_ne_u32_e32 vcc, 0, v5
	v_cndmask_b32_e64 v7, v20, v16, s[0:1]
	v_cndmask_b32_e64 v15, v21, v17, s[0:1]
	v_cndmask_b32_e32 v7, v9, v7, vcc
	v_cndmask_b32_e32 v5, v11, v15, vcc
	v_xor_b32_e32 v7, v7, v3
	v_xor_b32_e32 v5, v5, v3
	v_sub_co_u32_e32 v16, vcc, v7, v3
	v_subb_co_u32_e32 v17, vcc, v5, v3, vcc
.LBB5_35:                               ;   in Loop: Header=BB5_21 Depth=2
	s_andn2_saveexec_b64 s[0:1], s[42:43]
	s_cbranch_execz .LBB5_37
; %bb.36:                               ;   in Loop: Header=BB5_21 Depth=2
	v_cvt_f32_u32_e32 v3, s67
	s_sub_i32 s42, 0, s67
	v_mov_b32_e32 v17, v2
	v_rcp_iflag_f32_e32 v3, v3
	v_mul_f32_e32 v3, 0x4f7ffffe, v3
	v_cvt_u32_f32_e32 v3, v3
	v_mul_lo_u32 v5, s42, v3
	v_mul_hi_u32 v5, v3, v5
	v_add_u32_e32 v3, v3, v5
	v_mul_hi_u32 v3, v14, v3
	v_mul_lo_u32 v5, v3, s67
	v_add_u32_e32 v7, 1, v3
	v_sub_u32_e32 v5, v14, v5
	v_subrev_u32_e32 v9, s67, v5
	v_cmp_le_u32_e32 vcc, s67, v5
	v_cndmask_b32_e32 v5, v5, v9, vcc
	v_cndmask_b32_e32 v3, v3, v7, vcc
	v_add_u32_e32 v7, 1, v3
	v_cmp_le_u32_e32 vcc, s67, v5
	v_cndmask_b32_e32 v16, v3, v7, vcc
.LBB5_37:                               ;   in Loop: Header=BB5_21 Depth=2
	s_or_b64 exec, exec, s[0:1]
	v_mul_lo_u32 v3, v10, s59
	v_mul_lo_u32 v5, v12, s62
	;; [unrolled: 1-line block ×3, first 2 shown]
	s_add_u32 s0, s4, s38
	v_sub_u32_e32 v3, v8, v3
	v_sub_u32_e32 v5, v10, v5
	v_mul_lo_u32 v7, s61, v3
	v_mul_lo_u32 v8, s65, v5
	s_addc_u32 s1, s5, s39
	s_load_dword s40, s[40:41], 0x6c
	v_mul_lo_u32 v3, s60, v3
	v_add3_u32 v6, v7, v6, v8
	v_sub_u32_e32 v7, v12, v9
	v_mul_lo_u32 v9, v16, s67
	s_load_dword s0, s[0:1], 0x6c
	v_mul_lo_u32 v5, s63, v5
	v_mul_lo_u32 v8, s68, v7
	v_sub_u32_e32 v9, v14, v9
	s_waitcnt lgkmcnt(0)
	v_mul_lo_u32 v10, s40, v9
	v_add3_u32 v3, v3, v4, v5
	v_mul_lo_u32 v4, s66, v7
	v_mul_lo_u32 v5, s0, v9
	s_add_i32 s20, s20, -4
	v_add3_u32 v6, v8, v6, v10
	s_cmp_eq_u32 s20, -1
	v_add3_u32 v4, v4, v3, v5
	s_cbranch_scc1 .LBB5_39
; %bb.38:                               ;   in Loop: Header=BB5_21 Depth=2
	v_mov_b32_e32 v8, v16
	v_mov_b32_e32 v9, v17
	s_branch .LBB5_21
.LBB5_39:                               ;   in Loop: Header=BB5_3 Depth=1
	v_sub_u32_e32 v7, v18, v19
	v_ashrrev_i32_e32 v8, 31, v7
	v_cmp_ge_i64_e32 vcc, s[8:9], v[7:8]
	v_mov_b32_e32 v3, 0
	s_and_saveexec_b64 s[38:39], vcc
	s_cbranch_execz .LBB5_49
; %bb.40:                               ;   in Loop: Header=BB5_3 Depth=1
	v_cmp_gt_i32_e32 vcc, s7, v18
	v_mov_b32_e32 v3, 0
	v_mov_b32_e32 v5, 0
	v_mov_b32_e32 v11, 0
	v_mov_b32_e32 v12, 0
	s_and_saveexec_b64 s[0:1], vcc
	s_cbranch_execz .LBB5_48
; %bb.41:                               ;   in Loop: Header=BB5_3 Depth=1
	v_ashrrev_i32_e32 v3, 31, v6
	v_mov_b32_e32 v5, s3
	v_add_co_u32_e32 v9, vcc, s2, v6
	v_addc_co_u32_e32 v10, vcc, v5, v3, vcc
	global_load_ubyte v3, v[9:10], off
	v_add_u32_e32 v11, 1, v18
	v_mov_b32_e32 v5, 0
	v_cmp_gt_i32_e32 vcc, s7, v11
	v_mov_b32_e32 v11, 0
	v_mov_b32_e32 v12, 0
	s_and_saveexec_b64 s[40:41], vcc
	s_xor_b64 s[40:41], exec, s[40:41]
	s_cbranch_execz .LBB5_47
; %bb.42:                               ;   in Loop: Header=BB5_3 Depth=1
	v_mov_b32_e32 v5, s55
	v_add_co_u32_e32 v9, vcc, s56, v9
	v_addc_co_u32_e32 v10, vcc, v10, v5, vcc
	global_load_ubyte v5, v[9:10], off
	v_add_u32_e32 v9, 2, v18
	v_mov_b32_e32 v11, 0
	v_cmp_gt_i32_e32 vcc, s7, v9
	v_mov_b32_e32 v12, 0
	s_and_saveexec_b64 s[42:43], vcc
	s_xor_b64 s[42:43], exec, s[42:43]
	s_cbranch_execz .LBB5_46
; %bb.43:                               ;   in Loop: Header=BB5_3 Depth=1
	v_add_u32_e32 v6, s15, v6
	v_ashrrev_i32_e32 v10, 31, v6
	v_mov_b32_e32 v11, s3
	v_add_co_u32_e32 v9, vcc, s2, v6
	v_addc_co_u32_e32 v10, vcc, v11, v10, vcc
	global_load_ubyte v11, v[9:10], off
	v_add_u32_e32 v9, 3, v18
	v_mov_b32_e32 v12, 0
	v_cmp_gt_i32_e32 vcc, s7, v9
	s_and_saveexec_b64 s[44:45], vcc
	s_xor_b64 s[44:45], exec, s[44:45]
	s_cbranch_execz .LBB5_45
; %bb.44:                               ;   in Loop: Header=BB5_3 Depth=1
	v_add_u32_e32 v6, s56, v6
	v_ashrrev_i32_e32 v10, 31, v6
	v_mov_b32_e32 v12, s3
	v_add_co_u32_e32 v9, vcc, s2, v6
	v_addc_co_u32_e32 v10, vcc, v12, v10, vcc
	global_load_ubyte v12, v[9:10], off
.LBB5_45:                               ;   in Loop: Header=BB5_3 Depth=1
	s_or_b64 exec, exec, s[44:45]
.LBB5_46:                               ;   in Loop: Header=BB5_3 Depth=1
	s_or_b64 exec, exec, s[42:43]
.LBB5_47:                               ;   in Loop: Header=BB5_3 Depth=1
	s_or_b64 exec, exec, s[40:41]
.LBB5_48:                               ;   in Loop: Header=BB5_3 Depth=1
	s_or_b64 exec, exec, s[0:1]
	v_add_u32_e32 v9, 1, v7
	v_ashrrev_i32_e32 v10, 31, v9
	v_add_u32_e32 v13, 3, v7
	v_cmp_ge_i64_e32 vcc, s[24:25], v[9:10]
	v_ashrrev_i32_e32 v14, 31, v13
	v_cmp_ge_i64_e64 s[0:1], s[22:23], v[7:8]
	v_add_u32_e32 v15, 2, v7
	s_waitcnt vmcnt(0)
	v_cndmask_b32_sdwa v5, v2, v5, vcc dst_sel:BYTE_1 dst_unused:UNUSED_PAD src0_sel:DWORD src1_sel:DWORD
	v_cmp_ge_i64_e32 vcc, s[28:29], v[13:14]
	v_ashrrev_i32_e32 v16, 31, v15
	v_cndmask_b32_e64 v3, 0, v3, s[0:1]
	v_or_b32_sdwa v3, v3, v5 dst_sel:DWORD dst_unused:UNUSED_PAD src0_sel:BYTE_0 src1_sel:DWORD
	v_cndmask_b32_sdwa v5, v2, v12, vcc dst_sel:BYTE_1 dst_unused:UNUSED_PAD src0_sel:DWORD src1_sel:DWORD
	v_cmp_ge_i64_e32 vcc, s[26:27], v[15:16]
	v_cndmask_b32_e32 v6, 0, v11, vcc
	v_or_b32_sdwa v5, v6, v5 dst_sel:WORD_1 dst_unused:UNUSED_PAD src0_sel:BYTE_0 src1_sel:DWORD
	v_or_b32_sdwa v3, v3, v5 dst_sel:DWORD dst_unused:UNUSED_PAD src0_sel:WORD_0 src1_sel:DWORD
.LBB5_49:                               ;   in Loop: Header=BB5_3 Depth=1
	s_or_b64 exec, exec, s[38:39]
	v_cmp_gt_i32_e32 vcc, s7, v18
	s_and_saveexec_b64 s[0:1], vcc
	s_cbranch_execz .LBB5_2
; %bb.50:                               ;   in Loop: Header=BB5_3 Depth=1
	v_ashrrev_i32_e32 v6, 31, v4
	v_mov_b32_e32 v7, s19
	v_add_co_u32_e32 v5, vcc, s18, v4
	v_addc_co_u32_e32 v6, vcc, v7, v6, vcc
	v_add_u32_e32 v7, 1, v18
	v_cmp_gt_i32_e32 vcc, s7, v7
	global_store_byte v[5:6], v3, off
	s_and_saveexec_b64 s[38:39], vcc
	s_xor_b64 s[38:39], exec, s[38:39]
	s_cbranch_execz .LBB5_2
; %bb.51:                               ;   in Loop: Header=BB5_3 Depth=1
	v_mov_b32_e32 v8, s57
	v_add_co_u32_e32 v5, vcc, s58, v5
	v_lshrrev_b32_e32 v7, 8, v3
	v_addc_co_u32_e32 v6, vcc, v6, v8, vcc
	global_store_byte v[5:6], v7, off
	v_add_u32_e32 v5, 2, v18
	v_cmp_gt_i32_e32 vcc, s7, v5
	s_and_saveexec_b64 s[38:39], vcc
	s_xor_b64 s[38:39], exec, s[38:39]
	s_cbranch_execz .LBB5_2
; %bb.52:                               ;   in Loop: Header=BB5_3 Depth=1
	v_add_u32_e32 v4, s17, v4
	v_ashrrev_i32_e32 v6, 31, v4
	v_mov_b32_e32 v7, s19
	v_add_co_u32_e32 v5, vcc, s18, v4
	v_addc_co_u32_e32 v6, vcc, v7, v6, vcc
	global_store_byte_d16_hi v[5:6], v3, off
	v_add_u32_e32 v5, 3, v18
	v_cmp_gt_i32_e32 vcc, s7, v5
	s_and_saveexec_b64 s[38:39], vcc
	s_xor_b64 s[38:39], exec, s[38:39]
	s_cbranch_execz .LBB5_2
; %bb.53:                               ;   in Loop: Header=BB5_3 Depth=1
	v_lshrrev_b32_e32 v5, 24, v3
	v_add_u32_e32 v3, s58, v4
	v_ashrrev_i32_e32 v4, 31, v3
	v_mov_b32_e32 v6, s19
	v_add_co_u32_e32 v3, vcc, s18, v3
	v_addc_co_u32_e32 v4, vcc, v6, v4, vcc
	global_store_byte v[3:4], v5, off
	s_branch .LBB5_2
.LBB5_54:
	s_endpgm
	.section	.rodata,"a",@progbits
	.p2align	6, 0x0
	.amdhsa_kernel _ZN2at6native16triu_tril_kernelIaiLb0ELi4ELb0EEEvNS_4cuda6detail10TensorInfoIT_T0_EENS4_IKS5_S6_EEllS6_
		.amdhsa_group_segment_fixed_size 0
		.amdhsa_private_segment_fixed_size 0
		.amdhsa_kernarg_size 712
		.amdhsa_user_sgpr_count 6
		.amdhsa_user_sgpr_private_segment_buffer 1
		.amdhsa_user_sgpr_dispatch_ptr 0
		.amdhsa_user_sgpr_queue_ptr 0
		.amdhsa_user_sgpr_kernarg_segment_ptr 1
		.amdhsa_user_sgpr_dispatch_id 0
		.amdhsa_user_sgpr_flat_scratch_init 0
		.amdhsa_user_sgpr_private_segment_size 0
		.amdhsa_uses_dynamic_stack 0
		.amdhsa_system_sgpr_private_segment_wavefront_offset 0
		.amdhsa_system_sgpr_workgroup_id_x 1
		.amdhsa_system_sgpr_workgroup_id_y 0
		.amdhsa_system_sgpr_workgroup_id_z 0
		.amdhsa_system_sgpr_workgroup_info 0
		.amdhsa_system_vgpr_workitem_id 0
		.amdhsa_next_free_vgpr 22
		.amdhsa_next_free_sgpr 76
		.amdhsa_reserve_vcc 1
		.amdhsa_reserve_flat_scratch 0
		.amdhsa_float_round_mode_32 0
		.amdhsa_float_round_mode_16_64 0
		.amdhsa_float_denorm_mode_32 3
		.amdhsa_float_denorm_mode_16_64 3
		.amdhsa_dx10_clamp 1
		.amdhsa_ieee_mode 1
		.amdhsa_fp16_overflow 0
		.amdhsa_exception_fp_ieee_invalid_op 0
		.amdhsa_exception_fp_denorm_src 0
		.amdhsa_exception_fp_ieee_div_zero 0
		.amdhsa_exception_fp_ieee_overflow 0
		.amdhsa_exception_fp_ieee_underflow 0
		.amdhsa_exception_fp_ieee_inexact 0
		.amdhsa_exception_int_div_zero 0
	.end_amdhsa_kernel
	.section	.text._ZN2at6native16triu_tril_kernelIaiLb0ELi4ELb0EEEvNS_4cuda6detail10TensorInfoIT_T0_EENS4_IKS5_S6_EEllS6_,"axG",@progbits,_ZN2at6native16triu_tril_kernelIaiLb0ELi4ELb0EEEvNS_4cuda6detail10TensorInfoIT_T0_EENS4_IKS5_S6_EEllS6_,comdat
.Lfunc_end5:
	.size	_ZN2at6native16triu_tril_kernelIaiLb0ELi4ELb0EEEvNS_4cuda6detail10TensorInfoIT_T0_EENS4_IKS5_S6_EEllS6_, .Lfunc_end5-_ZN2at6native16triu_tril_kernelIaiLb0ELi4ELb0EEEvNS_4cuda6detail10TensorInfoIT_T0_EENS4_IKS5_S6_EEllS6_
                                        ; -- End function
	.set _ZN2at6native16triu_tril_kernelIaiLb0ELi4ELb0EEEvNS_4cuda6detail10TensorInfoIT_T0_EENS4_IKS5_S6_EEllS6_.num_vgpr, 22
	.set _ZN2at6native16triu_tril_kernelIaiLb0ELi4ELb0EEEvNS_4cuda6detail10TensorInfoIT_T0_EENS4_IKS5_S6_EEllS6_.num_agpr, 0
	.set _ZN2at6native16triu_tril_kernelIaiLb0ELi4ELb0EEEvNS_4cuda6detail10TensorInfoIT_T0_EENS4_IKS5_S6_EEllS6_.numbered_sgpr, 76
	.set _ZN2at6native16triu_tril_kernelIaiLb0ELi4ELb0EEEvNS_4cuda6detail10TensorInfoIT_T0_EENS4_IKS5_S6_EEllS6_.num_named_barrier, 0
	.set _ZN2at6native16triu_tril_kernelIaiLb0ELi4ELb0EEEvNS_4cuda6detail10TensorInfoIT_T0_EENS4_IKS5_S6_EEllS6_.private_seg_size, 0
	.set _ZN2at6native16triu_tril_kernelIaiLb0ELi4ELb0EEEvNS_4cuda6detail10TensorInfoIT_T0_EENS4_IKS5_S6_EEllS6_.uses_vcc, 1
	.set _ZN2at6native16triu_tril_kernelIaiLb0ELi4ELb0EEEvNS_4cuda6detail10TensorInfoIT_T0_EENS4_IKS5_S6_EEllS6_.uses_flat_scratch, 0
	.set _ZN2at6native16triu_tril_kernelIaiLb0ELi4ELb0EEEvNS_4cuda6detail10TensorInfoIT_T0_EENS4_IKS5_S6_EEllS6_.has_dyn_sized_stack, 0
	.set _ZN2at6native16triu_tril_kernelIaiLb0ELi4ELb0EEEvNS_4cuda6detail10TensorInfoIT_T0_EENS4_IKS5_S6_EEllS6_.has_recursion, 0
	.set _ZN2at6native16triu_tril_kernelIaiLb0ELi4ELb0EEEvNS_4cuda6detail10TensorInfoIT_T0_EENS4_IKS5_S6_EEllS6_.has_indirect_call, 0
	.section	.AMDGPU.csdata,"",@progbits
; Kernel info:
; codeLenInByte = 6660
; TotalNumSgprs: 80
; NumVgprs: 22
; ScratchSize: 0
; MemoryBound: 0
; FloatMode: 240
; IeeeMode: 1
; LDSByteSize: 0 bytes/workgroup (compile time only)
; SGPRBlocks: 9
; VGPRBlocks: 5
; NumSGPRsForWavesPerEU: 80
; NumVGPRsForWavesPerEU: 22
; Occupancy: 10
; WaveLimiterHint : 1
; COMPUTE_PGM_RSRC2:SCRATCH_EN: 0
; COMPUTE_PGM_RSRC2:USER_SGPR: 6
; COMPUTE_PGM_RSRC2:TRAP_HANDLER: 0
; COMPUTE_PGM_RSRC2:TGID_X_EN: 1
; COMPUTE_PGM_RSRC2:TGID_Y_EN: 0
; COMPUTE_PGM_RSRC2:TGID_Z_EN: 0
; COMPUTE_PGM_RSRC2:TIDIG_COMP_CNT: 0
	.section	.text._ZN2at6native16triu_tril_kernelIalLb0ELi4ELb1EEEvNS_4cuda6detail10TensorInfoIT_T0_EENS4_IKS5_S6_EEllS6_,"axG",@progbits,_ZN2at6native16triu_tril_kernelIalLb0ELi4ELb1EEEvNS_4cuda6detail10TensorInfoIT_T0_EENS4_IKS5_S6_EEllS6_,comdat
	.protected	_ZN2at6native16triu_tril_kernelIalLb0ELi4ELb1EEEvNS_4cuda6detail10TensorInfoIT_T0_EENS4_IKS5_S6_EEllS6_ ; -- Begin function _ZN2at6native16triu_tril_kernelIalLb0ELi4ELb1EEEvNS_4cuda6detail10TensorInfoIT_T0_EENS4_IKS5_S6_EEllS6_
	.globl	_ZN2at6native16triu_tril_kernelIalLb0ELi4ELb1EEEvNS_4cuda6detail10TensorInfoIT_T0_EENS4_IKS5_S6_EEllS6_
	.p2align	8
	.type	_ZN2at6native16triu_tril_kernelIalLb0ELi4ELb1EEEvNS_4cuda6detail10TensorInfoIT_T0_EENS4_IKS5_S6_EEllS6_,@function
_ZN2at6native16triu_tril_kernelIalLb0ELi4ELb1EEEvNS_4cuda6detail10TensorInfoIT_T0_EENS4_IKS5_S6_EEllS6_: ; @_ZN2at6native16triu_tril_kernelIalLb0ELi4ELb1EEEvNS_4cuda6detail10TensorInfoIT_T0_EENS4_IKS5_S6_EEllS6_
; %bb.0:
	s_load_dword s2, s[4:5], 0x364
	s_load_dwordx4 s[8:11], s[4:5], 0x340
	s_add_u32 s0, s4, 0x358
	v_mov_b32_e32 v2, 0
	s_addc_u32 s1, s5, 0
	s_waitcnt lgkmcnt(0)
	s_and_b32 s2, s2, 0xffff
	v_mov_b32_e32 v1, v2
	v_mov_b32_e32 v3, s6
	v_mad_u64_u32 v[0:1], s[6:7], s2, v3, v[0:1]
	v_lshlrev_b64 v[0:1], 2, v[0:1]
	v_cmp_gt_i64_e32 vcc, s[10:11], v[0:1]
	s_and_saveexec_b64 s[6:7], vcc
	s_cbranch_execz .LBB6_49
; %bb.1:
	s_load_dword s1, s[0:1], 0x0
	s_add_u32 s34, s4, 0x1a0
	s_load_dword s0, s[4:5], 0x338
	s_addc_u32 s35, s5, 0
	s_load_dwordx2 s[6:7], s[4:5], 0x350
	s_load_dwordx2 s[12:13], s[4:5], 0x0
	s_waitcnt lgkmcnt(0)
	s_mul_i32 s24, s1, s2
	s_mov_b32 s25, 0
	s_add_i32 s2, s0, -2
	s_ashr_i32 s3, s2, 31
	s_ashr_i32 s1, s0, 31
	s_lshl_b64 s[16:17], s[2:3], 3
	s_add_u32 s16, s34, s16
	s_addc_u32 s17, s35, s17
	s_lshl_b64 s[22:23], s[0:1], 3
	s_add_u32 s18, s4, s22
	s_addc_u32 s19, s5, s23
	s_add_i32 s20, s0, -3
	s_ashr_i32 s21, s20, 31
	s_add_u32 s22, s34, s22
	v_cmp_gt_i64_e64 s[14:15], s[0:1], 2
	s_addc_u32 s23, s35, s23
	s_lshl_b32 s33, s24, 2
	s_and_b32 s24, s2, 3
	s_and_b32 s0, s20, 3
	s_cmp_lg_u32 s0, 3
	s_cselect_b64 s[26:27], -1, 0
	s_cmp_gt_u32 s20, 2
	s_cselect_b64 s[28:29], -1, 0
	s_lshl_b64 s[0:1], s[20:21], 3
	s_add_u32 s2, s4, s0
	s_addc_u32 s3, s5, s1
	s_add_u32 s30, s2, 0xd0
	s_addc_u32 s31, s3, 0
	s_add_u32 s0, s34, s0
	s_addc_u32 s1, s35, s1
	s_add_u32 s34, s0, 8
	s_load_dwordx2 s[16:17], s[16:17], 0x8
	s_addc_u32 s35, s1, 0
	s_add_u32 s64, s4, 0xb8
	s_addc_u32 s65, s5, 0
	s_add_u32 s66, s4, 0x190
	s_addc_u32 s67, s5, 0
	s_mov_b64 s[4:5], 0
	s_branch .LBB6_3
.LBB6_2:                                ;   in Loop: Header=BB6_3 Depth=1
	s_or_b64 exec, exec, s[36:37]
	v_add_co_u32_e32 v0, vcc, s33, v0
	v_addc_co_u32_e32 v1, vcc, 0, v1, vcc
	v_cmp_le_i64_e32 vcc, s[10:11], v[0:1]
	s_or_b64 s[4:5], vcc, s[4:5]
	s_andn2_b64 exec, exec, s[4:5]
	s_cbranch_execz .LBB6_49
.LBB6_3:                                ; =>This Loop Header: Depth=1
                                        ;     Child Loop BB6_17 Depth 2
                                        ;     Child Loop BB6_22 Depth 2
	v_or_b32_e32 v3, s7, v1
	v_cmp_ne_u64_e32 vcc, 0, v[2:3]
                                        ; implicit-def: $vgpr6_vgpr7
	s_and_saveexec_b64 s[0:1], vcc
	s_xor_b64 s[2:3], exec, s[0:1]
	s_cbranch_execz .LBB6_5
; %bb.4:                                ;   in Loop: Header=BB6_3 Depth=1
	s_ashr_i32 s36, s7, 31
	s_add_u32 s0, s6, s36
	s_mov_b32 s37, s36
	s_addc_u32 s1, s7, s36
	s_xor_b64 s[38:39], s[0:1], s[36:37]
	v_cvt_f32_u32_e32 v3, s38
	v_cvt_f32_u32_e32 v4, s39
	s_sub_u32 s37, 0, s38
	s_subb_u32 s40, 0, s39
	v_ashrrev_i32_e32 v7, 31, v1
	v_mac_f32_e32 v3, 0x4f800000, v4
	v_rcp_f32_e32 v3, v3
	v_mul_f32_e32 v3, 0x5f7ffffc, v3
	v_mul_f32_e32 v4, 0x2f800000, v3
	v_trunc_f32_e32 v4, v4
	v_mac_f32_e32 v3, 0xcf800000, v4
	v_cvt_u32_f32_e32 v4, v4
	v_cvt_u32_f32_e32 v3, v3
	v_readfirstlane_b32 s41, v4
	v_readfirstlane_b32 s0, v3
	s_mul_i32 s1, s37, s41
	s_mul_hi_u32 s43, s37, s0
	s_mul_i32 s42, s40, s0
	s_add_i32 s1, s43, s1
	s_add_i32 s1, s1, s42
	s_mul_i32 s44, s37, s0
	s_mul_i32 s43, s0, s1
	s_mul_hi_u32 s45, s0, s44
	s_mul_hi_u32 s42, s0, s1
	s_add_u32 s43, s45, s43
	s_addc_u32 s42, 0, s42
	s_mul_hi_u32 s46, s41, s44
	s_mul_i32 s44, s41, s44
	s_add_u32 s43, s43, s44
	s_mul_hi_u32 s45, s41, s1
	s_addc_u32 s42, s42, s46
	s_addc_u32 s43, s45, 0
	s_mul_i32 s1, s41, s1
	s_add_u32 s1, s42, s1
	s_addc_u32 s42, 0, s43
	s_add_u32 s43, s0, s1
	s_cselect_b64 s[0:1], -1, 0
	s_cmp_lg_u64 s[0:1], 0
	s_addc_u32 s41, s41, s42
	s_mul_i32 s0, s37, s41
	s_mul_hi_u32 s1, s37, s43
	s_add_i32 s0, s1, s0
	s_mul_i32 s40, s40, s43
	s_add_i32 s0, s0, s40
	s_mul_i32 s37, s37, s43
	s_mul_hi_u32 s40, s41, s37
	s_mul_i32 s42, s41, s37
	s_mul_i32 s45, s43, s0
	s_mul_hi_u32 s37, s43, s37
	s_mul_hi_u32 s44, s43, s0
	s_add_u32 s37, s37, s45
	s_addc_u32 s44, 0, s44
	s_add_u32 s37, s37, s42
	s_mul_hi_u32 s1, s41, s0
	s_addc_u32 s37, s44, s40
	s_addc_u32 s1, s1, 0
	s_mul_i32 s0, s41, s0
	s_add_u32 s0, s37, s0
	s_addc_u32 s37, 0, s1
	s_add_u32 s40, s43, s0
	s_cselect_b64 s[0:1], -1, 0
	s_cmp_lg_u64 s[0:1], 0
	v_add_co_u32_e32 v3, vcc, v0, v7
	s_addc_u32 s37, s41, s37
	v_xor_b32_e32 v8, v3, v7
	v_mad_u64_u32 v[3:4], s[0:1], v8, s37, 0
	v_mul_hi_u32 v6, v8, s40
	v_addc_co_u32_e32 v5, vcc, v1, v7, vcc
	v_xor_b32_e32 v9, v5, v7
	v_add_co_u32_e32 v10, vcc, v6, v3
	v_addc_co_u32_e32 v11, vcc, 0, v4, vcc
	v_mad_u64_u32 v[3:4], s[0:1], v9, s40, 0
	v_mad_u64_u32 v[5:6], s[0:1], v9, s37, 0
	v_add_co_u32_e32 v3, vcc, v10, v3
	v_addc_co_u32_e32 v3, vcc, v11, v4, vcc
	v_addc_co_u32_e32 v4, vcc, 0, v6, vcc
	v_add_co_u32_e32 v5, vcc, v3, v5
	v_addc_co_u32_e32 v6, vcc, 0, v4, vcc
	v_mul_lo_u32 v10, s39, v5
	v_mul_lo_u32 v11, s38, v6
	v_mad_u64_u32 v[3:4], s[0:1], s38, v5, 0
	v_add3_u32 v4, v4, v11, v10
	v_sub_u32_e32 v10, v9, v4
	v_mov_b32_e32 v11, s39
	v_sub_co_u32_e32 v3, vcc, v8, v3
	v_subb_co_u32_e64 v8, s[0:1], v10, v11, vcc
	v_subrev_co_u32_e64 v10, s[0:1], s38, v3
	v_subbrev_co_u32_e64 v8, s[0:1], 0, v8, s[0:1]
	v_cmp_le_u32_e64 s[0:1], s39, v8
	v_cndmask_b32_e64 v11, 0, -1, s[0:1]
	v_cmp_le_u32_e64 s[0:1], s38, v10
	v_cndmask_b32_e64 v10, 0, -1, s[0:1]
	v_cmp_eq_u32_e64 s[0:1], s39, v8
	v_cndmask_b32_e64 v8, v11, v10, s[0:1]
	v_add_co_u32_e64 v10, s[0:1], 2, v5
	v_subb_co_u32_e32 v4, vcc, v9, v4, vcc
	v_addc_co_u32_e64 v11, s[0:1], 0, v6, s[0:1]
	v_cmp_le_u32_e32 vcc, s39, v4
	v_add_co_u32_e64 v12, s[0:1], 1, v5
	v_cndmask_b32_e64 v9, 0, -1, vcc
	v_cmp_le_u32_e32 vcc, s38, v3
	v_addc_co_u32_e64 v13, s[0:1], 0, v6, s[0:1]
	v_cndmask_b32_e64 v3, 0, -1, vcc
	v_cmp_eq_u32_e32 vcc, s39, v4
	v_cmp_ne_u32_e64 s[0:1], 0, v8
	v_cndmask_b32_e32 v3, v9, v3, vcc
	v_cmp_ne_u32_e32 vcc, 0, v3
	v_cndmask_b32_e64 v4, v12, v10, s[0:1]
	v_cndmask_b32_e64 v8, v13, v11, s[0:1]
	v_cndmask_b32_e32 v4, v5, v4, vcc
	v_xor_b32_e32 v5, s36, v7
	v_cndmask_b32_e32 v3, v6, v8, vcc
	v_xor_b32_e32 v4, v4, v5
	v_xor_b32_e32 v3, v3, v5
	v_sub_co_u32_e32 v6, vcc, v4, v5
	v_subb_co_u32_e32 v7, vcc, v3, v5, vcc
.LBB6_5:                                ;   in Loop: Header=BB6_3 Depth=1
	s_andn2_saveexec_b64 s[0:1], s[2:3]
	s_cbranch_execz .LBB6_7
; %bb.6:                                ;   in Loop: Header=BB6_3 Depth=1
	v_cvt_f32_u32_e32 v3, s6
	s_sub_i32 s2, 0, s6
	v_mov_b32_e32 v7, v2
	v_rcp_iflag_f32_e32 v3, v3
	v_mul_f32_e32 v3, 0x4f7ffffe, v3
	v_cvt_u32_f32_e32 v3, v3
	v_mul_lo_u32 v4, s2, v3
	v_mul_hi_u32 v4, v3, v4
	v_add_u32_e32 v3, v3, v4
	v_mul_hi_u32 v3, v0, v3
	v_mul_lo_u32 v4, v3, s6
	v_add_u32_e32 v5, 1, v3
	v_sub_u32_e32 v4, v0, v4
	v_subrev_u32_e32 v6, s6, v4
	v_cmp_le_u32_e32 vcc, s6, v4
	v_cndmask_b32_e32 v4, v4, v6, vcc
	v_cndmask_b32_e32 v3, v3, v5, vcc
	v_add_u32_e32 v5, 1, v3
	v_cmp_le_u32_e32 vcc, s6, v4
	v_cndmask_b32_e32 v6, v3, v5, vcc
.LBB6_7:                                ;   in Loop: Header=BB6_3 Depth=1
	s_or_b64 exec, exec, s[0:1]
	s_waitcnt lgkmcnt(0)
	v_or_b32_e32 v3, s17, v7
	v_cmp_ne_u64_e32 vcc, 0, v[2:3]
                                        ; implicit-def: $vgpr10_vgpr11
	s_and_saveexec_b64 s[0:1], vcc
	s_xor_b64 s[2:3], exec, s[0:1]
	s_cbranch_execz .LBB6_9
; %bb.8:                                ;   in Loop: Header=BB6_3 Depth=1
	s_ashr_i32 s36, s17, 31
	s_add_u32 s0, s16, s36
	s_mov_b32 s37, s36
	s_addc_u32 s1, s17, s36
	s_xor_b64 s[38:39], s[0:1], s[36:37]
	v_cvt_f32_u32_e32 v3, s38
	v_cvt_f32_u32_e32 v4, s39
	s_sub_u32 s37, 0, s38
	s_subb_u32 s40, 0, s39
	v_ashrrev_i32_e32 v5, 31, v7
	v_mac_f32_e32 v3, 0x4f800000, v4
	v_rcp_f32_e32 v3, v3
	v_mul_f32_e32 v3, 0x5f7ffffc, v3
	v_mul_f32_e32 v4, 0x2f800000, v3
	v_trunc_f32_e32 v4, v4
	v_mac_f32_e32 v3, 0xcf800000, v4
	v_cvt_u32_f32_e32 v4, v4
	v_cvt_u32_f32_e32 v3, v3
	v_readfirstlane_b32 s41, v4
	v_readfirstlane_b32 s0, v3
	s_mul_i32 s1, s37, s41
	s_mul_hi_u32 s43, s37, s0
	s_mul_i32 s42, s40, s0
	s_add_i32 s1, s43, s1
	s_add_i32 s1, s1, s42
	s_mul_i32 s44, s37, s0
	s_mul_i32 s43, s0, s1
	s_mul_hi_u32 s45, s0, s44
	s_mul_hi_u32 s42, s0, s1
	s_add_u32 s43, s45, s43
	s_addc_u32 s42, 0, s42
	s_mul_hi_u32 s46, s41, s44
	s_mul_i32 s44, s41, s44
	s_add_u32 s43, s43, s44
	s_mul_hi_u32 s45, s41, s1
	s_addc_u32 s42, s42, s46
	s_addc_u32 s43, s45, 0
	s_mul_i32 s1, s41, s1
	s_add_u32 s1, s42, s1
	s_addc_u32 s42, 0, s43
	s_add_u32 s43, s0, s1
	s_cselect_b64 s[0:1], -1, 0
	s_cmp_lg_u64 s[0:1], 0
	s_addc_u32 s41, s41, s42
	s_mul_i32 s0, s37, s41
	s_mul_hi_u32 s1, s37, s43
	s_add_i32 s0, s1, s0
	s_mul_i32 s40, s40, s43
	s_add_i32 s0, s0, s40
	s_mul_i32 s37, s37, s43
	s_mul_hi_u32 s40, s41, s37
	s_mul_i32 s42, s41, s37
	s_mul_i32 s45, s43, s0
	s_mul_hi_u32 s37, s43, s37
	s_mul_hi_u32 s44, s43, s0
	s_add_u32 s37, s37, s45
	s_addc_u32 s44, 0, s44
	s_add_u32 s37, s37, s42
	s_mul_hi_u32 s1, s41, s0
	s_addc_u32 s37, s44, s40
	s_addc_u32 s1, s1, 0
	s_mul_i32 s0, s41, s0
	s_add_u32 s0, s37, s0
	s_addc_u32 s37, 0, s1
	s_add_u32 s40, s43, s0
	s_cselect_b64 s[0:1], -1, 0
	s_cmp_lg_u64 s[0:1], 0
	v_add_co_u32_e32 v3, vcc, v6, v5
	s_addc_u32 s37, s41, s37
	v_xor_b32_e32 v10, v3, v5
	v_mad_u64_u32 v[3:4], s[0:1], v10, s37, 0
	v_mul_hi_u32 v9, v10, s40
	v_addc_co_u32_e32 v8, vcc, v7, v5, vcc
	v_xor_b32_e32 v11, v8, v5
	v_add_co_u32_e32 v12, vcc, v9, v3
	v_addc_co_u32_e32 v13, vcc, 0, v4, vcc
	v_mad_u64_u32 v[3:4], s[0:1], v11, s40, 0
	v_mad_u64_u32 v[8:9], s[0:1], v11, s37, 0
	v_add_co_u32_e32 v3, vcc, v12, v3
	v_addc_co_u32_e32 v3, vcc, v13, v4, vcc
	v_addc_co_u32_e32 v4, vcc, 0, v9, vcc
	v_add_co_u32_e32 v8, vcc, v3, v8
	v_addc_co_u32_e32 v9, vcc, 0, v4, vcc
	v_mul_lo_u32 v12, s39, v8
	v_mul_lo_u32 v13, s38, v9
	v_mad_u64_u32 v[3:4], s[0:1], s38, v8, 0
	v_xor_b32_e32 v5, s36, v5
	v_add3_u32 v4, v4, v13, v12
	v_sub_u32_e32 v12, v11, v4
	v_mov_b32_e32 v13, s39
	v_sub_co_u32_e32 v3, vcc, v10, v3
	v_subb_co_u32_e64 v10, s[0:1], v12, v13, vcc
	v_subrev_co_u32_e64 v12, s[0:1], s38, v3
	v_subbrev_co_u32_e64 v10, s[0:1], 0, v10, s[0:1]
	v_cmp_le_u32_e64 s[0:1], s39, v10
	v_cndmask_b32_e64 v13, 0, -1, s[0:1]
	v_cmp_le_u32_e64 s[0:1], s38, v12
	v_cndmask_b32_e64 v12, 0, -1, s[0:1]
	v_cmp_eq_u32_e64 s[0:1], s39, v10
	v_cndmask_b32_e64 v10, v13, v12, s[0:1]
	v_add_co_u32_e64 v12, s[0:1], 2, v8
	v_subb_co_u32_e32 v4, vcc, v11, v4, vcc
	v_addc_co_u32_e64 v13, s[0:1], 0, v9, s[0:1]
	v_cmp_le_u32_e32 vcc, s39, v4
	v_add_co_u32_e64 v14, s[0:1], 1, v8
	v_cndmask_b32_e64 v11, 0, -1, vcc
	v_cmp_le_u32_e32 vcc, s38, v3
	v_addc_co_u32_e64 v15, s[0:1], 0, v9, s[0:1]
	v_cndmask_b32_e64 v3, 0, -1, vcc
	v_cmp_eq_u32_e32 vcc, s39, v4
	v_cmp_ne_u32_e64 s[0:1], 0, v10
	v_cndmask_b32_e32 v3, v11, v3, vcc
	v_cmp_ne_u32_e32 vcc, 0, v3
	v_cndmask_b32_e64 v4, v14, v12, s[0:1]
	v_cndmask_b32_e64 v10, v15, v13, s[0:1]
	v_cndmask_b32_e32 v4, v8, v4, vcc
	v_cndmask_b32_e32 v3, v9, v10, vcc
	v_xor_b32_e32 v4, v4, v5
	v_xor_b32_e32 v3, v3, v5
	v_sub_co_u32_e32 v10, vcc, v4, v5
	v_subb_co_u32_e32 v11, vcc, v3, v5, vcc
.LBB6_9:                                ;   in Loop: Header=BB6_3 Depth=1
	s_andn2_saveexec_b64 s[0:1], s[2:3]
	s_cbranch_execz .LBB6_11
; %bb.10:                               ;   in Loop: Header=BB6_3 Depth=1
	v_cvt_f32_u32_e32 v3, s16
	s_sub_i32 s2, 0, s16
	v_mov_b32_e32 v11, v2
	v_rcp_iflag_f32_e32 v3, v3
	v_mul_f32_e32 v3, 0x4f7ffffe, v3
	v_cvt_u32_f32_e32 v3, v3
	v_mul_lo_u32 v4, s2, v3
	v_mul_hi_u32 v4, v3, v4
	v_add_u32_e32 v3, v3, v4
	v_mul_hi_u32 v3, v6, v3
	v_mul_lo_u32 v4, v3, s16
	v_add_u32_e32 v5, 1, v3
	v_sub_u32_e32 v4, v6, v4
	v_subrev_u32_e32 v8, s16, v4
	v_cmp_le_u32_e32 vcc, s16, v4
	v_cndmask_b32_e32 v4, v4, v8, vcc
	v_cndmask_b32_e32 v3, v3, v5, vcc
	v_add_u32_e32 v5, 1, v3
	v_cmp_le_u32_e32 vcc, s16, v4
	v_cndmask_b32_e32 v10, v3, v5, vcc
.LBB6_11:                               ;   in Loop: Header=BB6_3 Depth=1
	s_or_b64 exec, exec, s[0:1]
	v_mul_lo_u32 v5, v7, s6
	v_mul_lo_u32 v8, v6, s7
	v_mad_u64_u32 v[3:4], s[0:1], v6, s6, 0
	v_mul_lo_u32 v12, v11, s16
	v_mul_lo_u32 v13, v10, s17
	v_add3_u32 v5, v4, v8, v5
	v_mad_u64_u32 v[8:9], s[0:1], v10, s16, 0
	v_sub_co_u32_e32 v4, vcc, v0, v3
	v_subb_co_u32_e32 v5, vcc, v1, v5, vcc
	v_add3_u32 v3, v9, v13, v12
	v_sub_co_u32_e32 v20, vcc, v6, v8
	v_subb_co_u32_e32 v21, vcc, v7, v3, vcc
	v_sub_co_u32_e32 v6, vcc, v4, v20
	v_subb_co_u32_e32 v7, vcc, v5, v21, vcc
	v_add_co_u32_e32 v8, vcc, 4, v6
	v_addc_co_u32_e32 v9, vcc, 0, v7, vcc
	v_cmp_lt_i64_e32 vcc, s[8:9], v[8:9]
	s_and_saveexec_b64 s[36:37], vcc
	s_cbranch_execz .LBB6_2
; %bb.12:                               ;   in Loop: Header=BB6_3 Depth=1
	s_load_dwordx4 s[0:3], s[18:19], 0xc0
	s_andn2_b64 vcc, exec, s[14:15]
	s_waitcnt lgkmcnt(0)
	v_mul_lo_u32 v3, s3, v4
	v_mul_lo_u32 v12, s2, v5
	v_mad_u64_u32 v[8:9], s[38:39], s2, v4, 0
	v_mul_lo_u32 v13, s0, v21
	v_add3_u32 v9, v9, v12, v3
	v_mad_u64_u32 v[8:9], s[38:39], s0, v20, v[8:9]
	v_mul_lo_u32 v3, s1, v20
	v_add3_u32 v9, v3, v9, v13
	s_cbranch_vccnz .LBB6_38
; %bb.13:                               ;   in Loop: Header=BB6_3 Depth=1
	s_andn2_b64 vcc, exec, s[26:27]
	s_mov_b64 s[38:39], s[24:25]
	s_mov_b64 s[40:41], s[34:35]
	;; [unrolled: 1-line block ×4, first 2 shown]
	s_cbranch_vccz .LBB6_17
.LBB6_14:                               ;   in Loop: Header=BB6_3 Depth=1
	s_andn2_b64 vcc, exec, s[28:29]
	s_cbranch_vccnz .LBB6_38
; %bb.15:                               ;   in Loop: Header=BB6_3 Depth=1
	s_lshl_b64 s[0:1], s[42:43], 3
	s_add_u32 s38, s64, s0
	s_addc_u32 s39, s65, s1
	s_add_u32 s40, s66, s0
	s_addc_u32 s41, s67, s1
	;; [unrolled: 2-line block ×3, first 2 shown]
	s_branch .LBB6_22
.LBB6_16:                               ;   in Loop: Header=BB6_17 Depth=2
	s_or_b64 exec, exec, s[0:1]
	v_mul_lo_u32 v3, v13, s46
	v_mul_lo_u32 v16, v12, s47
	v_mad_u64_u32 v[14:15], s[0:1], v12, s46, 0
	s_load_dwordx2 s[0:1], s[44:45], 0x0
	s_add_u32 s42, s42, -1
	v_add3_u32 v3, v15, v16, v3
	v_sub_co_u32_e32 v10, vcc, v10, v14
	s_addc_u32 s43, s43, -1
	v_subb_co_u32_e32 v3, vcc, v11, v3, vcc
	s_add_u32 s44, s44, -8
	s_waitcnt lgkmcnt(0)
	v_mul_lo_u32 v3, s0, v3
	v_mul_lo_u32 v11, s1, v10
	v_mad_u64_u32 v[8:9], s[0:1], s0, v10, v[8:9]
	s_addc_u32 s45, s45, -1
	s_add_u32 s40, s40, -8
	s_addc_u32 s41, s41, -1
	s_add_u32 s38, s38, -1
	s_addc_u32 s39, s39, -1
	v_add3_u32 v9, v11, v9, v3
	v_mov_b32_e32 v10, v12
	s_cmp_lg_u64 s[38:39], 0
	v_mov_b32_e32 v11, v13
	s_cbranch_scc0 .LBB6_14
.LBB6_17:                               ;   Parent Loop BB6_3 Depth=1
                                        ; =>  This Inner Loop Header: Depth=2
	s_load_dwordx2 s[46:47], s[40:41], 0x0
                                        ; implicit-def: $vgpr12_vgpr13
	s_waitcnt lgkmcnt(0)
	v_or_b32_e32 v3, s47, v11
	v_cmp_ne_u64_e32 vcc, 0, v[2:3]
	s_and_saveexec_b64 s[0:1], vcc
	s_xor_b64 s[48:49], exec, s[0:1]
	s_cbranch_execz .LBB6_19
; %bb.18:                               ;   in Loop: Header=BB6_17 Depth=2
	s_ashr_i32 s50, s47, 31
	s_add_u32 s0, s46, s50
	s_mov_b32 s51, s50
	s_addc_u32 s1, s47, s50
	s_xor_b64 s[52:53], s[0:1], s[50:51]
	v_cvt_f32_u32_e32 v3, s52
	v_cvt_f32_u32_e32 v12, s53
	s_sub_u32 s51, 0, s52
	s_subb_u32 s54, 0, s53
	v_mac_f32_e32 v3, 0x4f800000, v12
	v_rcp_f32_e32 v3, v3
	v_mul_f32_e32 v3, 0x5f7ffffc, v3
	v_mul_f32_e32 v12, 0x2f800000, v3
	v_trunc_f32_e32 v12, v12
	v_mac_f32_e32 v3, 0xcf800000, v12
	v_cvt_u32_f32_e32 v12, v12
	v_cvt_u32_f32_e32 v3, v3
	v_readfirstlane_b32 s55, v12
	v_readfirstlane_b32 s0, v3
	s_mul_i32 s1, s51, s55
	s_mul_hi_u32 s57, s51, s0
	s_mul_i32 s56, s54, s0
	s_add_i32 s1, s57, s1
	s_add_i32 s1, s1, s56
	s_mul_i32 s58, s51, s0
	s_mul_i32 s57, s0, s1
	s_mul_hi_u32 s59, s0, s58
	s_mul_hi_u32 s56, s0, s1
	s_add_u32 s57, s59, s57
	s_addc_u32 s56, 0, s56
	s_mul_hi_u32 s60, s55, s58
	s_mul_i32 s58, s55, s58
	s_add_u32 s57, s57, s58
	s_mul_hi_u32 s59, s55, s1
	s_addc_u32 s56, s56, s60
	s_addc_u32 s57, s59, 0
	s_mul_i32 s1, s55, s1
	s_add_u32 s1, s56, s1
	s_addc_u32 s56, 0, s57
	s_add_u32 s57, s0, s1
	s_cselect_b64 s[0:1], -1, 0
	s_cmp_lg_u64 s[0:1], 0
	s_addc_u32 s55, s55, s56
	s_mul_i32 s0, s51, s55
	s_mul_hi_u32 s1, s51, s57
	s_add_i32 s0, s1, s0
	s_mul_i32 s54, s54, s57
	s_add_i32 s0, s0, s54
	s_mul_i32 s51, s51, s57
	s_mul_hi_u32 s54, s55, s51
	s_mul_i32 s56, s55, s51
	s_mul_i32 s59, s57, s0
	s_mul_hi_u32 s51, s57, s51
	s_mul_hi_u32 s58, s57, s0
	s_add_u32 s51, s51, s59
	s_addc_u32 s58, 0, s58
	s_add_u32 s51, s51, s56
	s_mul_hi_u32 s1, s55, s0
	s_addc_u32 s51, s58, s54
	s_addc_u32 s1, s1, 0
	s_mul_i32 s0, s55, s0
	s_add_u32 s0, s51, s0
	s_addc_u32 s51, 0, s1
	s_add_u32 s54, s57, s0
	s_cselect_b64 s[0:1], -1, 0
	v_ashrrev_i32_e32 v3, 31, v11
	s_cmp_lg_u64 s[0:1], 0
	v_add_co_u32_e32 v12, vcc, v10, v3
	s_addc_u32 s51, s55, s51
	v_xor_b32_e32 v16, v12, v3
	v_mad_u64_u32 v[12:13], s[0:1], v16, s51, 0
	v_mul_hi_u32 v15, v16, s54
	v_addc_co_u32_e32 v14, vcc, v11, v3, vcc
	v_xor_b32_e32 v17, v14, v3
	v_add_co_u32_e32 v18, vcc, v15, v12
	v_addc_co_u32_e32 v19, vcc, 0, v13, vcc
	v_mad_u64_u32 v[12:13], s[0:1], v17, s54, 0
	v_mad_u64_u32 v[14:15], s[0:1], v17, s51, 0
	v_add_co_u32_e32 v12, vcc, v18, v12
	v_addc_co_u32_e32 v12, vcc, v19, v13, vcc
	v_addc_co_u32_e32 v13, vcc, 0, v15, vcc
	v_add_co_u32_e32 v14, vcc, v12, v14
	v_addc_co_u32_e32 v15, vcc, 0, v13, vcc
	v_mul_lo_u32 v18, s53, v14
	v_mul_lo_u32 v19, s52, v15
	v_mad_u64_u32 v[12:13], s[0:1], s52, v14, 0
	v_xor_b32_e32 v3, s50, v3
	v_add3_u32 v13, v13, v19, v18
	v_sub_u32_e32 v18, v17, v13
	v_mov_b32_e32 v19, s53
	v_sub_co_u32_e32 v12, vcc, v16, v12
	v_subb_co_u32_e64 v16, s[0:1], v18, v19, vcc
	v_subrev_co_u32_e64 v18, s[0:1], s52, v12
	v_subbrev_co_u32_e64 v16, s[0:1], 0, v16, s[0:1]
	v_cmp_le_u32_e64 s[0:1], s53, v16
	v_cndmask_b32_e64 v19, 0, -1, s[0:1]
	v_cmp_le_u32_e64 s[0:1], s52, v18
	v_cndmask_b32_e64 v18, 0, -1, s[0:1]
	v_cmp_eq_u32_e64 s[0:1], s53, v16
	v_cndmask_b32_e64 v16, v19, v18, s[0:1]
	v_add_co_u32_e64 v18, s[0:1], 2, v14
	v_subb_co_u32_e32 v13, vcc, v17, v13, vcc
	v_addc_co_u32_e64 v19, s[0:1], 0, v15, s[0:1]
	v_cmp_le_u32_e32 vcc, s53, v13
	v_add_co_u32_e64 v22, s[0:1], 1, v14
	v_cndmask_b32_e64 v17, 0, -1, vcc
	v_cmp_le_u32_e32 vcc, s52, v12
	v_addc_co_u32_e64 v23, s[0:1], 0, v15, s[0:1]
	v_cndmask_b32_e64 v12, 0, -1, vcc
	v_cmp_eq_u32_e32 vcc, s53, v13
	v_cmp_ne_u32_e64 s[0:1], 0, v16
	v_cndmask_b32_e32 v12, v17, v12, vcc
	v_cndmask_b32_e64 v16, v23, v19, s[0:1]
	v_cmp_ne_u32_e32 vcc, 0, v12
	v_cndmask_b32_e64 v13, v22, v18, s[0:1]
	v_cndmask_b32_e32 v12, v15, v16, vcc
	v_cndmask_b32_e32 v13, v14, v13, vcc
	v_xor_b32_e32 v14, v12, v3
	v_xor_b32_e32 v12, v13, v3
	v_sub_co_u32_e32 v12, vcc, v12, v3
	v_subb_co_u32_e32 v13, vcc, v14, v3, vcc
.LBB6_19:                               ;   in Loop: Header=BB6_17 Depth=2
	s_andn2_saveexec_b64 s[0:1], s[48:49]
	s_cbranch_execz .LBB6_16
; %bb.20:                               ;   in Loop: Header=BB6_17 Depth=2
	v_cvt_f32_u32_e32 v3, s46
	s_sub_i32 s48, 0, s46
	v_rcp_iflag_f32_e32 v3, v3
	v_mul_f32_e32 v3, 0x4f7ffffe, v3
	v_cvt_u32_f32_e32 v3, v3
	v_mul_lo_u32 v12, s48, v3
	v_mul_hi_u32 v12, v3, v12
	v_add_u32_e32 v3, v3, v12
	v_mul_hi_u32 v3, v10, v3
	v_mul_lo_u32 v12, v3, s46
	v_add_u32_e32 v13, 1, v3
	v_sub_u32_e32 v12, v10, v12
	v_subrev_u32_e32 v14, s46, v12
	v_cmp_le_u32_e32 vcc, s46, v12
	v_cndmask_b32_e32 v12, v12, v14, vcc
	v_cndmask_b32_e32 v3, v3, v13, vcc
	v_add_u32_e32 v13, 1, v3
	v_cmp_le_u32_e32 vcc, s46, v12
	v_cndmask_b32_e32 v12, v3, v13, vcc
	v_mov_b32_e32 v13, v2
	s_branch .LBB6_16
.LBB6_21:                               ;   in Loop: Header=BB6_22 Depth=2
	s_or_b64 exec, exec, s[0:1]
	v_mul_lo_u32 v3, v13, s44
	v_mul_lo_u32 v24, v12, s45
	v_mad_u64_u32 v[22:23], s[0:1], v12, s44, 0
	v_add3_u32 v3, v23, v24, v3
	v_sub_co_u32_e32 v10, vcc, v10, v22
	v_subb_co_u32_e32 v3, vcc, v11, v3, vcc
	v_mul_lo_u32 v3, s48, v3
	v_mul_lo_u32 v22, s49, v10
	v_mad_u64_u32 v[8:9], s[0:1], s48, v10, v[8:9]
	v_mul_lo_u32 v23, v15, s46
	v_mul_lo_u32 v24, v14, s47
	v_mad_u64_u32 v[10:11], s[0:1], v14, s46, 0
	v_add3_u32 v9, v22, v9, v3
	v_mul_lo_u32 v22, v16, s51
	v_add3_u32 v3, v11, v24, v23
	v_sub_co_u32_e32 v10, vcc, v12, v10
	v_subb_co_u32_e32 v3, vcc, v13, v3, vcc
	v_mad_u64_u32 v[8:9], s[0:1], s52, v10, v[8:9]
	v_mul_lo_u32 v3, s52, v3
	v_mul_lo_u32 v12, s53, v10
	;; [unrolled: 1-line block ×3, first 2 shown]
	v_mad_u64_u32 v[10:11], s[0:1], v16, s50, 0
	v_add3_u32 v9, v12, v9, v3
	v_add3_u32 v3, v11, v22, v13
	v_sub_co_u32_e32 v10, vcc, v14, v10
	v_subb_co_u32_e32 v3, vcc, v15, v3, vcc
	v_mad_u64_u32 v[8:9], s[0:1], s56, v10, v[8:9]
	v_mul_lo_u32 v3, s56, v3
	v_mul_lo_u32 v12, s57, v10
	;; [unrolled: 1-line block ×4, first 2 shown]
	v_mad_u64_u32 v[10:11], s[0:1], v18, s54, 0
	s_load_dwordx2 s[0:1], s[38:39], 0x0
	v_add3_u32 v9, v12, v9, v3
	v_add3_u32 v3, v11, v14, v13
	v_sub_co_u32_e32 v10, vcc, v16, v10
	v_subb_co_u32_e32 v3, vcc, v17, v3, vcc
	s_add_u32 s38, s38, 0xffffffe0
	s_waitcnt lgkmcnt(0)
	v_mad_u64_u32 v[8:9], s[44:45], s0, v10, v[8:9]
	v_mul_lo_u32 v3, s0, v3
	v_mul_lo_u32 v10, s1, v10
	s_addc_u32 s39, s39, -1
	s_add_u32 s40, s40, 0xffffffe0
	s_addc_u32 s41, s41, -1
	s_add_u32 s42, s42, -4
	v_add3_u32 v9, v10, v9, v3
	s_addc_u32 s43, s43, -1
	v_mov_b32_e32 v10, v18
	s_cmp_eq_u64 s[42:43], 0
	v_mov_b32_e32 v11, v19
	s_cbranch_scc1 .LBB6_38
.LBB6_22:                               ;   Parent Loop BB6_3 Depth=1
                                        ; =>  This Inner Loop Header: Depth=2
	s_load_dwordx2 s[44:45], s[40:41], 0x18
                                        ; implicit-def: $vgpr12_vgpr13
	s_waitcnt lgkmcnt(0)
	v_or_b32_e32 v3, s45, v11
	v_cmp_ne_u64_e32 vcc, 0, v[2:3]
	s_and_saveexec_b64 s[0:1], vcc
	s_xor_b64 s[46:47], exec, s[0:1]
	s_cbranch_execz .LBB6_24
; %bb.23:                               ;   in Loop: Header=BB6_22 Depth=2
	s_ashr_i32 s48, s45, 31
	s_add_u32 s0, s44, s48
	s_mov_b32 s49, s48
	s_addc_u32 s1, s45, s48
	s_xor_b64 s[50:51], s[0:1], s[48:49]
	v_cvt_f32_u32_e32 v3, s50
	v_cvt_f32_u32_e32 v12, s51
	s_sub_u32 s49, 0, s50
	s_subb_u32 s52, 0, s51
	v_mac_f32_e32 v3, 0x4f800000, v12
	v_rcp_f32_e32 v3, v3
	v_mul_f32_e32 v3, 0x5f7ffffc, v3
	v_mul_f32_e32 v12, 0x2f800000, v3
	v_trunc_f32_e32 v12, v12
	v_mac_f32_e32 v3, 0xcf800000, v12
	v_cvt_u32_f32_e32 v12, v12
	v_cvt_u32_f32_e32 v3, v3
	v_readfirstlane_b32 s53, v12
	v_readfirstlane_b32 s0, v3
	s_mul_i32 s1, s49, s53
	s_mul_hi_u32 s55, s49, s0
	s_mul_i32 s54, s52, s0
	s_add_i32 s1, s55, s1
	s_add_i32 s1, s1, s54
	s_mul_i32 s56, s49, s0
	s_mul_i32 s55, s0, s1
	s_mul_hi_u32 s57, s0, s56
	s_mul_hi_u32 s54, s0, s1
	s_add_u32 s55, s57, s55
	s_addc_u32 s54, 0, s54
	s_mul_hi_u32 s58, s53, s56
	s_mul_i32 s56, s53, s56
	s_add_u32 s55, s55, s56
	s_mul_hi_u32 s57, s53, s1
	s_addc_u32 s54, s54, s58
	s_addc_u32 s55, s57, 0
	s_mul_i32 s1, s53, s1
	s_add_u32 s1, s54, s1
	s_addc_u32 s54, 0, s55
	s_add_u32 s55, s0, s1
	s_cselect_b64 s[0:1], -1, 0
	s_cmp_lg_u64 s[0:1], 0
	s_addc_u32 s53, s53, s54
	s_mul_i32 s0, s49, s53
	s_mul_hi_u32 s1, s49, s55
	s_add_i32 s0, s1, s0
	s_mul_i32 s52, s52, s55
	s_add_i32 s0, s0, s52
	s_mul_i32 s49, s49, s55
	s_mul_hi_u32 s52, s53, s49
	s_mul_i32 s54, s53, s49
	s_mul_i32 s57, s55, s0
	s_mul_hi_u32 s49, s55, s49
	s_mul_hi_u32 s56, s55, s0
	s_add_u32 s49, s49, s57
	s_addc_u32 s56, 0, s56
	s_add_u32 s49, s49, s54
	s_mul_hi_u32 s1, s53, s0
	s_addc_u32 s49, s56, s52
	s_addc_u32 s1, s1, 0
	s_mul_i32 s0, s53, s0
	s_add_u32 s0, s49, s0
	s_addc_u32 s49, 0, s1
	s_add_u32 s52, s55, s0
	s_cselect_b64 s[0:1], -1, 0
	v_ashrrev_i32_e32 v3, 31, v11
	s_cmp_lg_u64 s[0:1], 0
	v_add_co_u32_e32 v12, vcc, v10, v3
	s_addc_u32 s49, s53, s49
	v_xor_b32_e32 v16, v12, v3
	v_mad_u64_u32 v[12:13], s[0:1], v16, s49, 0
	v_mul_hi_u32 v15, v16, s52
	v_addc_co_u32_e32 v14, vcc, v11, v3, vcc
	v_xor_b32_e32 v17, v14, v3
	v_add_co_u32_e32 v18, vcc, v15, v12
	v_addc_co_u32_e32 v19, vcc, 0, v13, vcc
	v_mad_u64_u32 v[12:13], s[0:1], v17, s52, 0
	v_mad_u64_u32 v[14:15], s[0:1], v17, s49, 0
	v_add_co_u32_e32 v12, vcc, v18, v12
	v_addc_co_u32_e32 v12, vcc, v19, v13, vcc
	v_addc_co_u32_e32 v13, vcc, 0, v15, vcc
	v_add_co_u32_e32 v14, vcc, v12, v14
	v_addc_co_u32_e32 v15, vcc, 0, v13, vcc
	v_mul_lo_u32 v18, s51, v14
	v_mul_lo_u32 v19, s50, v15
	v_mad_u64_u32 v[12:13], s[0:1], s50, v14, 0
	v_xor_b32_e32 v3, s48, v3
	v_add3_u32 v13, v13, v19, v18
	v_sub_u32_e32 v18, v17, v13
	v_mov_b32_e32 v19, s51
	v_sub_co_u32_e32 v12, vcc, v16, v12
	v_subb_co_u32_e64 v16, s[0:1], v18, v19, vcc
	v_subrev_co_u32_e64 v18, s[0:1], s50, v12
	v_subbrev_co_u32_e64 v16, s[0:1], 0, v16, s[0:1]
	v_cmp_le_u32_e64 s[0:1], s51, v16
	v_cndmask_b32_e64 v19, 0, -1, s[0:1]
	v_cmp_le_u32_e64 s[0:1], s50, v18
	v_cndmask_b32_e64 v18, 0, -1, s[0:1]
	v_cmp_eq_u32_e64 s[0:1], s51, v16
	v_cndmask_b32_e64 v16, v19, v18, s[0:1]
	v_add_co_u32_e64 v18, s[0:1], 2, v14
	v_subb_co_u32_e32 v13, vcc, v17, v13, vcc
	v_addc_co_u32_e64 v19, s[0:1], 0, v15, s[0:1]
	v_cmp_le_u32_e32 vcc, s51, v13
	v_add_co_u32_e64 v22, s[0:1], 1, v14
	v_cndmask_b32_e64 v17, 0, -1, vcc
	v_cmp_le_u32_e32 vcc, s50, v12
	v_addc_co_u32_e64 v23, s[0:1], 0, v15, s[0:1]
	v_cndmask_b32_e64 v12, 0, -1, vcc
	v_cmp_eq_u32_e32 vcc, s51, v13
	v_cmp_ne_u32_e64 s[0:1], 0, v16
	v_cndmask_b32_e32 v12, v17, v12, vcc
	v_cndmask_b32_e64 v16, v23, v19, s[0:1]
	v_cmp_ne_u32_e32 vcc, 0, v12
	v_cndmask_b32_e64 v13, v22, v18, s[0:1]
	v_cndmask_b32_e32 v12, v15, v16, vcc
	v_cndmask_b32_e32 v13, v14, v13, vcc
	v_xor_b32_e32 v14, v12, v3
	v_xor_b32_e32 v12, v13, v3
	v_sub_co_u32_e32 v12, vcc, v12, v3
	v_subb_co_u32_e32 v13, vcc, v14, v3, vcc
.LBB6_24:                               ;   in Loop: Header=BB6_22 Depth=2
	s_andn2_saveexec_b64 s[0:1], s[46:47]
	s_cbranch_execz .LBB6_26
; %bb.25:                               ;   in Loop: Header=BB6_22 Depth=2
	v_cvt_f32_u32_e32 v3, s44
	s_sub_i32 s46, 0, s44
	v_rcp_iflag_f32_e32 v3, v3
	v_mul_f32_e32 v3, 0x4f7ffffe, v3
	v_cvt_u32_f32_e32 v3, v3
	v_mul_lo_u32 v12, s46, v3
	v_mul_hi_u32 v12, v3, v12
	v_add_u32_e32 v3, v3, v12
	v_mul_hi_u32 v3, v10, v3
	v_mul_lo_u32 v12, v3, s44
	v_add_u32_e32 v13, 1, v3
	v_sub_u32_e32 v12, v10, v12
	v_subrev_u32_e32 v14, s44, v12
	v_cmp_le_u32_e32 vcc, s44, v12
	v_cndmask_b32_e32 v12, v12, v14, vcc
	v_cndmask_b32_e32 v3, v3, v13, vcc
	v_add_u32_e32 v13, 1, v3
	v_cmp_le_u32_e32 vcc, s44, v12
	v_cndmask_b32_e32 v12, v3, v13, vcc
	v_mov_b32_e32 v13, v2
.LBB6_26:                               ;   in Loop: Header=BB6_22 Depth=2
	s_or_b64 exec, exec, s[0:1]
	s_load_dwordx2 s[46:47], s[40:41], 0x10
	s_load_dwordx2 s[48:49], s[38:39], 0x18
                                        ; implicit-def: $vgpr14_vgpr15
	s_waitcnt lgkmcnt(0)
	v_or_b32_e32 v3, s47, v13
	v_cmp_ne_u64_e32 vcc, 0, v[2:3]
	s_and_saveexec_b64 s[0:1], vcc
	s_xor_b64 s[50:51], exec, s[0:1]
	s_cbranch_execz .LBB6_28
; %bb.27:                               ;   in Loop: Header=BB6_22 Depth=2
	s_ashr_i32 s52, s47, 31
	s_add_u32 s0, s46, s52
	s_mov_b32 s53, s52
	s_addc_u32 s1, s47, s52
	s_xor_b64 s[54:55], s[0:1], s[52:53]
	v_cvt_f32_u32_e32 v3, s54
	v_cvt_f32_u32_e32 v14, s55
	s_sub_u32 s53, 0, s54
	s_subb_u32 s56, 0, s55
	v_mac_f32_e32 v3, 0x4f800000, v14
	v_rcp_f32_e32 v3, v3
	v_mul_f32_e32 v3, 0x5f7ffffc, v3
	v_mul_f32_e32 v14, 0x2f800000, v3
	v_trunc_f32_e32 v14, v14
	v_mac_f32_e32 v3, 0xcf800000, v14
	v_cvt_u32_f32_e32 v14, v14
	v_cvt_u32_f32_e32 v3, v3
	v_readfirstlane_b32 s57, v14
	v_readfirstlane_b32 s0, v3
	s_mul_i32 s1, s53, s57
	s_mul_hi_u32 s59, s53, s0
	s_mul_i32 s58, s56, s0
	s_add_i32 s1, s59, s1
	s_add_i32 s1, s1, s58
	s_mul_i32 s60, s53, s0
	s_mul_i32 s59, s0, s1
	s_mul_hi_u32 s61, s0, s60
	s_mul_hi_u32 s58, s0, s1
	s_add_u32 s59, s61, s59
	s_addc_u32 s58, 0, s58
	s_mul_hi_u32 s62, s57, s60
	s_mul_i32 s60, s57, s60
	s_add_u32 s59, s59, s60
	s_mul_hi_u32 s61, s57, s1
	s_addc_u32 s58, s58, s62
	s_addc_u32 s59, s61, 0
	s_mul_i32 s1, s57, s1
	s_add_u32 s1, s58, s1
	s_addc_u32 s58, 0, s59
	s_add_u32 s59, s0, s1
	s_cselect_b64 s[0:1], -1, 0
	s_cmp_lg_u64 s[0:1], 0
	s_addc_u32 s57, s57, s58
	s_mul_i32 s0, s53, s57
	s_mul_hi_u32 s1, s53, s59
	s_add_i32 s0, s1, s0
	s_mul_i32 s56, s56, s59
	s_add_i32 s0, s0, s56
	s_mul_i32 s53, s53, s59
	s_mul_hi_u32 s56, s57, s53
	s_mul_i32 s58, s57, s53
	s_mul_i32 s61, s59, s0
	s_mul_hi_u32 s53, s59, s53
	s_mul_hi_u32 s60, s59, s0
	s_add_u32 s53, s53, s61
	s_addc_u32 s60, 0, s60
	s_add_u32 s53, s53, s58
	s_mul_hi_u32 s1, s57, s0
	s_addc_u32 s53, s60, s56
	s_addc_u32 s1, s1, 0
	s_mul_i32 s0, s57, s0
	s_add_u32 s0, s53, s0
	s_addc_u32 s53, 0, s1
	s_add_u32 s56, s59, s0
	s_cselect_b64 s[0:1], -1, 0
	v_ashrrev_i32_e32 v3, 31, v13
	s_cmp_lg_u64 s[0:1], 0
	v_add_co_u32_e32 v14, vcc, v12, v3
	s_addc_u32 s53, s57, s53
	v_xor_b32_e32 v18, v14, v3
	v_mad_u64_u32 v[14:15], s[0:1], v18, s53, 0
	v_mul_hi_u32 v17, v18, s56
	v_addc_co_u32_e32 v16, vcc, v13, v3, vcc
	v_xor_b32_e32 v19, v16, v3
	v_add_co_u32_e32 v22, vcc, v17, v14
	v_addc_co_u32_e32 v23, vcc, 0, v15, vcc
	v_mad_u64_u32 v[14:15], s[0:1], v19, s56, 0
	v_mad_u64_u32 v[16:17], s[0:1], v19, s53, 0
	v_add_co_u32_e32 v14, vcc, v22, v14
	v_addc_co_u32_e32 v14, vcc, v23, v15, vcc
	v_addc_co_u32_e32 v15, vcc, 0, v17, vcc
	v_add_co_u32_e32 v16, vcc, v14, v16
	v_addc_co_u32_e32 v17, vcc, 0, v15, vcc
	v_mul_lo_u32 v22, s55, v16
	v_mul_lo_u32 v23, s54, v17
	v_mad_u64_u32 v[14:15], s[0:1], s54, v16, 0
	v_xor_b32_e32 v3, s52, v3
	v_add3_u32 v15, v15, v23, v22
	v_sub_u32_e32 v22, v19, v15
	v_mov_b32_e32 v23, s55
	v_sub_co_u32_e32 v14, vcc, v18, v14
	v_subb_co_u32_e64 v18, s[0:1], v22, v23, vcc
	v_subrev_co_u32_e64 v22, s[0:1], s54, v14
	v_subbrev_co_u32_e64 v18, s[0:1], 0, v18, s[0:1]
	v_cmp_le_u32_e64 s[0:1], s55, v18
	v_cndmask_b32_e64 v23, 0, -1, s[0:1]
	v_cmp_le_u32_e64 s[0:1], s54, v22
	v_cndmask_b32_e64 v22, 0, -1, s[0:1]
	v_cmp_eq_u32_e64 s[0:1], s55, v18
	v_cndmask_b32_e64 v18, v23, v22, s[0:1]
	v_add_co_u32_e64 v22, s[0:1], 2, v16
	v_subb_co_u32_e32 v15, vcc, v19, v15, vcc
	v_addc_co_u32_e64 v23, s[0:1], 0, v17, s[0:1]
	v_cmp_le_u32_e32 vcc, s55, v15
	v_add_co_u32_e64 v24, s[0:1], 1, v16
	v_cndmask_b32_e64 v19, 0, -1, vcc
	v_cmp_le_u32_e32 vcc, s54, v14
	v_addc_co_u32_e64 v25, s[0:1], 0, v17, s[0:1]
	v_cndmask_b32_e64 v14, 0, -1, vcc
	v_cmp_eq_u32_e32 vcc, s55, v15
	v_cmp_ne_u32_e64 s[0:1], 0, v18
	v_cndmask_b32_e32 v14, v19, v14, vcc
	v_cndmask_b32_e64 v18, v25, v23, s[0:1]
	v_cmp_ne_u32_e32 vcc, 0, v14
	v_cndmask_b32_e64 v15, v24, v22, s[0:1]
	v_cndmask_b32_e32 v14, v17, v18, vcc
	v_cndmask_b32_e32 v15, v16, v15, vcc
	v_xor_b32_e32 v16, v14, v3
	v_xor_b32_e32 v14, v15, v3
	v_sub_co_u32_e32 v14, vcc, v14, v3
	v_subb_co_u32_e32 v15, vcc, v16, v3, vcc
.LBB6_28:                               ;   in Loop: Header=BB6_22 Depth=2
	s_andn2_saveexec_b64 s[0:1], s[50:51]
	s_cbranch_execz .LBB6_30
; %bb.29:                               ;   in Loop: Header=BB6_22 Depth=2
	v_cvt_f32_u32_e32 v3, s46
	s_sub_i32 s50, 0, s46
	v_rcp_iflag_f32_e32 v3, v3
	v_mul_f32_e32 v3, 0x4f7ffffe, v3
	v_cvt_u32_f32_e32 v3, v3
	v_mul_lo_u32 v14, s50, v3
	v_mul_hi_u32 v14, v3, v14
	v_add_u32_e32 v3, v3, v14
	v_mul_hi_u32 v3, v12, v3
	v_mul_lo_u32 v14, v3, s46
	v_add_u32_e32 v15, 1, v3
	v_sub_u32_e32 v14, v12, v14
	v_subrev_u32_e32 v16, s46, v14
	v_cmp_le_u32_e32 vcc, s46, v14
	v_cndmask_b32_e32 v14, v14, v16, vcc
	v_cndmask_b32_e32 v3, v3, v15, vcc
	v_add_u32_e32 v15, 1, v3
	v_cmp_le_u32_e32 vcc, s46, v14
	v_cndmask_b32_e32 v14, v3, v15, vcc
	v_mov_b32_e32 v15, v2
.LBB6_30:                               ;   in Loop: Header=BB6_22 Depth=2
	s_or_b64 exec, exec, s[0:1]
	s_load_dwordx2 s[50:51], s[40:41], 0x8
	s_load_dwordx2 s[52:53], s[38:39], 0x10
                                        ; implicit-def: $vgpr16_vgpr17
	s_waitcnt lgkmcnt(0)
	v_or_b32_e32 v3, s51, v15
	v_cmp_ne_u64_e32 vcc, 0, v[2:3]
	s_and_saveexec_b64 s[0:1], vcc
	s_xor_b64 s[54:55], exec, s[0:1]
	s_cbranch_execz .LBB6_32
; %bb.31:                               ;   in Loop: Header=BB6_22 Depth=2
	s_ashr_i32 s56, s51, 31
	s_add_u32 s0, s50, s56
	s_mov_b32 s57, s56
	s_addc_u32 s1, s51, s56
	s_xor_b64 s[58:59], s[0:1], s[56:57]
	v_cvt_f32_u32_e32 v3, s58
	v_cvt_f32_u32_e32 v16, s59
	s_sub_u32 s57, 0, s58
	s_subb_u32 s60, 0, s59
	v_mac_f32_e32 v3, 0x4f800000, v16
	v_rcp_f32_e32 v3, v3
	v_mul_f32_e32 v3, 0x5f7ffffc, v3
	v_mul_f32_e32 v16, 0x2f800000, v3
	v_trunc_f32_e32 v16, v16
	v_mac_f32_e32 v3, 0xcf800000, v16
	v_cvt_u32_f32_e32 v16, v16
	v_cvt_u32_f32_e32 v3, v3
	v_readfirstlane_b32 s61, v16
	v_readfirstlane_b32 s0, v3
	s_mul_i32 s1, s57, s61
	s_mul_hi_u32 s63, s57, s0
	s_mul_i32 s62, s60, s0
	s_add_i32 s1, s63, s1
	s_add_i32 s1, s1, s62
	s_mul_i32 s68, s57, s0
	s_mul_i32 s63, s0, s1
	s_mul_hi_u32 s69, s0, s68
	s_mul_hi_u32 s62, s0, s1
	s_add_u32 s63, s69, s63
	s_addc_u32 s62, 0, s62
	s_mul_hi_u32 s70, s61, s68
	s_mul_i32 s68, s61, s68
	s_add_u32 s63, s63, s68
	s_mul_hi_u32 s69, s61, s1
	s_addc_u32 s62, s62, s70
	s_addc_u32 s63, s69, 0
	s_mul_i32 s1, s61, s1
	s_add_u32 s1, s62, s1
	s_addc_u32 s62, 0, s63
	s_add_u32 s63, s0, s1
	s_cselect_b64 s[0:1], -1, 0
	s_cmp_lg_u64 s[0:1], 0
	s_addc_u32 s61, s61, s62
	s_mul_i32 s0, s57, s61
	s_mul_hi_u32 s1, s57, s63
	s_add_i32 s0, s1, s0
	s_mul_i32 s60, s60, s63
	s_add_i32 s0, s0, s60
	s_mul_i32 s57, s57, s63
	s_mul_hi_u32 s60, s61, s57
	s_mul_i32 s62, s61, s57
	s_mul_i32 s69, s63, s0
	s_mul_hi_u32 s57, s63, s57
	s_mul_hi_u32 s68, s63, s0
	s_add_u32 s57, s57, s69
	s_addc_u32 s68, 0, s68
	s_add_u32 s57, s57, s62
	s_mul_hi_u32 s1, s61, s0
	s_addc_u32 s57, s68, s60
	s_addc_u32 s1, s1, 0
	s_mul_i32 s0, s61, s0
	s_add_u32 s0, s57, s0
	s_addc_u32 s57, 0, s1
	s_add_u32 s60, s63, s0
	s_cselect_b64 s[0:1], -1, 0
	v_ashrrev_i32_e32 v3, 31, v15
	s_cmp_lg_u64 s[0:1], 0
	v_add_co_u32_e32 v16, vcc, v14, v3
	s_addc_u32 s57, s61, s57
	v_xor_b32_e32 v22, v16, v3
	v_mad_u64_u32 v[16:17], s[0:1], v22, s57, 0
	v_mul_hi_u32 v19, v22, s60
	v_addc_co_u32_e32 v18, vcc, v15, v3, vcc
	v_xor_b32_e32 v23, v18, v3
	v_add_co_u32_e32 v24, vcc, v19, v16
	v_addc_co_u32_e32 v25, vcc, 0, v17, vcc
	v_mad_u64_u32 v[16:17], s[0:1], v23, s60, 0
	v_mad_u64_u32 v[18:19], s[0:1], v23, s57, 0
	v_add_co_u32_e32 v16, vcc, v24, v16
	v_addc_co_u32_e32 v16, vcc, v25, v17, vcc
	v_addc_co_u32_e32 v17, vcc, 0, v19, vcc
	v_add_co_u32_e32 v18, vcc, v16, v18
	v_addc_co_u32_e32 v19, vcc, 0, v17, vcc
	v_mul_lo_u32 v24, s59, v18
	v_mul_lo_u32 v25, s58, v19
	v_mad_u64_u32 v[16:17], s[0:1], s58, v18, 0
	v_xor_b32_e32 v3, s56, v3
	v_add3_u32 v17, v17, v25, v24
	v_sub_u32_e32 v24, v23, v17
	v_mov_b32_e32 v25, s59
	v_sub_co_u32_e32 v16, vcc, v22, v16
	v_subb_co_u32_e64 v22, s[0:1], v24, v25, vcc
	v_subrev_co_u32_e64 v24, s[0:1], s58, v16
	v_subbrev_co_u32_e64 v22, s[0:1], 0, v22, s[0:1]
	v_cmp_le_u32_e64 s[0:1], s59, v22
	v_cndmask_b32_e64 v25, 0, -1, s[0:1]
	v_cmp_le_u32_e64 s[0:1], s58, v24
	v_cndmask_b32_e64 v24, 0, -1, s[0:1]
	v_cmp_eq_u32_e64 s[0:1], s59, v22
	v_cndmask_b32_e64 v22, v25, v24, s[0:1]
	v_add_co_u32_e64 v24, s[0:1], 2, v18
	v_subb_co_u32_e32 v17, vcc, v23, v17, vcc
	v_addc_co_u32_e64 v25, s[0:1], 0, v19, s[0:1]
	v_cmp_le_u32_e32 vcc, s59, v17
	v_add_co_u32_e64 v26, s[0:1], 1, v18
	v_cndmask_b32_e64 v23, 0, -1, vcc
	v_cmp_le_u32_e32 vcc, s58, v16
	v_addc_co_u32_e64 v27, s[0:1], 0, v19, s[0:1]
	v_cndmask_b32_e64 v16, 0, -1, vcc
	v_cmp_eq_u32_e32 vcc, s59, v17
	v_cmp_ne_u32_e64 s[0:1], 0, v22
	v_cndmask_b32_e32 v16, v23, v16, vcc
	v_cndmask_b32_e64 v22, v27, v25, s[0:1]
	v_cmp_ne_u32_e32 vcc, 0, v16
	v_cndmask_b32_e64 v17, v26, v24, s[0:1]
	v_cndmask_b32_e32 v16, v19, v22, vcc
	v_cndmask_b32_e32 v17, v18, v17, vcc
	v_xor_b32_e32 v18, v16, v3
	v_xor_b32_e32 v16, v17, v3
	v_sub_co_u32_e32 v16, vcc, v16, v3
	v_subb_co_u32_e32 v17, vcc, v18, v3, vcc
.LBB6_32:                               ;   in Loop: Header=BB6_22 Depth=2
	s_andn2_saveexec_b64 s[0:1], s[54:55]
	s_cbranch_execz .LBB6_34
; %bb.33:                               ;   in Loop: Header=BB6_22 Depth=2
	v_cvt_f32_u32_e32 v3, s50
	s_sub_i32 s54, 0, s50
	v_rcp_iflag_f32_e32 v3, v3
	v_mul_f32_e32 v3, 0x4f7ffffe, v3
	v_cvt_u32_f32_e32 v3, v3
	v_mul_lo_u32 v16, s54, v3
	v_mul_hi_u32 v16, v3, v16
	v_add_u32_e32 v3, v3, v16
	v_mul_hi_u32 v3, v14, v3
	v_mul_lo_u32 v16, v3, s50
	v_add_u32_e32 v17, 1, v3
	v_sub_u32_e32 v16, v14, v16
	v_subrev_u32_e32 v18, s50, v16
	v_cmp_le_u32_e32 vcc, s50, v16
	v_cndmask_b32_e32 v16, v16, v18, vcc
	v_cndmask_b32_e32 v3, v3, v17, vcc
	v_add_u32_e32 v17, 1, v3
	v_cmp_le_u32_e32 vcc, s50, v16
	v_cndmask_b32_e32 v16, v3, v17, vcc
	v_mov_b32_e32 v17, v2
.LBB6_34:                               ;   in Loop: Header=BB6_22 Depth=2
	s_or_b64 exec, exec, s[0:1]
	s_load_dwordx2 s[54:55], s[40:41], 0x0
	s_load_dwordx2 s[56:57], s[38:39], 0x8
                                        ; implicit-def: $vgpr18_vgpr19
	s_waitcnt lgkmcnt(0)
	v_or_b32_e32 v3, s55, v17
	v_cmp_ne_u64_e32 vcc, 0, v[2:3]
	s_and_saveexec_b64 s[0:1], vcc
	s_xor_b64 s[58:59], exec, s[0:1]
	s_cbranch_execz .LBB6_36
; %bb.35:                               ;   in Loop: Header=BB6_22 Depth=2
	s_ashr_i32 s60, s55, 31
	s_add_u32 s0, s54, s60
	s_mov_b32 s61, s60
	s_addc_u32 s1, s55, s60
	s_xor_b64 s[62:63], s[0:1], s[60:61]
	v_cvt_f32_u32_e32 v3, s62
	v_cvt_f32_u32_e32 v18, s63
	s_sub_u32 s61, 0, s62
	s_subb_u32 s68, 0, s63
	v_mac_f32_e32 v3, 0x4f800000, v18
	v_rcp_f32_e32 v3, v3
	v_mul_f32_e32 v3, 0x5f7ffffc, v3
	v_mul_f32_e32 v18, 0x2f800000, v3
	v_trunc_f32_e32 v18, v18
	v_mac_f32_e32 v3, 0xcf800000, v18
	v_cvt_u32_f32_e32 v18, v18
	v_cvt_u32_f32_e32 v3, v3
	v_readfirstlane_b32 s69, v18
	v_readfirstlane_b32 s0, v3
	s_mul_i32 s1, s61, s69
	s_mul_hi_u32 s71, s61, s0
	s_mul_i32 s70, s68, s0
	s_add_i32 s1, s71, s1
	s_add_i32 s1, s1, s70
	s_mul_i32 s72, s61, s0
	s_mul_i32 s71, s0, s1
	s_mul_hi_u32 s73, s0, s72
	s_mul_hi_u32 s70, s0, s1
	s_add_u32 s71, s73, s71
	s_addc_u32 s70, 0, s70
	s_mul_hi_u32 s74, s69, s72
	s_mul_i32 s72, s69, s72
	s_add_u32 s71, s71, s72
	s_mul_hi_u32 s73, s69, s1
	s_addc_u32 s70, s70, s74
	s_addc_u32 s71, s73, 0
	s_mul_i32 s1, s69, s1
	s_add_u32 s1, s70, s1
	s_addc_u32 s70, 0, s71
	s_add_u32 s71, s0, s1
	s_cselect_b64 s[0:1], -1, 0
	s_cmp_lg_u64 s[0:1], 0
	s_addc_u32 s69, s69, s70
	s_mul_i32 s0, s61, s69
	s_mul_hi_u32 s1, s61, s71
	s_add_i32 s0, s1, s0
	s_mul_i32 s68, s68, s71
	s_add_i32 s0, s0, s68
	s_mul_i32 s61, s61, s71
	s_mul_hi_u32 s68, s69, s61
	s_mul_i32 s70, s69, s61
	s_mul_i32 s73, s71, s0
	s_mul_hi_u32 s61, s71, s61
	s_mul_hi_u32 s72, s71, s0
	s_add_u32 s61, s61, s73
	s_addc_u32 s72, 0, s72
	s_add_u32 s61, s61, s70
	s_mul_hi_u32 s1, s69, s0
	s_addc_u32 s61, s72, s68
	s_addc_u32 s1, s1, 0
	s_mul_i32 s0, s69, s0
	s_add_u32 s0, s61, s0
	s_addc_u32 s61, 0, s1
	s_add_u32 s68, s71, s0
	s_cselect_b64 s[0:1], -1, 0
	v_ashrrev_i32_e32 v3, 31, v17
	s_cmp_lg_u64 s[0:1], 0
	v_add_co_u32_e32 v18, vcc, v16, v3
	s_addc_u32 s61, s69, s61
	v_xor_b32_e32 v24, v18, v3
	v_mad_u64_u32 v[18:19], s[0:1], v24, s61, 0
	v_mul_hi_u32 v23, v24, s68
	v_addc_co_u32_e32 v22, vcc, v17, v3, vcc
	v_xor_b32_e32 v25, v22, v3
	v_add_co_u32_e32 v26, vcc, v23, v18
	v_addc_co_u32_e32 v27, vcc, 0, v19, vcc
	v_mad_u64_u32 v[18:19], s[0:1], v25, s68, 0
	v_mad_u64_u32 v[22:23], s[0:1], v25, s61, 0
	v_add_co_u32_e32 v18, vcc, v26, v18
	v_addc_co_u32_e32 v18, vcc, v27, v19, vcc
	v_addc_co_u32_e32 v19, vcc, 0, v23, vcc
	v_add_co_u32_e32 v22, vcc, v18, v22
	v_addc_co_u32_e32 v23, vcc, 0, v19, vcc
	v_mul_lo_u32 v26, s63, v22
	v_mul_lo_u32 v27, s62, v23
	v_mad_u64_u32 v[18:19], s[0:1], s62, v22, 0
	v_xor_b32_e32 v3, s60, v3
	v_add3_u32 v19, v19, v27, v26
	v_sub_u32_e32 v26, v25, v19
	v_mov_b32_e32 v27, s63
	v_sub_co_u32_e32 v18, vcc, v24, v18
	v_subb_co_u32_e64 v24, s[0:1], v26, v27, vcc
	v_subrev_co_u32_e64 v26, s[0:1], s62, v18
	v_subbrev_co_u32_e64 v24, s[0:1], 0, v24, s[0:1]
	v_cmp_le_u32_e64 s[0:1], s63, v24
	v_cndmask_b32_e64 v27, 0, -1, s[0:1]
	v_cmp_le_u32_e64 s[0:1], s62, v26
	v_cndmask_b32_e64 v26, 0, -1, s[0:1]
	v_cmp_eq_u32_e64 s[0:1], s63, v24
	v_cndmask_b32_e64 v24, v27, v26, s[0:1]
	v_add_co_u32_e64 v26, s[0:1], 2, v22
	v_subb_co_u32_e32 v19, vcc, v25, v19, vcc
	v_addc_co_u32_e64 v27, s[0:1], 0, v23, s[0:1]
	v_cmp_le_u32_e32 vcc, s63, v19
	v_add_co_u32_e64 v28, s[0:1], 1, v22
	v_cndmask_b32_e64 v25, 0, -1, vcc
	v_cmp_le_u32_e32 vcc, s62, v18
	v_addc_co_u32_e64 v29, s[0:1], 0, v23, s[0:1]
	v_cndmask_b32_e64 v18, 0, -1, vcc
	v_cmp_eq_u32_e32 vcc, s63, v19
	v_cmp_ne_u32_e64 s[0:1], 0, v24
	v_cndmask_b32_e32 v18, v25, v18, vcc
	v_cndmask_b32_e64 v24, v29, v27, s[0:1]
	v_cmp_ne_u32_e32 vcc, 0, v18
	v_cndmask_b32_e64 v19, v28, v26, s[0:1]
	v_cndmask_b32_e32 v18, v23, v24, vcc
	v_cndmask_b32_e32 v19, v22, v19, vcc
	v_xor_b32_e32 v22, v18, v3
	v_xor_b32_e32 v18, v19, v3
	v_sub_co_u32_e32 v18, vcc, v18, v3
	v_subb_co_u32_e32 v19, vcc, v22, v3, vcc
.LBB6_36:                               ;   in Loop: Header=BB6_22 Depth=2
	s_andn2_saveexec_b64 s[0:1], s[58:59]
	s_cbranch_execz .LBB6_21
; %bb.37:                               ;   in Loop: Header=BB6_22 Depth=2
	v_cvt_f32_u32_e32 v3, s54
	s_sub_i32 s58, 0, s54
	v_rcp_iflag_f32_e32 v3, v3
	v_mul_f32_e32 v3, 0x4f7ffffe, v3
	v_cvt_u32_f32_e32 v3, v3
	v_mul_lo_u32 v18, s58, v3
	v_mul_hi_u32 v18, v3, v18
	v_add_u32_e32 v3, v3, v18
	v_mul_hi_u32 v3, v16, v3
	v_mul_lo_u32 v18, v3, s54
	v_add_u32_e32 v19, 1, v3
	v_sub_u32_e32 v18, v16, v18
	v_subrev_u32_e32 v22, s54, v18
	v_cmp_le_u32_e32 vcc, s54, v18
	v_cndmask_b32_e32 v18, v18, v22, vcc
	v_cndmask_b32_e32 v3, v3, v19, vcc
	v_add_u32_e32 v19, 1, v3
	v_cmp_le_u32_e32 vcc, s54, v18
	v_cndmask_b32_e32 v18, v3, v19, vcc
	v_mov_b32_e32 v19, v2
	s_branch .LBB6_21
.LBB6_38:                               ;   in Loop: Header=BB6_3 Depth=1
	s_load_dwordx2 s[38:39], s[22:23], 0x0
	s_waitcnt lgkmcnt(0)
	v_cmp_gt_i64_e32 vcc, s[38:39], v[4:5]
	s_and_b64 exec, exec, vcc
	s_cbranch_execz .LBB6_2
; %bb.39:                               ;   in Loop: Header=BB6_3 Depth=1
	v_mov_b32_e32 v3, s13
	v_cmp_lt_i64_e32 vcc, s[8:9], v[6:7]
	v_add_co_u32_e64 v6, s[0:1], s12, v8
	v_addc_co_u32_e64 v7, s[0:1], v3, v9, s[0:1]
	s_and_saveexec_b64 s[0:1], vcc
	s_cbranch_execz .LBB6_41
; %bb.40:                               ;   in Loop: Header=BB6_3 Depth=1
	global_store_byte v[6:7], v2, off
.LBB6_41:                               ;   in Loop: Header=BB6_3 Depth=1
	s_or_b64 exec, exec, s[0:1]
	v_add_co_u32_e32 v8, vcc, 1, v4
	v_addc_co_u32_e32 v9, vcc, 0, v5, vcc
	v_cmp_gt_i64_e32 vcc, s[38:39], v[8:9]
	s_and_b64 exec, exec, vcc
	s_cbranch_execz .LBB6_2
; %bb.42:                               ;   in Loop: Header=BB6_3 Depth=1
	v_sub_co_u32_e32 v8, vcc, v8, v20
	v_subb_co_u32_e32 v9, vcc, v9, v21, vcc
	v_cmp_lt_i64_e32 vcc, s[8:9], v[8:9]
	s_and_saveexec_b64 s[0:1], vcc
	s_cbranch_execz .LBB6_44
; %bb.43:                               ;   in Loop: Header=BB6_3 Depth=1
	v_mov_b32_e32 v3, s3
	v_add_co_u32_e32 v8, vcc, s2, v6
	v_addc_co_u32_e32 v9, vcc, v7, v3, vcc
	global_store_byte v[8:9], v2, off
.LBB6_44:                               ;   in Loop: Header=BB6_3 Depth=1
	s_or_b64 exec, exec, s[0:1]
	v_add_co_u32_e32 v8, vcc, 2, v4
	v_addc_co_u32_e32 v9, vcc, 0, v5, vcc
	v_cmp_gt_i64_e32 vcc, s[38:39], v[8:9]
	s_and_b64 exec, exec, vcc
	s_cbranch_execz .LBB6_2
; %bb.45:                               ;   in Loop: Header=BB6_3 Depth=1
	v_sub_co_u32_e32 v8, vcc, v8, v20
	v_subb_co_u32_e32 v9, vcc, v9, v21, vcc
	v_cmp_lt_i64_e32 vcc, s[8:9], v[8:9]
	s_and_saveexec_b64 s[0:1], vcc
	s_cbranch_execz .LBB6_47
; %bb.46:                               ;   in Loop: Header=BB6_3 Depth=1
	s_lshl_b64 s[40:41], s[2:3], 1
	v_mov_b32_e32 v3, s41
	v_add_co_u32_e32 v8, vcc, s40, v6
	v_addc_co_u32_e32 v9, vcc, v7, v3, vcc
	global_store_byte v[8:9], v2, off
.LBB6_47:                               ;   in Loop: Header=BB6_3 Depth=1
	s_or_b64 exec, exec, s[0:1]
	v_add_co_u32_e32 v3, vcc, 3, v4
	v_addc_co_u32_e32 v4, vcc, 0, v5, vcc
	v_cmp_gt_i64_e32 vcc, s[38:39], v[3:4]
	v_sub_co_u32_e64 v3, s[0:1], v3, v20
	v_subb_co_u32_e64 v4, s[0:1], v4, v21, s[0:1]
	v_cmp_lt_i64_e64 s[0:1], s[8:9], v[3:4]
	s_and_b64 s[0:1], vcc, s[0:1]
	s_and_b64 exec, exec, s[0:1]
	s_cbranch_execz .LBB6_2
; %bb.48:                               ;   in Loop: Header=BB6_3 Depth=1
	v_mad_u64_u32 v[3:4], s[0:1], s2, 3, v[6:7]
	v_mad_u64_u32 v[4:5], s[0:1], s3, 3, v[4:5]
	global_store_byte v[3:4], v2, off
	s_branch .LBB6_2
.LBB6_49:
	s_endpgm
	.section	.rodata,"a",@progbits
	.p2align	6, 0x0
	.amdhsa_kernel _ZN2at6native16triu_tril_kernelIalLb0ELi4ELb1EEEvNS_4cuda6detail10TensorInfoIT_T0_EENS4_IKS5_S6_EEllS6_
		.amdhsa_group_segment_fixed_size 0
		.amdhsa_private_segment_fixed_size 0
		.amdhsa_kernarg_size 1112
		.amdhsa_user_sgpr_count 6
		.amdhsa_user_sgpr_private_segment_buffer 1
		.amdhsa_user_sgpr_dispatch_ptr 0
		.amdhsa_user_sgpr_queue_ptr 0
		.amdhsa_user_sgpr_kernarg_segment_ptr 1
		.amdhsa_user_sgpr_dispatch_id 0
		.amdhsa_user_sgpr_flat_scratch_init 0
		.amdhsa_user_sgpr_private_segment_size 0
		.amdhsa_uses_dynamic_stack 0
		.amdhsa_system_sgpr_private_segment_wavefront_offset 0
		.amdhsa_system_sgpr_workgroup_id_x 1
		.amdhsa_system_sgpr_workgroup_id_y 0
		.amdhsa_system_sgpr_workgroup_id_z 0
		.amdhsa_system_sgpr_workgroup_info 0
		.amdhsa_system_vgpr_workitem_id 0
		.amdhsa_next_free_vgpr 30
		.amdhsa_next_free_sgpr 75
		.amdhsa_reserve_vcc 1
		.amdhsa_reserve_flat_scratch 0
		.amdhsa_float_round_mode_32 0
		.amdhsa_float_round_mode_16_64 0
		.amdhsa_float_denorm_mode_32 3
		.amdhsa_float_denorm_mode_16_64 3
		.amdhsa_dx10_clamp 1
		.amdhsa_ieee_mode 1
		.amdhsa_fp16_overflow 0
		.amdhsa_exception_fp_ieee_invalid_op 0
		.amdhsa_exception_fp_denorm_src 0
		.amdhsa_exception_fp_ieee_div_zero 0
		.amdhsa_exception_fp_ieee_overflow 0
		.amdhsa_exception_fp_ieee_underflow 0
		.amdhsa_exception_fp_ieee_inexact 0
		.amdhsa_exception_int_div_zero 0
	.end_amdhsa_kernel
	.section	.text._ZN2at6native16triu_tril_kernelIalLb0ELi4ELb1EEEvNS_4cuda6detail10TensorInfoIT_T0_EENS4_IKS5_S6_EEllS6_,"axG",@progbits,_ZN2at6native16triu_tril_kernelIalLb0ELi4ELb1EEEvNS_4cuda6detail10TensorInfoIT_T0_EENS4_IKS5_S6_EEllS6_,comdat
.Lfunc_end6:
	.size	_ZN2at6native16triu_tril_kernelIalLb0ELi4ELb1EEEvNS_4cuda6detail10TensorInfoIT_T0_EENS4_IKS5_S6_EEllS6_, .Lfunc_end6-_ZN2at6native16triu_tril_kernelIalLb0ELi4ELb1EEEvNS_4cuda6detail10TensorInfoIT_T0_EENS4_IKS5_S6_EEllS6_
                                        ; -- End function
	.set _ZN2at6native16triu_tril_kernelIalLb0ELi4ELb1EEEvNS_4cuda6detail10TensorInfoIT_T0_EENS4_IKS5_S6_EEllS6_.num_vgpr, 30
	.set _ZN2at6native16triu_tril_kernelIalLb0ELi4ELb1EEEvNS_4cuda6detail10TensorInfoIT_T0_EENS4_IKS5_S6_EEllS6_.num_agpr, 0
	.set _ZN2at6native16triu_tril_kernelIalLb0ELi4ELb1EEEvNS_4cuda6detail10TensorInfoIT_T0_EENS4_IKS5_S6_EEllS6_.numbered_sgpr, 75
	.set _ZN2at6native16triu_tril_kernelIalLb0ELi4ELb1EEEvNS_4cuda6detail10TensorInfoIT_T0_EENS4_IKS5_S6_EEllS6_.num_named_barrier, 0
	.set _ZN2at6native16triu_tril_kernelIalLb0ELi4ELb1EEEvNS_4cuda6detail10TensorInfoIT_T0_EENS4_IKS5_S6_EEllS6_.private_seg_size, 0
	.set _ZN2at6native16triu_tril_kernelIalLb0ELi4ELb1EEEvNS_4cuda6detail10TensorInfoIT_T0_EENS4_IKS5_S6_EEllS6_.uses_vcc, 1
	.set _ZN2at6native16triu_tril_kernelIalLb0ELi4ELb1EEEvNS_4cuda6detail10TensorInfoIT_T0_EENS4_IKS5_S6_EEllS6_.uses_flat_scratch, 0
	.set _ZN2at6native16triu_tril_kernelIalLb0ELi4ELb1EEEvNS_4cuda6detail10TensorInfoIT_T0_EENS4_IKS5_S6_EEllS6_.has_dyn_sized_stack, 0
	.set _ZN2at6native16triu_tril_kernelIalLb0ELi4ELb1EEEvNS_4cuda6detail10TensorInfoIT_T0_EENS4_IKS5_S6_EEllS6_.has_recursion, 0
	.set _ZN2at6native16triu_tril_kernelIalLb0ELi4ELb1EEEvNS_4cuda6detail10TensorInfoIT_T0_EENS4_IKS5_S6_EEllS6_.has_indirect_call, 0
	.section	.AMDGPU.csdata,"",@progbits
; Kernel info:
; codeLenInByte = 6596
; TotalNumSgprs: 79
; NumVgprs: 30
; ScratchSize: 0
; MemoryBound: 0
; FloatMode: 240
; IeeeMode: 1
; LDSByteSize: 0 bytes/workgroup (compile time only)
; SGPRBlocks: 9
; VGPRBlocks: 7
; NumSGPRsForWavesPerEU: 79
; NumVGPRsForWavesPerEU: 30
; Occupancy: 8
; WaveLimiterHint : 0
; COMPUTE_PGM_RSRC2:SCRATCH_EN: 0
; COMPUTE_PGM_RSRC2:USER_SGPR: 6
; COMPUTE_PGM_RSRC2:TRAP_HANDLER: 0
; COMPUTE_PGM_RSRC2:TGID_X_EN: 1
; COMPUTE_PGM_RSRC2:TGID_Y_EN: 0
; COMPUTE_PGM_RSRC2:TGID_Z_EN: 0
; COMPUTE_PGM_RSRC2:TIDIG_COMP_CNT: 0
	.section	.text._ZN2at6native16triu_tril_kernelIalLb0ELi4ELb0EEEvNS_4cuda6detail10TensorInfoIT_T0_EENS4_IKS5_S6_EEllS6_,"axG",@progbits,_ZN2at6native16triu_tril_kernelIalLb0ELi4ELb0EEEvNS_4cuda6detail10TensorInfoIT_T0_EENS4_IKS5_S6_EEllS6_,comdat
	.protected	_ZN2at6native16triu_tril_kernelIalLb0ELi4ELb0EEEvNS_4cuda6detail10TensorInfoIT_T0_EENS4_IKS5_S6_EEllS6_ ; -- Begin function _ZN2at6native16triu_tril_kernelIalLb0ELi4ELb0EEEvNS_4cuda6detail10TensorInfoIT_T0_EENS4_IKS5_S6_EEllS6_
	.globl	_ZN2at6native16triu_tril_kernelIalLb0ELi4ELb0EEEvNS_4cuda6detail10TensorInfoIT_T0_EENS4_IKS5_S6_EEllS6_
	.p2align	8
	.type	_ZN2at6native16triu_tril_kernelIalLb0ELi4ELb0EEEvNS_4cuda6detail10TensorInfoIT_T0_EENS4_IKS5_S6_EEllS6_,@function
_ZN2at6native16triu_tril_kernelIalLb0ELi4ELb0EEEvNS_4cuda6detail10TensorInfoIT_T0_EENS4_IKS5_S6_EEllS6_: ; @_ZN2at6native16triu_tril_kernelIalLb0ELi4ELb0EEEvNS_4cuda6detail10TensorInfoIT_T0_EENS4_IKS5_S6_EEllS6_
; %bb.0:
	s_load_dword s2, s[4:5], 0x364
	s_load_dwordx4 s[8:11], s[4:5], 0x340
	s_add_u32 s0, s4, 0x358
	v_mov_b32_e32 v2, 0
	s_addc_u32 s1, s5, 0
	s_waitcnt lgkmcnt(0)
	s_and_b32 s7, s2, 0xffff
	v_mov_b32_e32 v1, v2
	v_mov_b32_e32 v3, s6
	v_mad_u64_u32 v[0:1], s[2:3], s7, v3, v[0:1]
	s_mov_b32 s33, 0xffff
	v_lshlrev_b64 v[0:1], 2, v[0:1]
	v_cmp_gt_i64_e32 vcc, s[10:11], v[0:1]
	s_and_saveexec_b64 s[2:3], vcc
	s_cbranch_execz .LBB7_44
; %bb.1:
	s_load_dword s6, s[0:1], 0x0
	s_load_dword s24, s[4:5], 0x338
	s_add_u32 s66, s4, 0x1a0
	s_addc_u32 s67, s5, 0
	s_load_dwordx2 s[2:3], s[4:5], 0x1a0
	s_waitcnt lgkmcnt(0)
	s_mul_i32 s30, s6, s7
	s_ashr_i32 s25, s24, 31
	s_lshl_b64 s[0:1], s[24:25], 3
	s_add_u32 s20, s66, s0
	s_addc_u32 s21, s67, s1
	s_add_u32 s22, s20, -8
	s_addc_u32 s23, s21, -1
	s_add_u32 s0, s4, s0
	v_cmp_gt_i64_e64 s[6:7], s[24:25], 2
	s_addc_u32 s1, s5, s1
	s_add_i32 s24, s24, -3
	s_ashr_i32 s25, s24, 31
	s_lshl_b32 s68, s30, 2
	s_bitcmp0_b32 s24, 0
	s_load_dwordx4 s[12:15], s[22:23], 0x0
	s_load_dwordx4 s[16:19], s[20:21], 0xc0
	s_cselect_b64 s[36:37], -1, 0
	s_load_dwordx4 s[20:23], s[0:1], 0xc0
	s_lshl_b64 s[0:1], s[24:25], 3
	s_add_u32 s38, s66, s0
	s_addc_u32 s39, s67, s1
	s_add_u32 s40, s4, s0
	s_addc_u32 s41, s5, s1
	s_load_dwordx2 s[26:27], s[4:5], 0x350
	s_load_dwordx2 s[28:29], s[4:5], 0x0
	s_add_u32 s42, s24, -1
	s_addc_u32 s43, s25, -1
	s_cmp_lg_u32 s24, 0
	s_cselect_b64 s[44:45], -1, 0
	s_add_u32 s69, s4, 0xc8
	s_mov_b32 s30, s8
	s_mov_b32 s31, s9
	;; [unrolled: 1-line block ×4, first 2 shown]
	s_addc_u32 s70, s5, 0
	s_mov_b64 s[4:5], 0
	s_branch .LBB7_3
.LBB7_2:                                ;   in Loop: Header=BB7_3 Depth=1
	s_or_b64 exec, exec, s[0:1]
	v_add_co_u32_e32 v0, vcc, s68, v0
	v_addc_co_u32_e32 v1, vcc, 0, v1, vcc
	v_cmp_le_i64_e32 vcc, s[10:11], v[0:1]
	s_or_b64 s[4:5], vcc, s[4:5]
	s_andn2_b64 exec, exec, s[4:5]
	s_cbranch_execz .LBB7_44
.LBB7_3:                                ; =>This Loop Header: Depth=1
                                        ;     Child Loop BB7_21 Depth 2
	s_waitcnt lgkmcnt(0)
	v_or_b32_e32 v3, s27, v1
	v_cmp_ne_u64_e32 vcc, 0, v[2:3]
                                        ; implicit-def: $vgpr6_vgpr7
	s_and_saveexec_b64 s[0:1], vcc
	s_xor_b64 s[46:47], exec, s[0:1]
	s_cbranch_execz .LBB7_5
; %bb.4:                                ;   in Loop: Header=BB7_3 Depth=1
	s_ashr_i32 s48, s27, 31
	s_add_u32 s0, s26, s48
	s_mov_b32 s49, s48
	s_addc_u32 s1, s27, s48
	s_xor_b64 s[50:51], s[0:1], s[48:49]
	v_cvt_f32_u32_e32 v3, s50
	v_cvt_f32_u32_e32 v4, s51
	s_sub_u32 s49, 0, s50
	s_subb_u32 s52, 0, s51
	v_ashrrev_i32_e32 v7, 31, v1
	v_mac_f32_e32 v3, 0x4f800000, v4
	v_rcp_f32_e32 v3, v3
	v_mul_f32_e32 v3, 0x5f7ffffc, v3
	v_mul_f32_e32 v4, 0x2f800000, v3
	v_trunc_f32_e32 v4, v4
	v_mac_f32_e32 v3, 0xcf800000, v4
	v_cvt_u32_f32_e32 v4, v4
	v_cvt_u32_f32_e32 v3, v3
	v_readfirstlane_b32 s53, v4
	v_readfirstlane_b32 s0, v3
	s_mul_i32 s1, s49, s53
	s_mul_hi_u32 s55, s49, s0
	s_mul_i32 s54, s52, s0
	s_add_i32 s1, s55, s1
	s_add_i32 s1, s1, s54
	s_mul_i32 s56, s49, s0
	s_mul_i32 s55, s0, s1
	s_mul_hi_u32 s57, s0, s56
	s_mul_hi_u32 s54, s0, s1
	s_add_u32 s55, s57, s55
	s_addc_u32 s54, 0, s54
	s_mul_hi_u32 s58, s53, s56
	s_mul_i32 s56, s53, s56
	s_add_u32 s55, s55, s56
	s_mul_hi_u32 s57, s53, s1
	s_addc_u32 s54, s54, s58
	s_addc_u32 s55, s57, 0
	s_mul_i32 s1, s53, s1
	s_add_u32 s1, s54, s1
	s_addc_u32 s54, 0, s55
	s_add_u32 s55, s0, s1
	s_cselect_b64 s[0:1], -1, 0
	s_cmp_lg_u64 s[0:1], 0
	s_addc_u32 s53, s53, s54
	s_mul_i32 s0, s49, s53
	s_mul_hi_u32 s1, s49, s55
	s_add_i32 s0, s1, s0
	s_mul_i32 s52, s52, s55
	s_add_i32 s0, s0, s52
	s_mul_i32 s49, s49, s55
	s_mul_hi_u32 s52, s53, s49
	s_mul_i32 s54, s53, s49
	s_mul_i32 s57, s55, s0
	s_mul_hi_u32 s49, s55, s49
	s_mul_hi_u32 s56, s55, s0
	s_add_u32 s49, s49, s57
	s_addc_u32 s56, 0, s56
	s_add_u32 s49, s49, s54
	s_mul_hi_u32 s1, s53, s0
	s_addc_u32 s49, s56, s52
	s_addc_u32 s1, s1, 0
	s_mul_i32 s0, s53, s0
	s_add_u32 s0, s49, s0
	s_addc_u32 s49, 0, s1
	s_add_u32 s52, s55, s0
	s_cselect_b64 s[0:1], -1, 0
	s_cmp_lg_u64 s[0:1], 0
	v_add_co_u32_e32 v3, vcc, v0, v7
	s_addc_u32 s49, s53, s49
	v_xor_b32_e32 v8, v3, v7
	v_mad_u64_u32 v[3:4], s[0:1], v8, s49, 0
	v_mul_hi_u32 v6, v8, s52
	v_addc_co_u32_e32 v5, vcc, v1, v7, vcc
	v_xor_b32_e32 v9, v5, v7
	v_add_co_u32_e32 v10, vcc, v6, v3
	v_addc_co_u32_e32 v11, vcc, 0, v4, vcc
	v_mad_u64_u32 v[3:4], s[0:1], v9, s52, 0
	v_mad_u64_u32 v[5:6], s[0:1], v9, s49, 0
	v_add_co_u32_e32 v3, vcc, v10, v3
	v_addc_co_u32_e32 v3, vcc, v11, v4, vcc
	v_addc_co_u32_e32 v4, vcc, 0, v6, vcc
	v_add_co_u32_e32 v5, vcc, v3, v5
	v_addc_co_u32_e32 v6, vcc, 0, v4, vcc
	v_mul_lo_u32 v10, s51, v5
	v_mul_lo_u32 v11, s50, v6
	v_mad_u64_u32 v[3:4], s[0:1], s50, v5, 0
	v_add3_u32 v4, v4, v11, v10
	v_sub_u32_e32 v10, v9, v4
	v_mov_b32_e32 v11, s51
	v_sub_co_u32_e32 v3, vcc, v8, v3
	v_subb_co_u32_e64 v8, s[0:1], v10, v11, vcc
	v_subrev_co_u32_e64 v10, s[0:1], s50, v3
	v_subbrev_co_u32_e64 v8, s[0:1], 0, v8, s[0:1]
	v_cmp_le_u32_e64 s[0:1], s51, v8
	v_cndmask_b32_e64 v11, 0, -1, s[0:1]
	v_cmp_le_u32_e64 s[0:1], s50, v10
	v_cndmask_b32_e64 v10, 0, -1, s[0:1]
	v_cmp_eq_u32_e64 s[0:1], s51, v8
	v_cndmask_b32_e64 v8, v11, v10, s[0:1]
	v_add_co_u32_e64 v10, s[0:1], 2, v5
	v_subb_co_u32_e32 v4, vcc, v9, v4, vcc
	v_addc_co_u32_e64 v11, s[0:1], 0, v6, s[0:1]
	v_cmp_le_u32_e32 vcc, s51, v4
	v_add_co_u32_e64 v12, s[0:1], 1, v5
	v_cndmask_b32_e64 v9, 0, -1, vcc
	v_cmp_le_u32_e32 vcc, s50, v3
	v_addc_co_u32_e64 v13, s[0:1], 0, v6, s[0:1]
	v_cndmask_b32_e64 v3, 0, -1, vcc
	v_cmp_eq_u32_e32 vcc, s51, v4
	v_cmp_ne_u32_e64 s[0:1], 0, v8
	v_cndmask_b32_e32 v3, v9, v3, vcc
	v_cmp_ne_u32_e32 vcc, 0, v3
	v_cndmask_b32_e64 v4, v12, v10, s[0:1]
	v_cndmask_b32_e64 v8, v13, v11, s[0:1]
	v_cndmask_b32_e32 v4, v5, v4, vcc
	v_xor_b32_e32 v5, s48, v7
	v_cndmask_b32_e32 v3, v6, v8, vcc
	v_xor_b32_e32 v4, v4, v5
	v_xor_b32_e32 v3, v3, v5
	v_sub_co_u32_e32 v6, vcc, v4, v5
	v_subb_co_u32_e32 v7, vcc, v3, v5, vcc
.LBB7_5:                                ;   in Loop: Header=BB7_3 Depth=1
	s_andn2_saveexec_b64 s[0:1], s[46:47]
	s_cbranch_execz .LBB7_7
; %bb.6:                                ;   in Loop: Header=BB7_3 Depth=1
	v_cvt_f32_u32_e32 v3, s26
	s_sub_i32 s46, 0, s26
	v_mov_b32_e32 v7, v2
	v_rcp_iflag_f32_e32 v3, v3
	v_mul_f32_e32 v3, 0x4f7ffffe, v3
	v_cvt_u32_f32_e32 v3, v3
	v_mul_lo_u32 v4, s46, v3
	v_mul_hi_u32 v4, v3, v4
	v_add_u32_e32 v3, v3, v4
	v_mul_hi_u32 v3, v0, v3
	v_mul_lo_u32 v4, v3, s26
	v_add_u32_e32 v5, 1, v3
	v_sub_u32_e32 v4, v0, v4
	v_subrev_u32_e32 v6, s26, v4
	v_cmp_le_u32_e32 vcc, s26, v4
	v_cndmask_b32_e32 v4, v4, v6, vcc
	v_cndmask_b32_e32 v3, v3, v5, vcc
	v_add_u32_e32 v5, 1, v3
	v_cmp_le_u32_e32 vcc, s26, v4
	v_cndmask_b32_e32 v6, v3, v5, vcc
.LBB7_7:                                ;   in Loop: Header=BB7_3 Depth=1
	s_or_b64 exec, exec, s[0:1]
	v_or_b32_e32 v3, s13, v7
	v_cmp_ne_u64_e32 vcc, 0, v[2:3]
                                        ; implicit-def: $vgpr10_vgpr11
	s_and_saveexec_b64 s[0:1], vcc
	s_xor_b64 s[46:47], exec, s[0:1]
	s_cbranch_execz .LBB7_9
; %bb.8:                                ;   in Loop: Header=BB7_3 Depth=1
	s_ashr_i32 s48, s13, 31
	s_add_u32 s0, s12, s48
	s_mov_b32 s49, s48
	s_addc_u32 s1, s13, s48
	s_xor_b64 s[50:51], s[0:1], s[48:49]
	v_cvt_f32_u32_e32 v3, s50
	v_cvt_f32_u32_e32 v4, s51
	s_sub_u32 s49, 0, s50
	s_subb_u32 s52, 0, s51
	v_ashrrev_i32_e32 v5, 31, v7
	v_mac_f32_e32 v3, 0x4f800000, v4
	v_rcp_f32_e32 v3, v3
	v_mul_f32_e32 v3, 0x5f7ffffc, v3
	v_mul_f32_e32 v4, 0x2f800000, v3
	v_trunc_f32_e32 v4, v4
	v_mac_f32_e32 v3, 0xcf800000, v4
	v_cvt_u32_f32_e32 v4, v4
	v_cvt_u32_f32_e32 v3, v3
	v_readfirstlane_b32 s53, v4
	v_readfirstlane_b32 s0, v3
	s_mul_i32 s1, s49, s53
	s_mul_hi_u32 s55, s49, s0
	s_mul_i32 s54, s52, s0
	s_add_i32 s1, s55, s1
	s_add_i32 s1, s1, s54
	s_mul_i32 s56, s49, s0
	s_mul_i32 s55, s0, s1
	s_mul_hi_u32 s57, s0, s56
	s_mul_hi_u32 s54, s0, s1
	s_add_u32 s55, s57, s55
	s_addc_u32 s54, 0, s54
	s_mul_hi_u32 s58, s53, s56
	s_mul_i32 s56, s53, s56
	s_add_u32 s55, s55, s56
	s_mul_hi_u32 s57, s53, s1
	s_addc_u32 s54, s54, s58
	s_addc_u32 s55, s57, 0
	s_mul_i32 s1, s53, s1
	s_add_u32 s1, s54, s1
	s_addc_u32 s54, 0, s55
	s_add_u32 s55, s0, s1
	s_cselect_b64 s[0:1], -1, 0
	s_cmp_lg_u64 s[0:1], 0
	s_addc_u32 s53, s53, s54
	s_mul_i32 s0, s49, s53
	s_mul_hi_u32 s1, s49, s55
	s_add_i32 s0, s1, s0
	s_mul_i32 s52, s52, s55
	s_add_i32 s0, s0, s52
	s_mul_i32 s49, s49, s55
	s_mul_hi_u32 s52, s53, s49
	s_mul_i32 s54, s53, s49
	s_mul_i32 s57, s55, s0
	s_mul_hi_u32 s49, s55, s49
	s_mul_hi_u32 s56, s55, s0
	s_add_u32 s49, s49, s57
	s_addc_u32 s56, 0, s56
	s_add_u32 s49, s49, s54
	s_mul_hi_u32 s1, s53, s0
	s_addc_u32 s49, s56, s52
	s_addc_u32 s1, s1, 0
	s_mul_i32 s0, s53, s0
	s_add_u32 s0, s49, s0
	s_addc_u32 s49, 0, s1
	s_add_u32 s52, s55, s0
	s_cselect_b64 s[0:1], -1, 0
	s_cmp_lg_u64 s[0:1], 0
	v_add_co_u32_e32 v3, vcc, v6, v5
	s_addc_u32 s49, s53, s49
	v_xor_b32_e32 v10, v3, v5
	v_mad_u64_u32 v[3:4], s[0:1], v10, s49, 0
	v_mul_hi_u32 v9, v10, s52
	v_addc_co_u32_e32 v8, vcc, v7, v5, vcc
	v_xor_b32_e32 v11, v8, v5
	v_add_co_u32_e32 v12, vcc, v9, v3
	v_addc_co_u32_e32 v13, vcc, 0, v4, vcc
	v_mad_u64_u32 v[3:4], s[0:1], v11, s52, 0
	v_mad_u64_u32 v[8:9], s[0:1], v11, s49, 0
	v_add_co_u32_e32 v3, vcc, v12, v3
	v_addc_co_u32_e32 v3, vcc, v13, v4, vcc
	v_addc_co_u32_e32 v4, vcc, 0, v9, vcc
	v_add_co_u32_e32 v8, vcc, v3, v8
	v_addc_co_u32_e32 v9, vcc, 0, v4, vcc
	v_mul_lo_u32 v12, s51, v8
	v_mul_lo_u32 v13, s50, v9
	v_mad_u64_u32 v[3:4], s[0:1], s50, v8, 0
	v_xor_b32_e32 v5, s48, v5
	v_add3_u32 v4, v4, v13, v12
	v_sub_u32_e32 v12, v11, v4
	v_mov_b32_e32 v13, s51
	v_sub_co_u32_e32 v3, vcc, v10, v3
	v_subb_co_u32_e64 v10, s[0:1], v12, v13, vcc
	v_subrev_co_u32_e64 v12, s[0:1], s50, v3
	v_subbrev_co_u32_e64 v10, s[0:1], 0, v10, s[0:1]
	v_cmp_le_u32_e64 s[0:1], s51, v10
	v_cndmask_b32_e64 v13, 0, -1, s[0:1]
	v_cmp_le_u32_e64 s[0:1], s50, v12
	v_cndmask_b32_e64 v12, 0, -1, s[0:1]
	v_cmp_eq_u32_e64 s[0:1], s51, v10
	v_cndmask_b32_e64 v10, v13, v12, s[0:1]
	v_add_co_u32_e64 v12, s[0:1], 2, v8
	v_subb_co_u32_e32 v4, vcc, v11, v4, vcc
	v_addc_co_u32_e64 v13, s[0:1], 0, v9, s[0:1]
	v_cmp_le_u32_e32 vcc, s51, v4
	v_add_co_u32_e64 v14, s[0:1], 1, v8
	v_cndmask_b32_e64 v11, 0, -1, vcc
	v_cmp_le_u32_e32 vcc, s50, v3
	v_addc_co_u32_e64 v15, s[0:1], 0, v9, s[0:1]
	v_cndmask_b32_e64 v3, 0, -1, vcc
	v_cmp_eq_u32_e32 vcc, s51, v4
	v_cmp_ne_u32_e64 s[0:1], 0, v10
	v_cndmask_b32_e32 v3, v11, v3, vcc
	v_cmp_ne_u32_e32 vcc, 0, v3
	v_cndmask_b32_e64 v4, v14, v12, s[0:1]
	v_cndmask_b32_e64 v10, v15, v13, s[0:1]
	v_cndmask_b32_e32 v4, v8, v4, vcc
	v_cndmask_b32_e32 v3, v9, v10, vcc
	v_xor_b32_e32 v4, v4, v5
	v_xor_b32_e32 v3, v3, v5
	v_sub_co_u32_e32 v10, vcc, v4, v5
	v_subb_co_u32_e32 v11, vcc, v3, v5, vcc
.LBB7_9:                                ;   in Loop: Header=BB7_3 Depth=1
	s_andn2_saveexec_b64 s[0:1], s[46:47]
	s_cbranch_execz .LBB7_11
; %bb.10:                               ;   in Loop: Header=BB7_3 Depth=1
	v_cvt_f32_u32_e32 v3, s12
	s_sub_i32 s46, 0, s12
	v_mov_b32_e32 v11, v2
	v_rcp_iflag_f32_e32 v3, v3
	v_mul_f32_e32 v3, 0x4f7ffffe, v3
	v_cvt_u32_f32_e32 v3, v3
	v_mul_lo_u32 v4, s46, v3
	v_mul_hi_u32 v4, v3, v4
	v_add_u32_e32 v3, v3, v4
	v_mul_hi_u32 v3, v6, v3
	v_mul_lo_u32 v4, v3, s12
	v_add_u32_e32 v5, 1, v3
	v_sub_u32_e32 v4, v6, v4
	v_subrev_u32_e32 v8, s12, v4
	v_cmp_le_u32_e32 vcc, s12, v4
	v_cndmask_b32_e32 v4, v4, v8, vcc
	v_cndmask_b32_e32 v3, v3, v5, vcc
	v_add_u32_e32 v5, 1, v3
	v_cmp_le_u32_e32 vcc, s12, v4
	v_cndmask_b32_e32 v10, v3, v5, vcc
.LBB7_11:                               ;   in Loop: Header=BB7_3 Depth=1
	s_or_b64 exec, exec, s[0:1]
	v_mul_lo_u32 v5, v7, s26
	v_mul_lo_u32 v8, v6, s27
	v_mad_u64_u32 v[3:4], s[0:1], v6, s26, 0
	v_mul_lo_u32 v12, v11, s12
	v_mul_lo_u32 v13, v10, s13
	v_add3_u32 v5, v4, v8, v5
	v_mad_u64_u32 v[8:9], s[0:1], v10, s12, 0
	v_sub_co_u32_e32 v4, vcc, v0, v3
	v_subb_co_u32_e32 v5, vcc, v1, v5, vcc
	v_add3_u32 v3, v9, v13, v12
	v_mul_lo_u32 v9, s19, v4
	v_mul_lo_u32 v14, s18, v5
	v_mad_u64_u32 v[12:13], s[0:1], s18, v4, 0
	v_sub_co_u32_e32 v16, vcc, v6, v8
	v_subb_co_u32_e32 v17, vcc, v7, v3, vcc
	v_add3_u32 v13, v13, v14, v9
	v_mul_lo_u32 v3, s23, v4
	v_mul_lo_u32 v14, s22, v5
	v_mad_u64_u32 v[6:7], s[0:1], s22, v4, 0
	v_mad_u64_u32 v[8:9], s[0:1], s16, v16, v[12:13]
	v_mul_lo_u32 v12, s16, v17
	v_mul_lo_u32 v13, s17, v16
	v_add3_u32 v7, v7, v14, v3
	v_mad_u64_u32 v[6:7], s[0:1], s20, v16, v[6:7]
	v_add3_u32 v9, v13, v9, v12
	v_mul_lo_u32 v3, s20, v17
	v_mul_lo_u32 v12, s21, v16
	s_andn2_b64 vcc, exec, s[6:7]
	v_add3_u32 v7, v12, v7, v3
	s_cbranch_vccnz .LBB7_29
; %bb.12:                               ;   in Loop: Header=BB7_3 Depth=1
	s_andn2_b64 vcc, exec, s[36:37]
	s_cbranch_vccnz .LBB7_18
; %bb.13:                               ;   in Loop: Header=BB7_3 Depth=1
	s_load_dwordx2 s[46:47], s[38:39], 0x8
                                        ; implicit-def: $vgpr12_vgpr13
	s_waitcnt lgkmcnt(0)
	v_or_b32_e32 v3, s47, v11
	v_cmp_ne_u64_e32 vcc, 0, v[2:3]
	s_and_saveexec_b64 s[0:1], vcc
	s_xor_b64 s[48:49], exec, s[0:1]
	s_cbranch_execz .LBB7_15
; %bb.14:                               ;   in Loop: Header=BB7_3 Depth=1
	s_ashr_i32 s50, s47, 31
	s_add_u32 s0, s46, s50
	s_mov_b32 s51, s50
	s_addc_u32 s1, s47, s50
	s_xor_b64 s[52:53], s[0:1], s[50:51]
	v_cvt_f32_u32_e32 v3, s52
	v_cvt_f32_u32_e32 v12, s53
	s_sub_u32 s51, 0, s52
	s_subb_u32 s54, 0, s53
	v_mac_f32_e32 v3, 0x4f800000, v12
	v_rcp_f32_e32 v3, v3
	v_mul_f32_e32 v3, 0x5f7ffffc, v3
	v_mul_f32_e32 v12, 0x2f800000, v3
	v_trunc_f32_e32 v12, v12
	v_mac_f32_e32 v3, 0xcf800000, v12
	v_cvt_u32_f32_e32 v12, v12
	v_cvt_u32_f32_e32 v3, v3
	v_readfirstlane_b32 s55, v12
	v_readfirstlane_b32 s0, v3
	s_mul_i32 s1, s51, s55
	s_mul_hi_u32 s57, s51, s0
	s_mul_i32 s56, s54, s0
	s_add_i32 s1, s57, s1
	s_add_i32 s1, s1, s56
	s_mul_i32 s58, s51, s0
	s_mul_i32 s57, s0, s1
	s_mul_hi_u32 s59, s0, s58
	s_mul_hi_u32 s56, s0, s1
	s_add_u32 s57, s59, s57
	s_addc_u32 s56, 0, s56
	s_mul_hi_u32 s60, s55, s58
	s_mul_i32 s58, s55, s58
	s_add_u32 s57, s57, s58
	s_mul_hi_u32 s59, s55, s1
	s_addc_u32 s56, s56, s60
	s_addc_u32 s57, s59, 0
	s_mul_i32 s1, s55, s1
	s_add_u32 s1, s56, s1
	s_addc_u32 s56, 0, s57
	s_add_u32 s57, s0, s1
	s_cselect_b64 s[0:1], -1, 0
	s_cmp_lg_u64 s[0:1], 0
	s_addc_u32 s55, s55, s56
	s_mul_i32 s0, s51, s55
	s_mul_hi_u32 s1, s51, s57
	s_add_i32 s0, s1, s0
	s_mul_i32 s54, s54, s57
	s_add_i32 s0, s0, s54
	s_mul_i32 s51, s51, s57
	s_mul_hi_u32 s54, s55, s51
	s_mul_i32 s56, s55, s51
	s_mul_i32 s59, s57, s0
	s_mul_hi_u32 s51, s57, s51
	s_mul_hi_u32 s58, s57, s0
	s_add_u32 s51, s51, s59
	s_addc_u32 s58, 0, s58
	s_add_u32 s51, s51, s56
	s_mul_hi_u32 s1, s55, s0
	s_addc_u32 s51, s58, s54
	s_addc_u32 s1, s1, 0
	s_mul_i32 s0, s55, s0
	s_add_u32 s0, s51, s0
	s_addc_u32 s51, 0, s1
	s_add_u32 s54, s57, s0
	s_cselect_b64 s[0:1], -1, 0
	v_ashrrev_i32_e32 v3, 31, v11
	s_cmp_lg_u64 s[0:1], 0
	v_add_co_u32_e32 v12, vcc, v10, v3
	s_addc_u32 s51, s55, s51
	v_xor_b32_e32 v18, v12, v3
	v_mad_u64_u32 v[12:13], s[0:1], v18, s51, 0
	v_mul_hi_u32 v15, v18, s54
	v_addc_co_u32_e32 v14, vcc, v11, v3, vcc
	v_xor_b32_e32 v19, v14, v3
	v_add_co_u32_e32 v20, vcc, v15, v12
	v_addc_co_u32_e32 v21, vcc, 0, v13, vcc
	v_mad_u64_u32 v[12:13], s[0:1], v19, s54, 0
	v_mad_u64_u32 v[14:15], s[0:1], v19, s51, 0
	v_add_co_u32_e32 v12, vcc, v20, v12
	v_addc_co_u32_e32 v12, vcc, v21, v13, vcc
	v_addc_co_u32_e32 v13, vcc, 0, v15, vcc
	v_add_co_u32_e32 v14, vcc, v12, v14
	v_addc_co_u32_e32 v15, vcc, 0, v13, vcc
	v_mul_lo_u32 v20, s53, v14
	v_mul_lo_u32 v21, s52, v15
	v_mad_u64_u32 v[12:13], s[0:1], s52, v14, 0
	v_xor_b32_e32 v3, s50, v3
	v_add3_u32 v13, v13, v21, v20
	v_sub_u32_e32 v20, v19, v13
	v_mov_b32_e32 v21, s53
	v_sub_co_u32_e32 v12, vcc, v18, v12
	v_subb_co_u32_e64 v18, s[0:1], v20, v21, vcc
	v_subrev_co_u32_e64 v20, s[0:1], s52, v12
	v_subbrev_co_u32_e64 v18, s[0:1], 0, v18, s[0:1]
	v_cmp_le_u32_e64 s[0:1], s53, v18
	v_cndmask_b32_e64 v21, 0, -1, s[0:1]
	v_cmp_le_u32_e64 s[0:1], s52, v20
	v_cndmask_b32_e64 v20, 0, -1, s[0:1]
	v_cmp_eq_u32_e64 s[0:1], s53, v18
	v_cndmask_b32_e64 v18, v21, v20, s[0:1]
	v_add_co_u32_e64 v20, s[0:1], 2, v14
	v_subb_co_u32_e32 v13, vcc, v19, v13, vcc
	v_addc_co_u32_e64 v21, s[0:1], 0, v15, s[0:1]
	v_cmp_le_u32_e32 vcc, s53, v13
	v_add_co_u32_e64 v22, s[0:1], 1, v14
	v_cndmask_b32_e64 v19, 0, -1, vcc
	v_cmp_le_u32_e32 vcc, s52, v12
	v_addc_co_u32_e64 v23, s[0:1], 0, v15, s[0:1]
	v_cndmask_b32_e64 v12, 0, -1, vcc
	v_cmp_eq_u32_e32 vcc, s53, v13
	v_cmp_ne_u32_e64 s[0:1], 0, v18
	v_cndmask_b32_e32 v12, v19, v12, vcc
	v_cndmask_b32_e64 v18, v23, v21, s[0:1]
	v_cmp_ne_u32_e32 vcc, 0, v12
	v_cndmask_b32_e64 v13, v22, v20, s[0:1]
	v_cndmask_b32_e32 v12, v15, v18, vcc
	v_cndmask_b32_e32 v13, v14, v13, vcc
	v_xor_b32_e32 v14, v12, v3
	v_xor_b32_e32 v12, v13, v3
	v_sub_co_u32_e32 v12, vcc, v12, v3
	v_subb_co_u32_e32 v13, vcc, v14, v3, vcc
.LBB7_15:                               ;   in Loop: Header=BB7_3 Depth=1
	s_andn2_saveexec_b64 s[0:1], s[48:49]
	s_cbranch_execz .LBB7_17
; %bb.16:                               ;   in Loop: Header=BB7_3 Depth=1
	v_cvt_f32_u32_e32 v3, s46
	s_sub_i32 s48, 0, s46
	v_rcp_iflag_f32_e32 v3, v3
	v_mul_f32_e32 v3, 0x4f7ffffe, v3
	v_cvt_u32_f32_e32 v3, v3
	v_mul_lo_u32 v12, s48, v3
	v_mul_hi_u32 v12, v3, v12
	v_add_u32_e32 v3, v3, v12
	v_mul_hi_u32 v3, v10, v3
	v_mul_lo_u32 v12, v3, s46
	v_add_u32_e32 v13, 1, v3
	v_sub_u32_e32 v12, v10, v12
	v_subrev_u32_e32 v14, s46, v12
	v_cmp_le_u32_e32 vcc, s46, v12
	v_cndmask_b32_e32 v12, v12, v14, vcc
	v_cndmask_b32_e32 v3, v3, v13, vcc
	v_add_u32_e32 v13, 1, v3
	v_cmp_le_u32_e32 vcc, s46, v12
	v_cndmask_b32_e32 v12, v3, v13, vcc
	v_mov_b32_e32 v13, v2
.LBB7_17:                               ;   in Loop: Header=BB7_3 Depth=1
	s_or_b64 exec, exec, s[0:1]
	v_mul_lo_u32 v3, v13, s46
	v_mul_lo_u32 v18, v12, s47
	v_mad_u64_u32 v[14:15], s[0:1], v12, s46, 0
	s_load_dwordx2 s[0:1], s[38:39], 0xd0
	s_load_dwordx2 s[46:47], s[40:41], 0xd0
	v_add3_u32 v3, v15, v18, v3
	v_sub_co_u32_e32 v10, vcc, v10, v14
	v_subb_co_u32_e32 v3, vcc, v11, v3, vcc
	s_waitcnt lgkmcnt(0)
	v_mul_lo_u32 v11, s0, v3
	v_mul_lo_u32 v14, s1, v10
	v_mad_u64_u32 v[8:9], s[0:1], s0, v10, v[8:9]
	v_mul_lo_u32 v3, s46, v3
	v_mul_lo_u32 v15, s47, v10
	v_mad_u64_u32 v[6:7], s[0:1], s46, v10, v[6:7]
	v_add3_u32 v9, v14, v9, v11
	v_mov_b32_e32 v10, v12
	v_add3_u32 v7, v15, v7, v3
	v_mov_b32_e32 v11, v13
	s_mov_b64 s[0:1], s[42:43]
	s_andn2_b64 vcc, exec, s[44:45]
	s_cbranch_vccz .LBB7_19
	s_branch .LBB7_29
.LBB7_18:                               ;   in Loop: Header=BB7_3 Depth=1
	s_mov_b64 s[0:1], s[24:25]
	s_andn2_b64 vcc, exec, s[44:45]
	s_cbranch_vccnz .LBB7_29
.LBB7_19:                               ;   in Loop: Header=BB7_3 Depth=1
	s_lshl_b64 s[48:49], s[0:1], 3
	s_add_u32 s46, s69, s48
	s_addc_u32 s47, s70, s49
	s_add_u32 s48, s66, s48
	s_addc_u32 s49, s67, s49
	;; [unrolled: 2-line block ×3, first 2 shown]
	s_branch .LBB7_21
.LBB7_20:                               ;   in Loop: Header=BB7_21 Depth=2
	s_or_b64 exec, exec, s[0:1]
	v_mul_lo_u32 v3, v13, s52
	v_mul_lo_u32 v20, v12, s53
	v_mad_u64_u32 v[18:19], s[0:1], v12, s52, 0
	v_mul_lo_u32 v21, v15, s54
	v_mul_lo_u32 v22, v14, s55
	v_add3_u32 v3, v19, v20, v3
	v_sub_co_u32_e32 v10, vcc, v10, v18
	v_subb_co_u32_e32 v3, vcc, v11, v3, vcc
	v_mul_lo_u32 v18, s58, v3
	v_mul_lo_u32 v19, s59, v10
	v_mad_u64_u32 v[8:9], s[0:1], s58, v10, v[8:9]
	v_mul_lo_u32 v3, s56, v3
	v_mul_lo_u32 v20, s57, v10
	v_mad_u64_u32 v[6:7], s[0:1], s56, v10, v[6:7]
	v_mad_u64_u32 v[10:11], s[0:1], v14, s54, 0
	s_load_dwordx2 s[0:1], s[48:49], 0xc8
	s_load_dwordx2 s[52:53], s[46:47], 0x0
	v_add3_u32 v7, v20, v7, v3
	v_add3_u32 v3, v11, v22, v21
	v_sub_co_u32_e32 v10, vcc, v12, v10
	v_add3_u32 v9, v19, v9, v18
	v_subb_co_u32_e32 v3, vcc, v13, v3, vcc
	s_add_u32 s46, s46, -16
	s_waitcnt lgkmcnt(0)
	v_mad_u64_u32 v[8:9], s[54:55], s0, v10, v[8:9]
	v_mul_lo_u32 v11, s0, v3
	v_mul_lo_u32 v12, s1, v10
	v_mad_u64_u32 v[6:7], s[0:1], s52, v10, v[6:7]
	v_mul_lo_u32 v3, s52, v3
	v_mul_lo_u32 v10, s53, v10
	s_addc_u32 s47, s47, -1
	s_add_u32 s48, s48, -16
	s_addc_u32 s49, s49, -1
	s_add_u32 s50, s50, -2
	v_add3_u32 v9, v12, v9, v11
	v_add3_u32 v7, v10, v7, v3
	s_addc_u32 s51, s51, -1
	v_mov_b32_e32 v10, v14
	s_cmp_eq_u64 s[50:51], 0
	v_mov_b32_e32 v11, v15
	s_cbranch_scc1 .LBB7_29
.LBB7_21:                               ;   Parent Loop BB7_3 Depth=1
                                        ; =>  This Inner Loop Header: Depth=2
	s_load_dwordx2 s[52:53], s[48:49], 0x8
                                        ; implicit-def: $vgpr12_vgpr13
	s_waitcnt lgkmcnt(0)
	v_or_b32_e32 v3, s53, v11
	v_cmp_ne_u64_e32 vcc, 0, v[2:3]
	s_and_saveexec_b64 s[0:1], vcc
	s_xor_b64 s[54:55], exec, s[0:1]
	s_cbranch_execz .LBB7_23
; %bb.22:                               ;   in Loop: Header=BB7_21 Depth=2
	s_ashr_i32 s56, s53, 31
	s_add_u32 s0, s52, s56
	s_mov_b32 s57, s56
	s_addc_u32 s1, s53, s56
	s_xor_b64 s[58:59], s[0:1], s[56:57]
	v_cvt_f32_u32_e32 v3, s58
	v_cvt_f32_u32_e32 v12, s59
	s_sub_u32 s57, 0, s58
	s_subb_u32 s60, 0, s59
	v_mac_f32_e32 v3, 0x4f800000, v12
	v_rcp_f32_e32 v3, v3
	v_mul_f32_e32 v3, 0x5f7ffffc, v3
	v_mul_f32_e32 v12, 0x2f800000, v3
	v_trunc_f32_e32 v12, v12
	v_mac_f32_e32 v3, 0xcf800000, v12
	v_cvt_u32_f32_e32 v12, v12
	v_cvt_u32_f32_e32 v3, v3
	v_readfirstlane_b32 s61, v12
	v_readfirstlane_b32 s0, v3
	s_mul_i32 s1, s57, s61
	s_mul_hi_u32 s63, s57, s0
	s_mul_i32 s62, s60, s0
	s_add_i32 s1, s63, s1
	s_add_i32 s1, s1, s62
	s_mul_i32 s64, s57, s0
	s_mul_i32 s63, s0, s1
	s_mul_hi_u32 s65, s0, s64
	s_mul_hi_u32 s62, s0, s1
	s_add_u32 s63, s65, s63
	s_addc_u32 s62, 0, s62
	s_mul_hi_u32 s71, s61, s64
	s_mul_i32 s64, s61, s64
	s_add_u32 s63, s63, s64
	s_mul_hi_u32 s65, s61, s1
	s_addc_u32 s62, s62, s71
	s_addc_u32 s63, s65, 0
	s_mul_i32 s1, s61, s1
	s_add_u32 s1, s62, s1
	s_addc_u32 s62, 0, s63
	s_add_u32 s63, s0, s1
	s_cselect_b64 s[0:1], -1, 0
	s_cmp_lg_u64 s[0:1], 0
	s_addc_u32 s61, s61, s62
	s_mul_i32 s0, s57, s61
	s_mul_hi_u32 s1, s57, s63
	s_add_i32 s0, s1, s0
	s_mul_i32 s60, s60, s63
	s_add_i32 s0, s0, s60
	s_mul_i32 s57, s57, s63
	s_mul_hi_u32 s60, s61, s57
	s_mul_i32 s62, s61, s57
	s_mul_i32 s65, s63, s0
	s_mul_hi_u32 s57, s63, s57
	s_mul_hi_u32 s64, s63, s0
	s_add_u32 s57, s57, s65
	s_addc_u32 s64, 0, s64
	s_add_u32 s57, s57, s62
	s_mul_hi_u32 s1, s61, s0
	s_addc_u32 s57, s64, s60
	s_addc_u32 s1, s1, 0
	s_mul_i32 s0, s61, s0
	s_add_u32 s0, s57, s0
	s_addc_u32 s57, 0, s1
	s_add_u32 s60, s63, s0
	s_cselect_b64 s[0:1], -1, 0
	v_ashrrev_i32_e32 v3, 31, v11
	s_cmp_lg_u64 s[0:1], 0
	v_add_co_u32_e32 v12, vcc, v10, v3
	s_addc_u32 s57, s61, s57
	v_xor_b32_e32 v18, v12, v3
	v_mad_u64_u32 v[12:13], s[0:1], v18, s57, 0
	v_mul_hi_u32 v15, v18, s60
	v_addc_co_u32_e32 v14, vcc, v11, v3, vcc
	v_xor_b32_e32 v19, v14, v3
	v_add_co_u32_e32 v20, vcc, v15, v12
	v_addc_co_u32_e32 v21, vcc, 0, v13, vcc
	v_mad_u64_u32 v[12:13], s[0:1], v19, s60, 0
	v_mad_u64_u32 v[14:15], s[0:1], v19, s57, 0
	v_add_co_u32_e32 v12, vcc, v20, v12
	v_addc_co_u32_e32 v12, vcc, v21, v13, vcc
	v_addc_co_u32_e32 v13, vcc, 0, v15, vcc
	v_add_co_u32_e32 v14, vcc, v12, v14
	v_addc_co_u32_e32 v15, vcc, 0, v13, vcc
	v_mul_lo_u32 v20, s59, v14
	v_mul_lo_u32 v21, s58, v15
	v_mad_u64_u32 v[12:13], s[0:1], s58, v14, 0
	v_xor_b32_e32 v3, s56, v3
	v_add3_u32 v13, v13, v21, v20
	v_sub_u32_e32 v20, v19, v13
	v_mov_b32_e32 v21, s59
	v_sub_co_u32_e32 v12, vcc, v18, v12
	v_subb_co_u32_e64 v18, s[0:1], v20, v21, vcc
	v_subrev_co_u32_e64 v20, s[0:1], s58, v12
	v_subbrev_co_u32_e64 v18, s[0:1], 0, v18, s[0:1]
	v_cmp_le_u32_e64 s[0:1], s59, v18
	v_cndmask_b32_e64 v21, 0, -1, s[0:1]
	v_cmp_le_u32_e64 s[0:1], s58, v20
	v_cndmask_b32_e64 v20, 0, -1, s[0:1]
	v_cmp_eq_u32_e64 s[0:1], s59, v18
	v_cndmask_b32_e64 v18, v21, v20, s[0:1]
	v_add_co_u32_e64 v20, s[0:1], 2, v14
	v_subb_co_u32_e32 v13, vcc, v19, v13, vcc
	v_addc_co_u32_e64 v21, s[0:1], 0, v15, s[0:1]
	v_cmp_le_u32_e32 vcc, s59, v13
	v_add_co_u32_e64 v22, s[0:1], 1, v14
	v_cndmask_b32_e64 v19, 0, -1, vcc
	v_cmp_le_u32_e32 vcc, s58, v12
	v_addc_co_u32_e64 v23, s[0:1], 0, v15, s[0:1]
	v_cndmask_b32_e64 v12, 0, -1, vcc
	v_cmp_eq_u32_e32 vcc, s59, v13
	v_cmp_ne_u32_e64 s[0:1], 0, v18
	v_cndmask_b32_e32 v12, v19, v12, vcc
	v_cndmask_b32_e64 v18, v23, v21, s[0:1]
	v_cmp_ne_u32_e32 vcc, 0, v12
	v_cndmask_b32_e64 v13, v22, v20, s[0:1]
	v_cndmask_b32_e32 v12, v15, v18, vcc
	v_cndmask_b32_e32 v13, v14, v13, vcc
	v_xor_b32_e32 v14, v12, v3
	v_xor_b32_e32 v12, v13, v3
	v_sub_co_u32_e32 v12, vcc, v12, v3
	v_subb_co_u32_e32 v13, vcc, v14, v3, vcc
.LBB7_23:                               ;   in Loop: Header=BB7_21 Depth=2
	s_andn2_saveexec_b64 s[0:1], s[54:55]
	s_cbranch_execz .LBB7_25
; %bb.24:                               ;   in Loop: Header=BB7_21 Depth=2
	v_cvt_f32_u32_e32 v3, s52
	s_sub_i32 s54, 0, s52
	v_rcp_iflag_f32_e32 v3, v3
	v_mul_f32_e32 v3, 0x4f7ffffe, v3
	v_cvt_u32_f32_e32 v3, v3
	v_mul_lo_u32 v12, s54, v3
	v_mul_hi_u32 v12, v3, v12
	v_add_u32_e32 v3, v3, v12
	v_mul_hi_u32 v3, v10, v3
	v_mul_lo_u32 v12, v3, s52
	v_add_u32_e32 v13, 1, v3
	v_sub_u32_e32 v12, v10, v12
	v_subrev_u32_e32 v14, s52, v12
	v_cmp_le_u32_e32 vcc, s52, v12
	v_cndmask_b32_e32 v12, v12, v14, vcc
	v_cndmask_b32_e32 v3, v3, v13, vcc
	v_add_u32_e32 v13, 1, v3
	v_cmp_le_u32_e32 vcc, s52, v12
	v_cndmask_b32_e32 v12, v3, v13, vcc
	v_mov_b32_e32 v13, v2
.LBB7_25:                               ;   in Loop: Header=BB7_21 Depth=2
	s_or_b64 exec, exec, s[0:1]
	s_load_dwordx2 s[54:55], s[48:49], 0x0
	s_load_dwordx2 s[58:59], s[48:49], 0xd0
	;; [unrolled: 1-line block ×3, first 2 shown]
                                        ; implicit-def: $vgpr14_vgpr15
	s_waitcnt lgkmcnt(0)
	v_or_b32_e32 v3, s55, v13
	v_cmp_ne_u64_e32 vcc, 0, v[2:3]
	s_and_saveexec_b64 s[0:1], vcc
	s_xor_b64 s[60:61], exec, s[0:1]
	s_cbranch_execz .LBB7_27
; %bb.26:                               ;   in Loop: Header=BB7_21 Depth=2
	s_ashr_i32 s62, s55, 31
	s_add_u32 s0, s54, s62
	s_mov_b32 s63, s62
	s_addc_u32 s1, s55, s62
	s_xor_b64 s[64:65], s[0:1], s[62:63]
	v_cvt_f32_u32_e32 v3, s64
	v_cvt_f32_u32_e32 v14, s65
	s_sub_u32 s63, 0, s64
	s_subb_u32 s71, 0, s65
	v_mac_f32_e32 v3, 0x4f800000, v14
	v_rcp_f32_e32 v3, v3
	v_mul_f32_e32 v3, 0x5f7ffffc, v3
	v_mul_f32_e32 v14, 0x2f800000, v3
	v_trunc_f32_e32 v14, v14
	v_mac_f32_e32 v3, 0xcf800000, v14
	v_cvt_u32_f32_e32 v14, v14
	v_cvt_u32_f32_e32 v3, v3
	v_readfirstlane_b32 s72, v14
	v_readfirstlane_b32 s0, v3
	s_mul_i32 s1, s63, s72
	s_mul_hi_u32 s74, s63, s0
	s_mul_i32 s73, s71, s0
	s_add_i32 s1, s74, s1
	s_add_i32 s1, s1, s73
	s_mul_i32 s75, s63, s0
	s_mul_i32 s74, s0, s1
	s_mul_hi_u32 s76, s0, s75
	s_mul_hi_u32 s73, s0, s1
	s_add_u32 s74, s76, s74
	s_addc_u32 s73, 0, s73
	s_mul_hi_u32 s77, s72, s75
	s_mul_i32 s75, s72, s75
	s_add_u32 s74, s74, s75
	s_mul_hi_u32 s76, s72, s1
	s_addc_u32 s73, s73, s77
	s_addc_u32 s74, s76, 0
	s_mul_i32 s1, s72, s1
	s_add_u32 s1, s73, s1
	s_addc_u32 s73, 0, s74
	s_add_u32 s74, s0, s1
	s_cselect_b64 s[0:1], -1, 0
	s_cmp_lg_u64 s[0:1], 0
	s_addc_u32 s72, s72, s73
	s_mul_i32 s0, s63, s72
	s_mul_hi_u32 s1, s63, s74
	s_add_i32 s0, s1, s0
	s_mul_i32 s71, s71, s74
	s_add_i32 s0, s0, s71
	s_mul_i32 s63, s63, s74
	s_mul_hi_u32 s71, s72, s63
	s_mul_i32 s73, s72, s63
	s_mul_i32 s76, s74, s0
	s_mul_hi_u32 s63, s74, s63
	s_mul_hi_u32 s75, s74, s0
	s_add_u32 s63, s63, s76
	s_addc_u32 s75, 0, s75
	s_add_u32 s63, s63, s73
	s_mul_hi_u32 s1, s72, s0
	s_addc_u32 s63, s75, s71
	s_addc_u32 s1, s1, 0
	s_mul_i32 s0, s72, s0
	s_add_u32 s0, s63, s0
	s_addc_u32 s63, 0, s1
	s_add_u32 s71, s74, s0
	s_cselect_b64 s[0:1], -1, 0
	v_ashrrev_i32_e32 v3, 31, v13
	s_cmp_lg_u64 s[0:1], 0
	v_add_co_u32_e32 v14, vcc, v12, v3
	s_addc_u32 s63, s72, s63
	v_xor_b32_e32 v20, v14, v3
	v_mad_u64_u32 v[14:15], s[0:1], v20, s63, 0
	v_mul_hi_u32 v19, v20, s71
	v_addc_co_u32_e32 v18, vcc, v13, v3, vcc
	v_xor_b32_e32 v21, v18, v3
	v_add_co_u32_e32 v22, vcc, v19, v14
	v_addc_co_u32_e32 v23, vcc, 0, v15, vcc
	v_mad_u64_u32 v[14:15], s[0:1], v21, s71, 0
	v_mad_u64_u32 v[18:19], s[0:1], v21, s63, 0
	v_add_co_u32_e32 v14, vcc, v22, v14
	v_addc_co_u32_e32 v14, vcc, v23, v15, vcc
	v_addc_co_u32_e32 v15, vcc, 0, v19, vcc
	v_add_co_u32_e32 v18, vcc, v14, v18
	v_addc_co_u32_e32 v19, vcc, 0, v15, vcc
	v_mul_lo_u32 v22, s65, v18
	v_mul_lo_u32 v23, s64, v19
	v_mad_u64_u32 v[14:15], s[0:1], s64, v18, 0
	v_xor_b32_e32 v3, s62, v3
	v_add3_u32 v15, v15, v23, v22
	v_sub_u32_e32 v22, v21, v15
	v_mov_b32_e32 v23, s65
	v_sub_co_u32_e32 v14, vcc, v20, v14
	v_subb_co_u32_e64 v20, s[0:1], v22, v23, vcc
	v_subrev_co_u32_e64 v22, s[0:1], s64, v14
	v_subbrev_co_u32_e64 v20, s[0:1], 0, v20, s[0:1]
	v_cmp_le_u32_e64 s[0:1], s65, v20
	v_cndmask_b32_e64 v23, 0, -1, s[0:1]
	v_cmp_le_u32_e64 s[0:1], s64, v22
	v_cndmask_b32_e64 v22, 0, -1, s[0:1]
	v_cmp_eq_u32_e64 s[0:1], s65, v20
	v_cndmask_b32_e64 v20, v23, v22, s[0:1]
	v_add_co_u32_e64 v22, s[0:1], 2, v18
	v_subb_co_u32_e32 v15, vcc, v21, v15, vcc
	v_addc_co_u32_e64 v23, s[0:1], 0, v19, s[0:1]
	v_cmp_le_u32_e32 vcc, s65, v15
	v_add_co_u32_e64 v24, s[0:1], 1, v18
	v_cndmask_b32_e64 v21, 0, -1, vcc
	v_cmp_le_u32_e32 vcc, s64, v14
	v_addc_co_u32_e64 v25, s[0:1], 0, v19, s[0:1]
	v_cndmask_b32_e64 v14, 0, -1, vcc
	v_cmp_eq_u32_e32 vcc, s65, v15
	v_cmp_ne_u32_e64 s[0:1], 0, v20
	v_cndmask_b32_e32 v14, v21, v14, vcc
	v_cndmask_b32_e64 v20, v25, v23, s[0:1]
	v_cmp_ne_u32_e32 vcc, 0, v14
	v_cndmask_b32_e64 v15, v24, v22, s[0:1]
	v_cndmask_b32_e32 v14, v19, v20, vcc
	v_cndmask_b32_e32 v15, v18, v15, vcc
	v_xor_b32_e32 v18, v14, v3
	v_xor_b32_e32 v14, v15, v3
	v_sub_co_u32_e32 v14, vcc, v14, v3
	v_subb_co_u32_e32 v15, vcc, v18, v3, vcc
.LBB7_27:                               ;   in Loop: Header=BB7_21 Depth=2
	s_andn2_saveexec_b64 s[0:1], s[60:61]
	s_cbranch_execz .LBB7_20
; %bb.28:                               ;   in Loop: Header=BB7_21 Depth=2
	v_cvt_f32_u32_e32 v3, s54
	s_sub_i32 s60, 0, s54
	v_rcp_iflag_f32_e32 v3, v3
	v_mul_f32_e32 v3, 0x4f7ffffe, v3
	v_cvt_u32_f32_e32 v3, v3
	v_mul_lo_u32 v14, s60, v3
	v_mul_hi_u32 v14, v3, v14
	v_add_u32_e32 v3, v3, v14
	v_mul_hi_u32 v3, v12, v3
	v_mul_lo_u32 v14, v3, s54
	v_add_u32_e32 v15, 1, v3
	v_sub_u32_e32 v14, v12, v14
	v_subrev_u32_e32 v18, s54, v14
	v_cmp_le_u32_e32 vcc, s54, v14
	v_cndmask_b32_e32 v14, v14, v18, vcc
	v_cndmask_b32_e32 v3, v3, v15, vcc
	v_add_u32_e32 v15, 1, v3
	v_cmp_le_u32_e32 vcc, s54, v14
	v_cndmask_b32_e32 v14, v3, v15, vcc
	v_mov_b32_e32 v15, v2
	s_branch .LBB7_20
.LBB7_29:                               ;   in Loop: Header=BB7_3 Depth=1
	v_sub_co_u32_e32 v10, vcc, v4, v16
	v_subb_co_u32_e32 v11, vcc, v5, v17, vcc
	v_cmp_ge_i64_e32 vcc, s[8:9], v[10:11]
	v_mov_b32_e32 v3, 0
	s_and_saveexec_b64 s[46:47], vcc
	s_cbranch_execz .LBB7_39
; %bb.30:                               ;   in Loop: Header=BB7_3 Depth=1
	v_cmp_gt_i64_e32 vcc, s[14:15], v[4:5]
	v_mov_b32_e32 v3, 0
	s_and_saveexec_b64 s[0:1], vcc
	s_cbranch_execz .LBB7_38
; %bb.31:                               ;   in Loop: Header=BB7_3 Depth=1
	v_mov_b32_e32 v3, s3
	v_add_co_u32_e32 v8, vcc, s2, v8
	v_addc_co_u32_e32 v9, vcc, v3, v9, vcc
	global_load_ubyte v3, v[8:9], off
	v_add_co_u32_e32 v12, vcc, 1, v4
	v_addc_co_u32_e32 v13, vcc, 0, v5, vcc
	v_cmp_gt_i64_e32 vcc, s[14:15], v[12:13]
	s_and_saveexec_b64 s[48:49], vcc
	s_xor_b64 s[48:49], exec, s[48:49]
	s_cbranch_execz .LBB7_37
; %bb.32:                               ;   in Loop: Header=BB7_3 Depth=1
	v_mov_b32_e32 v12, s19
	v_add_co_u32_e32 v8, vcc, s18, v8
	v_addc_co_u32_e32 v9, vcc, v9, v12, vcc
	global_load_ubyte v14, v[8:9], off
	v_add_co_u32_e32 v12, vcc, 2, v4
	v_addc_co_u32_e32 v13, vcc, 0, v5, vcc
	v_cmp_gt_i64_e32 vcc, s[14:15], v[12:13]
	s_waitcnt vmcnt(0)
	v_lshlrev_b16_e32 v14, 8, v14
	v_or_b32_e32 v3, v3, v14
	v_and_b32_e32 v3, 0xffff, v3
	s_and_saveexec_b64 s[50:51], vcc
	s_xor_b64 s[50:51], exec, s[50:51]
	s_cbranch_execz .LBB7_36
; %bb.33:                               ;   in Loop: Header=BB7_3 Depth=1
	v_mov_b32_e32 v12, s19
	v_add_co_u32_e32 v8, vcc, s18, v8
	v_addc_co_u32_e32 v9, vcc, v9, v12, vcc
	global_load_ubyte v14, v[8:9], off
	v_add_co_u32_e32 v12, vcc, 3, v4
	v_addc_co_u32_e32 v13, vcc, 0, v5, vcc
	v_cmp_gt_i64_e32 vcc, s[14:15], v[12:13]
	s_waitcnt vmcnt(0)
	v_lshl_or_b32 v3, v14, 16, v3
	s_and_saveexec_b64 s[52:53], vcc
	s_xor_b64 s[52:53], exec, s[52:53]
	s_cbranch_execz .LBB7_35
; %bb.34:                               ;   in Loop: Header=BB7_3 Depth=1
	v_mov_b32_e32 v12, s19
	v_add_co_u32_e32 v8, vcc, s18, v8
	v_addc_co_u32_e32 v9, vcc, v9, v12, vcc
	global_load_ubyte v8, v[8:9], off
	s_waitcnt vmcnt(0)
	v_lshlrev_b16_e32 v8, 8, v8
	v_or_b32_sdwa v8, v3, v8 dst_sel:WORD_1 dst_unused:UNUSED_PAD src0_sel:WORD_1 src1_sel:DWORD
	v_and_or_b32 v3, v3, s33, v8
.LBB7_35:                               ;   in Loop: Header=BB7_3 Depth=1
	s_or_b64 exec, exec, s[52:53]
.LBB7_36:                               ;   in Loop: Header=BB7_3 Depth=1
	s_or_b64 exec, exec, s[50:51]
.LBB7_37:                               ;   in Loop: Header=BB7_3 Depth=1
	s_or_b64 exec, exec, s[48:49]
.LBB7_38:                               ;   in Loop: Header=BB7_3 Depth=1
	s_or_b64 exec, exec, s[0:1]
	v_add_co_u32_e32 v8, vcc, 1, v10
	v_addc_co_u32_e32 v9, vcc, 0, v11, vcc
	v_cmp_ge_i64_e32 vcc, s[8:9], v[8:9]
	s_waitcnt vmcnt(0)
	v_lshrrev_b32_e32 v8, 8, v3
	v_cndmask_b32_sdwa v8, v2, v8, vcc dst_sel:BYTE_1 dst_unused:UNUSED_PAD src0_sel:DWORD src1_sel:DWORD
	v_or_b32_sdwa v12, v3, v8 dst_sel:DWORD dst_unused:UNUSED_PAD src0_sel:BYTE_0 src1_sel:DWORD
	v_add_co_u32_e32 v8, vcc, 2, v10
	v_addc_co_u32_e32 v9, vcc, 0, v11, vcc
	v_add_co_u32_e32 v10, vcc, 3, v10
	v_addc_co_u32_e32 v11, vcc, 0, v11, vcc
	v_cmp_ge_i64_e32 vcc, s[34:35], v[10:11]
	v_cmp_ge_i64_e64 s[0:1], s[30:31], v[8:9]
	v_cndmask_b32_sdwa v8, v2, v3, vcc dst_sel:BYTE_1 dst_unused:UNUSED_PAD src0_sel:DWORD src1_sel:BYTE_3
	s_mov_b64 vcc, s[0:1]
	v_cndmask_b32_sdwa v3, v2, v3, vcc dst_sel:DWORD dst_unused:UNUSED_PAD src0_sel:DWORD src1_sel:WORD_1
	v_or_b32_sdwa v3, v3, v8 dst_sel:WORD_1 dst_unused:UNUSED_PAD src0_sel:BYTE_0 src1_sel:DWORD
	v_or_b32_sdwa v3, v12, v3 dst_sel:DWORD dst_unused:UNUSED_PAD src0_sel:WORD_0 src1_sel:DWORD
.LBB7_39:                               ;   in Loop: Header=BB7_3 Depth=1
	s_or_b64 exec, exec, s[46:47]
	v_cmp_gt_i64_e32 vcc, s[14:15], v[4:5]
	s_and_saveexec_b64 s[0:1], vcc
	s_cbranch_execz .LBB7_2
; %bb.40:                               ;   in Loop: Header=BB7_3 Depth=1
	v_mov_b32_e32 v8, s29
	v_add_co_u32_e32 v6, vcc, s28, v6
	v_addc_co_u32_e32 v7, vcc, v8, v7, vcc
	v_add_co_u32_e32 v8, vcc, 1, v4
	v_addc_co_u32_e32 v9, vcc, 0, v5, vcc
	v_cmp_gt_i64_e32 vcc, s[14:15], v[8:9]
	global_store_byte v[6:7], v3, off
	s_and_saveexec_b64 s[46:47], vcc
	s_xor_b64 s[46:47], exec, s[46:47]
	s_cbranch_execz .LBB7_2
; %bb.41:                               ;   in Loop: Header=BB7_3 Depth=1
	v_mov_b32_e32 v8, s23
	v_add_co_u32_e32 v6, vcc, s22, v6
	v_addc_co_u32_e32 v7, vcc, v7, v8, vcc
	v_add_co_u32_e32 v8, vcc, 2, v4
	v_addc_co_u32_e32 v9, vcc, 0, v5, vcc
	v_cmp_gt_i64_e32 vcc, s[14:15], v[8:9]
	v_lshrrev_b32_e32 v10, 8, v3
	global_store_byte v[6:7], v10, off
	s_and_saveexec_b64 s[46:47], vcc
	s_xor_b64 s[46:47], exec, s[46:47]
	s_cbranch_execz .LBB7_2
; %bb.42:                               ;   in Loop: Header=BB7_3 Depth=1
	v_mov_b32_e32 v8, s23
	v_add_co_u32_e32 v6, vcc, s22, v6
	v_addc_co_u32_e32 v7, vcc, v7, v8, vcc
	v_add_co_u32_e32 v4, vcc, 3, v4
	v_addc_co_u32_e32 v5, vcc, 0, v5, vcc
	v_cmp_gt_i64_e32 vcc, s[14:15], v[4:5]
	global_store_byte_d16_hi v[6:7], v3, off
	s_and_saveexec_b64 s[46:47], vcc
	s_xor_b64 s[46:47], exec, s[46:47]
	s_cbranch_execz .LBB7_2
; %bb.43:                               ;   in Loop: Header=BB7_3 Depth=1
	v_lshrrev_b32_e32 v5, 24, v3
	v_mov_b32_e32 v4, s23
	v_add_co_u32_e32 v3, vcc, s22, v6
	v_addc_co_u32_e32 v4, vcc, v7, v4, vcc
	global_store_byte v[3:4], v5, off
	s_branch .LBB7_2
.LBB7_44:
	s_endpgm
	.section	.rodata,"a",@progbits
	.p2align	6, 0x0
	.amdhsa_kernel _ZN2at6native16triu_tril_kernelIalLb0ELi4ELb0EEEvNS_4cuda6detail10TensorInfoIT_T0_EENS4_IKS5_S6_EEllS6_
		.amdhsa_group_segment_fixed_size 0
		.amdhsa_private_segment_fixed_size 0
		.amdhsa_kernarg_size 1112
		.amdhsa_user_sgpr_count 6
		.amdhsa_user_sgpr_private_segment_buffer 1
		.amdhsa_user_sgpr_dispatch_ptr 0
		.amdhsa_user_sgpr_queue_ptr 0
		.amdhsa_user_sgpr_kernarg_segment_ptr 1
		.amdhsa_user_sgpr_dispatch_id 0
		.amdhsa_user_sgpr_flat_scratch_init 0
		.amdhsa_user_sgpr_private_segment_size 0
		.amdhsa_uses_dynamic_stack 0
		.amdhsa_system_sgpr_private_segment_wavefront_offset 0
		.amdhsa_system_sgpr_workgroup_id_x 1
		.amdhsa_system_sgpr_workgroup_id_y 0
		.amdhsa_system_sgpr_workgroup_id_z 0
		.amdhsa_system_sgpr_workgroup_info 0
		.amdhsa_system_vgpr_workitem_id 0
		.amdhsa_next_free_vgpr 26
		.amdhsa_next_free_sgpr 78
		.amdhsa_reserve_vcc 1
		.amdhsa_reserve_flat_scratch 0
		.amdhsa_float_round_mode_32 0
		.amdhsa_float_round_mode_16_64 0
		.amdhsa_float_denorm_mode_32 3
		.amdhsa_float_denorm_mode_16_64 3
		.amdhsa_dx10_clamp 1
		.amdhsa_ieee_mode 1
		.amdhsa_fp16_overflow 0
		.amdhsa_exception_fp_ieee_invalid_op 0
		.amdhsa_exception_fp_denorm_src 0
		.amdhsa_exception_fp_ieee_div_zero 0
		.amdhsa_exception_fp_ieee_overflow 0
		.amdhsa_exception_fp_ieee_underflow 0
		.amdhsa_exception_fp_ieee_inexact 0
		.amdhsa_exception_int_div_zero 0
	.end_amdhsa_kernel
	.section	.text._ZN2at6native16triu_tril_kernelIalLb0ELi4ELb0EEEvNS_4cuda6detail10TensorInfoIT_T0_EENS4_IKS5_S6_EEllS6_,"axG",@progbits,_ZN2at6native16triu_tril_kernelIalLb0ELi4ELb0EEEvNS_4cuda6detail10TensorInfoIT_T0_EENS4_IKS5_S6_EEllS6_,comdat
.Lfunc_end7:
	.size	_ZN2at6native16triu_tril_kernelIalLb0ELi4ELb0EEEvNS_4cuda6detail10TensorInfoIT_T0_EENS4_IKS5_S6_EEllS6_, .Lfunc_end7-_ZN2at6native16triu_tril_kernelIalLb0ELi4ELb0EEEvNS_4cuda6detail10TensorInfoIT_T0_EENS4_IKS5_S6_EEllS6_
                                        ; -- End function
	.set _ZN2at6native16triu_tril_kernelIalLb0ELi4ELb0EEEvNS_4cuda6detail10TensorInfoIT_T0_EENS4_IKS5_S6_EEllS6_.num_vgpr, 26
	.set _ZN2at6native16triu_tril_kernelIalLb0ELi4ELb0EEEvNS_4cuda6detail10TensorInfoIT_T0_EENS4_IKS5_S6_EEllS6_.num_agpr, 0
	.set _ZN2at6native16triu_tril_kernelIalLb0ELi4ELb0EEEvNS_4cuda6detail10TensorInfoIT_T0_EENS4_IKS5_S6_EEllS6_.numbered_sgpr, 78
	.set _ZN2at6native16triu_tril_kernelIalLb0ELi4ELb0EEEvNS_4cuda6detail10TensorInfoIT_T0_EENS4_IKS5_S6_EEllS6_.num_named_barrier, 0
	.set _ZN2at6native16triu_tril_kernelIalLb0ELi4ELb0EEEvNS_4cuda6detail10TensorInfoIT_T0_EENS4_IKS5_S6_EEllS6_.private_seg_size, 0
	.set _ZN2at6native16triu_tril_kernelIalLb0ELi4ELb0EEEvNS_4cuda6detail10TensorInfoIT_T0_EENS4_IKS5_S6_EEllS6_.uses_vcc, 1
	.set _ZN2at6native16triu_tril_kernelIalLb0ELi4ELb0EEEvNS_4cuda6detail10TensorInfoIT_T0_EENS4_IKS5_S6_EEllS6_.uses_flat_scratch, 0
	.set _ZN2at6native16triu_tril_kernelIalLb0ELi4ELb0EEEvNS_4cuda6detail10TensorInfoIT_T0_EENS4_IKS5_S6_EEllS6_.has_dyn_sized_stack, 0
	.set _ZN2at6native16triu_tril_kernelIalLb0ELi4ELb0EEEvNS_4cuda6detail10TensorInfoIT_T0_EENS4_IKS5_S6_EEllS6_.has_recursion, 0
	.set _ZN2at6native16triu_tril_kernelIalLb0ELi4ELb0EEEvNS_4cuda6detail10TensorInfoIT_T0_EENS4_IKS5_S6_EEllS6_.has_indirect_call, 0
	.section	.AMDGPU.csdata,"",@progbits
; Kernel info:
; codeLenInByte = 5304
; TotalNumSgprs: 82
; NumVgprs: 26
; ScratchSize: 0
; MemoryBound: 0
; FloatMode: 240
; IeeeMode: 1
; LDSByteSize: 0 bytes/workgroup (compile time only)
; SGPRBlocks: 10
; VGPRBlocks: 6
; NumSGPRsForWavesPerEU: 82
; NumVGPRsForWavesPerEU: 26
; Occupancy: 9
; WaveLimiterHint : 0
; COMPUTE_PGM_RSRC2:SCRATCH_EN: 0
; COMPUTE_PGM_RSRC2:USER_SGPR: 6
; COMPUTE_PGM_RSRC2:TRAP_HANDLER: 0
; COMPUTE_PGM_RSRC2:TGID_X_EN: 1
; COMPUTE_PGM_RSRC2:TGID_Y_EN: 0
; COMPUTE_PGM_RSRC2:TGID_Z_EN: 0
; COMPUTE_PGM_RSRC2:TIDIG_COMP_CNT: 0
	.section	.text._ZN2at6native16triu_tril_kernelIiiLb0ELi2ELb1EEEvNS_4cuda6detail10TensorInfoIT_T0_EENS4_IKS5_S6_EEllS6_,"axG",@progbits,_ZN2at6native16triu_tril_kernelIiiLb0ELi2ELb1EEEvNS_4cuda6detail10TensorInfoIT_T0_EENS4_IKS5_S6_EEllS6_,comdat
	.protected	_ZN2at6native16triu_tril_kernelIiiLb0ELi2ELb1EEEvNS_4cuda6detail10TensorInfoIT_T0_EENS4_IKS5_S6_EEllS6_ ; -- Begin function _ZN2at6native16triu_tril_kernelIiiLb0ELi2ELb1EEEvNS_4cuda6detail10TensorInfoIT_T0_EENS4_IKS5_S6_EEllS6_
	.globl	_ZN2at6native16triu_tril_kernelIiiLb0ELi2ELb1EEEvNS_4cuda6detail10TensorInfoIT_T0_EENS4_IKS5_S6_EEllS6_
	.p2align	8
	.type	_ZN2at6native16triu_tril_kernelIiiLb0ELi2ELb1EEEvNS_4cuda6detail10TensorInfoIT_T0_EENS4_IKS5_S6_EEllS6_,@function
_ZN2at6native16triu_tril_kernelIiiLb0ELi2ELb1EEEvNS_4cuda6detail10TensorInfoIT_T0_EENS4_IKS5_S6_EEllS6_: ; @_ZN2at6native16triu_tril_kernelIiiLb0ELi2ELb1EEEvNS_4cuda6detail10TensorInfoIT_T0_EENS4_IKS5_S6_EEllS6_
; %bb.0:
	s_load_dword s2, s[4:5], 0x1d4
	s_load_dwordx4 s[8:11], s[4:5], 0x1b0
	s_add_u32 s0, s4, 0x1c8
	v_mov_b32_e32 v2, 0
	s_addc_u32 s1, s5, 0
	s_waitcnt lgkmcnt(0)
	s_and_b32 s7, s2, 0xffff
	v_mov_b32_e32 v1, v2
	v_mov_b32_e32 v3, s6
	v_mad_u64_u32 v[0:1], s[2:3], s7, v3, v[0:1]
	v_lshlrev_b64 v[0:1], 1, v[0:1]
	v_cmp_gt_i64_e32 vcc, s[10:11], v[0:1]
	s_and_saveexec_b64 s[2:3], vcc
	s_cbranch_execz .LBB8_63
; %bb.1:
	s_load_dword s33, s[4:5], 0x1c0
	s_load_dword s16, s[4:5], 0x1a8
	s_add_u32 s42, s4, 0xd8
	s_addc_u32 s43, s5, 0
	s_load_dword s6, s[0:1], 0x0
	s_waitcnt lgkmcnt(0)
	s_ashr_i32 s44, s33, 31
	s_ashr_i32 s17, s16, 31
	s_lshl_b64 s[0:1], s[16:17], 2
	s_add_u32 s2, s42, s0
	s_addc_u32 s3, s43, s1
	s_load_dword s45, s[2:3], 0x0
	s_load_dwordx2 s[12:13], s[4:5], 0x0
	s_mul_i32 s18, s6, s7
	v_cmp_gt_i64_e64 s[6:7], s[16:17], 2
	s_mov_b32 s17, 0
	s_waitcnt lgkmcnt(0)
	s_ashr_i32 s46, s45, 31
	s_add_u32 s14, s4, s0
	s_addc_u32 s15, s5, s1
	s_add_i32 s0, s16, 6
	s_add_i32 s47, s16, -3
	s_lshl_b32 s48, s18, 1
	s_and_b32 s49, s0, 7
	s_and_b32 s0, s16, 7
	s_cmp_lg_u32 s0, 2
	s_cselect_b64 s[18:19], -1, 0
	s_cmp_gt_u32 s47, 6
	s_cselect_b64 s[20:21], -1, 0
	s_mov_b64 s[22:23], 0
	s_ashr_i32 s24, s44, 31
	s_branch .LBB8_3
.LBB8_2:                                ;   in Loop: Header=BB8_3 Depth=1
	s_or_b64 exec, exec, s[26:27]
	v_add_co_u32_e32 v0, vcc, s48, v0
	v_addc_co_u32_e32 v1, vcc, 0, v1, vcc
	v_cmp_le_i64_e32 vcc, s[10:11], v[0:1]
	s_or_b64 s[22:23], vcc, s[22:23]
	s_andn2_b64 exec, exec, s[22:23]
	s_cbranch_execz .LBB8_63
.LBB8_3:                                ; =>This Loop Header: Depth=1
                                        ;     Child Loop BB8_14 Depth 2
                                        ;     Child Loop BB8_23 Depth 2
	v_or_b32_e32 v3, s44, v1
	v_cmp_ne_u64_e32 vcc, 0, v[2:3]
                                        ; implicit-def: $vgpr4_vgpr5
	s_and_saveexec_b64 s[0:1], vcc
	s_xor_b64 s[26:27], exec, s[0:1]
	s_cbranch_execz .LBB8_5
; %bb.4:                                ;   in Loop: Header=BB8_3 Depth=1
	s_add_u32 s0, s33, s24
	s_mov_b32 s25, s24
	s_addc_u32 s1, s44, s24
	s_xor_b64 s[28:29], s[0:1], s[24:25]
	v_cvt_f32_u32_e32 v3, s28
	v_cvt_f32_u32_e32 v4, s29
	s_sub_u32 s16, 0, s28
	s_subb_u32 s25, 0, s29
	v_ashrrev_i32_e32 v7, 31, v1
	v_mac_f32_e32 v3, 0x4f800000, v4
	v_rcp_f32_e32 v3, v3
	v_mul_f32_e32 v3, 0x5f7ffffc, v3
	v_mul_f32_e32 v4, 0x2f800000, v3
	v_trunc_f32_e32 v4, v4
	v_mac_f32_e32 v3, 0xcf800000, v4
	v_cvt_u32_f32_e32 v4, v4
	v_cvt_u32_f32_e32 v3, v3
	v_readfirstlane_b32 s30, v4
	v_readfirstlane_b32 s0, v3
	s_mul_i32 s1, s16, s30
	s_mul_hi_u32 s34, s16, s0
	s_mul_i32 s31, s25, s0
	s_add_i32 s1, s34, s1
	s_add_i32 s1, s1, s31
	s_mul_i32 s35, s16, s0
	s_mul_i32 s34, s0, s1
	s_mul_hi_u32 s36, s0, s35
	s_mul_hi_u32 s31, s0, s1
	s_add_u32 s34, s36, s34
	s_addc_u32 s31, 0, s31
	s_mul_hi_u32 s37, s30, s35
	s_mul_i32 s35, s30, s35
	s_add_u32 s34, s34, s35
	s_mul_hi_u32 s36, s30, s1
	s_addc_u32 s31, s31, s37
	s_addc_u32 s34, s36, 0
	s_mul_i32 s1, s30, s1
	s_add_u32 s1, s31, s1
	s_addc_u32 s31, 0, s34
	s_add_u32 s34, s0, s1
	s_cselect_b64 s[0:1], -1, 0
	s_cmp_lg_u64 s[0:1], 0
	s_addc_u32 s30, s30, s31
	s_mul_i32 s0, s16, s30
	s_mul_hi_u32 s1, s16, s34
	s_add_i32 s0, s1, s0
	s_mul_i32 s25, s25, s34
	s_add_i32 s0, s0, s25
	s_mul_i32 s16, s16, s34
	s_mul_hi_u32 s25, s30, s16
	s_mul_i32 s31, s30, s16
	s_mul_i32 s36, s34, s0
	s_mul_hi_u32 s16, s34, s16
	s_mul_hi_u32 s35, s34, s0
	s_add_u32 s16, s16, s36
	s_addc_u32 s35, 0, s35
	s_add_u32 s16, s16, s31
	s_mul_hi_u32 s1, s30, s0
	s_addc_u32 s16, s35, s25
	s_addc_u32 s1, s1, 0
	s_mul_i32 s0, s30, s0
	s_add_u32 s0, s16, s0
	s_addc_u32 s16, 0, s1
	s_add_u32 s25, s34, s0
	s_cselect_b64 s[0:1], -1, 0
	s_cmp_lg_u64 s[0:1], 0
	v_add_co_u32_e32 v3, vcc, v0, v7
	s_addc_u32 s16, s30, s16
	v_xor_b32_e32 v8, v3, v7
	v_mad_u64_u32 v[3:4], s[0:1], v8, s16, 0
	v_mul_hi_u32 v6, v8, s25
	v_addc_co_u32_e32 v5, vcc, v1, v7, vcc
	v_xor_b32_e32 v9, v5, v7
	v_add_co_u32_e32 v10, vcc, v6, v3
	v_addc_co_u32_e32 v11, vcc, 0, v4, vcc
	v_mad_u64_u32 v[3:4], s[0:1], v9, s25, 0
	v_mad_u64_u32 v[5:6], s[0:1], v9, s16, 0
	v_add_co_u32_e32 v3, vcc, v10, v3
	v_addc_co_u32_e32 v3, vcc, v11, v4, vcc
	v_addc_co_u32_e32 v4, vcc, 0, v6, vcc
	v_add_co_u32_e32 v5, vcc, v3, v5
	v_addc_co_u32_e32 v6, vcc, 0, v4, vcc
	v_mul_lo_u32 v10, s29, v5
	v_mul_lo_u32 v11, s28, v6
	v_mad_u64_u32 v[3:4], s[0:1], s28, v5, 0
	v_add3_u32 v4, v4, v11, v10
	v_sub_u32_e32 v10, v9, v4
	v_mov_b32_e32 v11, s29
	v_sub_co_u32_e32 v3, vcc, v8, v3
	v_subb_co_u32_e64 v8, s[0:1], v10, v11, vcc
	v_subrev_co_u32_e64 v10, s[0:1], s28, v3
	v_subbrev_co_u32_e64 v8, s[0:1], 0, v8, s[0:1]
	v_cmp_le_u32_e64 s[0:1], s29, v8
	v_cndmask_b32_e64 v11, 0, -1, s[0:1]
	v_cmp_le_u32_e64 s[0:1], s28, v10
	v_cndmask_b32_e64 v10, 0, -1, s[0:1]
	v_cmp_eq_u32_e64 s[0:1], s29, v8
	v_cndmask_b32_e64 v8, v11, v10, s[0:1]
	v_add_co_u32_e64 v10, s[0:1], 2, v5
	v_subb_co_u32_e32 v4, vcc, v9, v4, vcc
	v_addc_co_u32_e64 v11, s[0:1], 0, v6, s[0:1]
	v_cmp_le_u32_e32 vcc, s29, v4
	v_add_co_u32_e64 v12, s[0:1], 1, v5
	v_cndmask_b32_e64 v9, 0, -1, vcc
	v_cmp_le_u32_e32 vcc, s28, v3
	v_addc_co_u32_e64 v13, s[0:1], 0, v6, s[0:1]
	v_cndmask_b32_e64 v3, 0, -1, vcc
	v_cmp_eq_u32_e32 vcc, s29, v4
	v_cmp_ne_u32_e64 s[0:1], 0, v8
	v_cndmask_b32_e32 v3, v9, v3, vcc
	v_cmp_ne_u32_e32 vcc, 0, v3
	v_cndmask_b32_e64 v4, v12, v10, s[0:1]
	v_cndmask_b32_e64 v8, v13, v11, s[0:1]
	v_cndmask_b32_e32 v4, v5, v4, vcc
	v_xor_b32_e32 v5, s24, v7
	v_cndmask_b32_e32 v3, v6, v8, vcc
	v_xor_b32_e32 v4, v4, v5
	v_xor_b32_e32 v3, v3, v5
	v_sub_co_u32_e32 v4, vcc, v4, v5
	v_subb_co_u32_e32 v5, vcc, v3, v5, vcc
.LBB8_5:                                ;   in Loop: Header=BB8_3 Depth=1
	s_andn2_saveexec_b64 s[0:1], s[26:27]
	s_cbranch_execz .LBB8_7
; %bb.6:                                ;   in Loop: Header=BB8_3 Depth=1
	v_cvt_f32_u32_e32 v3, s33
	s_sub_i32 s16, 0, s33
	v_rcp_iflag_f32_e32 v3, v3
	v_mul_f32_e32 v3, 0x4f7ffffe, v3
	v_cvt_u32_f32_e32 v3, v3
	v_mul_lo_u32 v4, s16, v3
	v_mul_hi_u32 v4, v3, v4
	v_add_u32_e32 v3, v3, v4
	v_mul_hi_u32 v3, v0, v3
	v_mul_lo_u32 v4, v3, s33
	v_add_u32_e32 v5, 1, v3
	v_sub_u32_e32 v4, v0, v4
	v_subrev_u32_e32 v6, s33, v4
	v_cmp_le_u32_e32 vcc, s33, v4
	v_cndmask_b32_e32 v4, v4, v6, vcc
	v_cndmask_b32_e32 v3, v3, v5, vcc
	v_add_u32_e32 v5, 1, v3
	v_cmp_le_u32_e32 vcc, s33, v4
	v_cndmask_b32_e32 v4, v3, v5, vcc
	v_mov_b32_e32 v5, v2
.LBB8_7:                                ;   in Loop: Header=BB8_3 Depth=1
	s_or_b64 exec, exec, s[0:1]
	v_or_b32_e32 v3, s46, v5
	v_cmp_ne_u64_e32 vcc, 0, v[2:3]
                                        ; implicit-def: $vgpr8_vgpr9
	s_and_saveexec_b64 s[0:1], vcc
	s_xor_b64 s[26:27], exec, s[0:1]
	s_cbranch_execz .LBB8_9
; %bb.8:                                ;   in Loop: Header=BB8_3 Depth=1
	s_ashr_i32 s28, s46, 31
	s_add_u32 s0, s45, s28
	s_mov_b32 s29, s28
	s_addc_u32 s1, s46, s28
	s_xor_b64 s[30:31], s[0:1], s[28:29]
	v_cvt_f32_u32_e32 v3, s30
	v_cvt_f32_u32_e32 v6, s31
	s_sub_u32 s16, 0, s30
	s_subb_u32 s25, 0, s31
	v_mac_f32_e32 v3, 0x4f800000, v6
	v_rcp_f32_e32 v3, v3
	v_mul_f32_e32 v3, 0x5f7ffffc, v3
	v_mul_f32_e32 v6, 0x2f800000, v3
	v_trunc_f32_e32 v6, v6
	v_mac_f32_e32 v3, 0xcf800000, v6
	v_cvt_u32_f32_e32 v6, v6
	v_cvt_u32_f32_e32 v3, v3
	v_readfirstlane_b32 s29, v6
	v_readfirstlane_b32 s0, v3
	s_mul_i32 s1, s16, s29
	s_mul_hi_u32 s35, s16, s0
	s_mul_i32 s34, s25, s0
	s_add_i32 s1, s35, s1
	s_add_i32 s1, s1, s34
	s_mul_i32 s36, s16, s0
	s_mul_i32 s35, s0, s1
	s_mul_hi_u32 s37, s0, s36
	s_mul_hi_u32 s34, s0, s1
	s_add_u32 s35, s37, s35
	s_addc_u32 s34, 0, s34
	s_mul_hi_u32 s38, s29, s36
	s_mul_i32 s36, s29, s36
	s_add_u32 s35, s35, s36
	s_mul_hi_u32 s37, s29, s1
	s_addc_u32 s34, s34, s38
	s_addc_u32 s35, s37, 0
	s_mul_i32 s1, s29, s1
	s_add_u32 s1, s34, s1
	s_addc_u32 s34, 0, s35
	s_add_u32 s35, s0, s1
	s_cselect_b64 s[0:1], -1, 0
	s_cmp_lg_u64 s[0:1], 0
	s_addc_u32 s29, s29, s34
	s_mul_i32 s0, s16, s29
	s_mul_hi_u32 s1, s16, s35
	s_add_i32 s0, s1, s0
	s_mul_i32 s25, s25, s35
	s_add_i32 s0, s0, s25
	s_mul_i32 s16, s16, s35
	s_mul_hi_u32 s25, s29, s16
	s_mul_i32 s34, s29, s16
	s_mul_i32 s37, s35, s0
	s_mul_hi_u32 s16, s35, s16
	s_mul_hi_u32 s36, s35, s0
	s_add_u32 s16, s16, s37
	s_addc_u32 s36, 0, s36
	s_add_u32 s16, s16, s34
	s_mul_hi_u32 s1, s29, s0
	s_addc_u32 s16, s36, s25
	s_addc_u32 s1, s1, 0
	s_mul_i32 s0, s29, s0
	s_add_u32 s0, s16, s0
	s_addc_u32 s16, 0, s1
	s_add_u32 s25, s35, s0
	s_cselect_b64 s[0:1], -1, 0
	v_ashrrev_i32_e32 v3, 31, v5
	s_cmp_lg_u64 s[0:1], 0
	v_add_co_u32_e32 v6, vcc, v4, v3
	s_addc_u32 s16, s29, s16
	v_xor_b32_e32 v9, v6, v3
	v_addc_co_u32_e32 v7, vcc, v5, v3, vcc
	v_mad_u64_u32 v[5:6], s[0:1], v9, s16, 0
	v_mul_hi_u32 v8, v9, s25
	v_xor_b32_e32 v10, v7, v3
	v_xor_b32_e32 v3, s28, v3
	v_add_co_u32_e32 v11, vcc, v8, v5
	v_addc_co_u32_e32 v12, vcc, 0, v6, vcc
	v_mad_u64_u32 v[5:6], s[0:1], v10, s25, 0
	v_mad_u64_u32 v[7:8], s[0:1], v10, s16, 0
	v_add_co_u32_e32 v5, vcc, v11, v5
	v_addc_co_u32_e32 v5, vcc, v12, v6, vcc
	v_addc_co_u32_e32 v6, vcc, 0, v8, vcc
	v_add_co_u32_e32 v7, vcc, v5, v7
	v_addc_co_u32_e32 v8, vcc, 0, v6, vcc
	v_mul_lo_u32 v11, s31, v7
	v_mul_lo_u32 v12, s30, v8
	v_mad_u64_u32 v[5:6], s[0:1], s30, v7, 0
	v_add3_u32 v6, v6, v12, v11
	v_sub_u32_e32 v11, v10, v6
	v_mov_b32_e32 v12, s31
	v_sub_co_u32_e32 v5, vcc, v9, v5
	v_subb_co_u32_e64 v9, s[0:1], v11, v12, vcc
	v_subrev_co_u32_e64 v11, s[0:1], s30, v5
	v_subbrev_co_u32_e64 v9, s[0:1], 0, v9, s[0:1]
	v_cmp_le_u32_e64 s[0:1], s31, v9
	v_cndmask_b32_e64 v12, 0, -1, s[0:1]
	v_cmp_le_u32_e64 s[0:1], s30, v11
	v_cndmask_b32_e64 v11, 0, -1, s[0:1]
	v_cmp_eq_u32_e64 s[0:1], s31, v9
	v_cndmask_b32_e64 v9, v12, v11, s[0:1]
	v_add_co_u32_e64 v11, s[0:1], 2, v7
	v_subb_co_u32_e32 v6, vcc, v10, v6, vcc
	v_addc_co_u32_e64 v12, s[0:1], 0, v8, s[0:1]
	v_cmp_le_u32_e32 vcc, s31, v6
	v_add_co_u32_e64 v13, s[0:1], 1, v7
	v_cndmask_b32_e64 v10, 0, -1, vcc
	v_cmp_le_u32_e32 vcc, s30, v5
	v_addc_co_u32_e64 v14, s[0:1], 0, v8, s[0:1]
	v_cndmask_b32_e64 v5, 0, -1, vcc
	v_cmp_eq_u32_e32 vcc, s31, v6
	v_cmp_ne_u32_e64 s[0:1], 0, v9
	v_cndmask_b32_e32 v5, v10, v5, vcc
	v_cmp_ne_u32_e32 vcc, 0, v5
	v_cndmask_b32_e64 v6, v13, v11, s[0:1]
	v_cndmask_b32_e64 v9, v14, v12, s[0:1]
	v_cndmask_b32_e32 v6, v7, v6, vcc
	v_cndmask_b32_e32 v5, v8, v9, vcc
	v_xor_b32_e32 v6, v6, v3
	v_xor_b32_e32 v5, v5, v3
	v_sub_co_u32_e32 v8, vcc, v6, v3
	v_subb_co_u32_e32 v9, vcc, v5, v3, vcc
.LBB8_9:                                ;   in Loop: Header=BB8_3 Depth=1
	s_andn2_saveexec_b64 s[0:1], s[26:27]
	s_cbranch_execz .LBB8_11
; %bb.10:                               ;   in Loop: Header=BB8_3 Depth=1
	v_cvt_f32_u32_e32 v3, s45
	s_sub_i32 s16, 0, s45
	v_mov_b32_e32 v9, v2
	v_rcp_iflag_f32_e32 v3, v3
	v_mul_f32_e32 v3, 0x4f7ffffe, v3
	v_cvt_u32_f32_e32 v3, v3
	v_mul_lo_u32 v5, s16, v3
	v_mul_hi_u32 v5, v3, v5
	v_add_u32_e32 v3, v3, v5
	v_mul_hi_u32 v3, v4, v3
	v_mul_lo_u32 v5, v3, s45
	v_add_u32_e32 v6, 1, v3
	v_sub_u32_e32 v5, v4, v5
	v_subrev_u32_e32 v7, s45, v5
	v_cmp_le_u32_e32 vcc, s45, v5
	v_cndmask_b32_e32 v5, v5, v7, vcc
	v_cndmask_b32_e32 v3, v3, v6, vcc
	v_add_u32_e32 v6, 1, v3
	v_cmp_le_u32_e32 vcc, s45, v5
	v_cndmask_b32_e32 v8, v3, v6, vcc
.LBB8_11:                               ;   in Loop: Header=BB8_3 Depth=1
	s_or_b64 exec, exec, s[0:1]
	v_mad_u64_u32 v[5:6], s[0:1], v4, s33, 0
	v_mad_u64_u32 v[6:7], s[0:1], v8, s45, 0
	v_sub_co_u32_e32 v27, vcc, v0, v5
	v_sub_co_u32_e32 v26, vcc, v4, v6
	v_sub_u32_e32 v4, v27, v26
	v_add_u32_e32 v5, 2, v4
	v_ashrrev_i32_e32 v6, 31, v5
	v_cmp_lt_i64_e32 vcc, s[8:9], v[5:6]
	s_and_saveexec_b64 s[26:27], vcc
	s_cbranch_execz .LBB8_2
; %bb.12:                               ;   in Loop: Header=BB8_3 Depth=1
	s_load_dwordx2 s[28:29], s[14:15], 0x64
	s_andn2_b64 vcc, exec, s[6:7]
	s_waitcnt lgkmcnt(0)
	v_mul_lo_u32 v3, s29, v27
	v_mad_u64_u32 v[6:7], s[0:1], s28, v26, v[3:4]
	s_cbranch_vccnz .LBB8_57
; %bb.13:                               ;   in Loop: Header=BB8_3 Depth=1
	s_andn2_b64 vcc, exec, s[18:19]
	s_mov_b32 s25, s49
	s_mov_b32 s16, s47
	s_mov_b32 s0, s47
	s_cbranch_vccnz .LBB8_21
.LBB8_14:                               ;   Parent Loop BB8_3 Depth=1
                                        ; =>  This Inner Loop Header: Depth=2
	s_lshl_b64 s[30:31], s[16:17], 2
	s_add_u32 s0, s42, s30
	s_addc_u32 s1, s43, s31
	s_load_dword s28, s[0:1], 0x8
                                        ; implicit-def: $vgpr10_vgpr11
	s_waitcnt lgkmcnt(0)
	s_ashr_i32 s0, s28, 31
	v_or_b32_e32 v3, s0, v9
	v_cmp_ne_u64_e32 vcc, 0, v[2:3]
	s_and_saveexec_b64 s[34:35], vcc
	s_xor_b64 s[34:35], exec, s[34:35]
	s_cbranch_execz .LBB8_16
; %bb.15:                               ;   in Loop: Header=BB8_14 Depth=2
	s_ashr_i32 s36, s0, 31
	s_add_u32 s38, s28, s36
	s_mov_b32 s37, s36
	s_addc_u32 s39, s0, s36
	s_xor_b64 s[38:39], s[38:39], s[36:37]
	v_cvt_f32_u32_e32 v3, s38
	v_cvt_f32_u32_e32 v5, s39
	s_sub_u32 s37, 0, s38
	s_subb_u32 s40, 0, s39
	v_mac_f32_e32 v3, 0x4f800000, v5
	v_rcp_f32_e32 v3, v3
	v_mul_f32_e32 v3, 0x5f7ffffc, v3
	v_mul_f32_e32 v5, 0x2f800000, v3
	v_trunc_f32_e32 v5, v5
	v_mac_f32_e32 v3, 0xcf800000, v5
	v_cvt_u32_f32_e32 v5, v5
	v_cvt_u32_f32_e32 v3, v3
	v_readfirstlane_b32 s41, v5
	v_readfirstlane_b32 s0, v3
	s_mul_i32 s1, s37, s41
	s_mul_hi_u32 s51, s37, s0
	s_mul_i32 s50, s40, s0
	s_add_i32 s1, s51, s1
	s_add_i32 s1, s1, s50
	s_mul_i32 s52, s37, s0
	s_mul_i32 s51, s0, s1
	s_mul_hi_u32 s53, s0, s52
	s_mul_hi_u32 s50, s0, s1
	s_add_u32 s51, s53, s51
	s_addc_u32 s50, 0, s50
	s_mul_hi_u32 s54, s41, s52
	s_mul_i32 s52, s41, s52
	s_add_u32 s51, s51, s52
	s_mul_hi_u32 s53, s41, s1
	s_addc_u32 s50, s50, s54
	s_addc_u32 s51, s53, 0
	s_mul_i32 s1, s41, s1
	s_add_u32 s1, s50, s1
	s_addc_u32 s50, 0, s51
	s_add_u32 s51, s0, s1
	s_cselect_b64 s[0:1], -1, 0
	s_cmp_lg_u64 s[0:1], 0
	s_addc_u32 s41, s41, s50
	s_mul_i32 s0, s37, s41
	s_mul_hi_u32 s1, s37, s51
	s_add_i32 s0, s1, s0
	s_mul_i32 s40, s40, s51
	s_add_i32 s0, s0, s40
	s_mul_i32 s37, s37, s51
	s_mul_hi_u32 s40, s41, s37
	s_mul_i32 s50, s41, s37
	s_mul_i32 s53, s51, s0
	s_mul_hi_u32 s37, s51, s37
	s_mul_hi_u32 s52, s51, s0
	s_add_u32 s37, s37, s53
	s_addc_u32 s52, 0, s52
	s_add_u32 s37, s37, s50
	s_mul_hi_u32 s1, s41, s0
	s_addc_u32 s37, s52, s40
	s_addc_u32 s1, s1, 0
	s_mul_i32 s0, s41, s0
	s_add_u32 s0, s37, s0
	s_addc_u32 s37, 0, s1
	s_add_u32 s40, s51, s0
	s_cselect_b64 s[0:1], -1, 0
	v_ashrrev_i32_e32 v3, 31, v9
	s_cmp_lg_u64 s[0:1], 0
	v_add_co_u32_e32 v5, vcc, v8, v3
	s_addc_u32 s37, s41, s37
	v_xor_b32_e32 v5, v5, v3
	v_addc_co_u32_e32 v7, vcc, v9, v3, vcc
	v_mad_u64_u32 v[9:10], s[0:1], v5, s37, 0
	v_mul_hi_u32 v11, v5, s40
	v_xor_b32_e32 v7, v7, v3
	v_xor_b32_e32 v3, s36, v3
	v_add_co_u32_e32 v13, vcc, v11, v9
	v_addc_co_u32_e32 v14, vcc, 0, v10, vcc
	v_mad_u64_u32 v[9:10], s[0:1], v7, s40, 0
	v_mad_u64_u32 v[11:12], s[0:1], v7, s37, 0
	v_add_co_u32_e32 v9, vcc, v13, v9
	v_addc_co_u32_e32 v9, vcc, v14, v10, vcc
	v_addc_co_u32_e32 v10, vcc, 0, v12, vcc
	v_add_co_u32_e32 v11, vcc, v9, v11
	v_addc_co_u32_e32 v12, vcc, 0, v10, vcc
	v_mul_lo_u32 v13, s39, v11
	v_mul_lo_u32 v14, s38, v12
	v_mad_u64_u32 v[9:10], s[0:1], s38, v11, 0
	v_add3_u32 v10, v10, v14, v13
	v_sub_u32_e32 v13, v7, v10
	v_mov_b32_e32 v14, s39
	v_sub_co_u32_e32 v5, vcc, v5, v9
	v_subb_co_u32_e64 v9, s[0:1], v13, v14, vcc
	v_subrev_co_u32_e64 v13, s[0:1], s38, v5
	v_subbrev_co_u32_e64 v9, s[0:1], 0, v9, s[0:1]
	v_cmp_le_u32_e64 s[0:1], s39, v9
	v_cndmask_b32_e64 v14, 0, -1, s[0:1]
	v_cmp_le_u32_e64 s[0:1], s38, v13
	v_cndmask_b32_e64 v13, 0, -1, s[0:1]
	v_cmp_eq_u32_e64 s[0:1], s39, v9
	v_cndmask_b32_e64 v9, v14, v13, s[0:1]
	v_add_co_u32_e64 v13, s[0:1], 2, v11
	v_subb_co_u32_e32 v7, vcc, v7, v10, vcc
	v_addc_co_u32_e64 v14, s[0:1], 0, v12, s[0:1]
	v_cmp_le_u32_e32 vcc, s39, v7
	v_add_co_u32_e64 v15, s[0:1], 1, v11
	v_cndmask_b32_e64 v10, 0, -1, vcc
	v_cmp_le_u32_e32 vcc, s38, v5
	v_addc_co_u32_e64 v16, s[0:1], 0, v12, s[0:1]
	v_cndmask_b32_e64 v5, 0, -1, vcc
	v_cmp_eq_u32_e32 vcc, s39, v7
	v_cmp_ne_u32_e64 s[0:1], 0, v9
	v_cndmask_b32_e32 v5, v10, v5, vcc
	v_cmp_ne_u32_e32 vcc, 0, v5
	v_cndmask_b32_e64 v7, v15, v13, s[0:1]
	v_cndmask_b32_e64 v9, v16, v14, s[0:1]
	v_cndmask_b32_e32 v7, v11, v7, vcc
	v_cndmask_b32_e32 v5, v12, v9, vcc
	v_xor_b32_e32 v7, v7, v3
	v_xor_b32_e32 v5, v5, v3
	v_sub_co_u32_e32 v10, vcc, v7, v3
	v_subb_co_u32_e32 v11, vcc, v5, v3, vcc
.LBB8_16:                               ;   in Loop: Header=BB8_14 Depth=2
	s_andn2_saveexec_b64 s[0:1], s[34:35]
	s_cbranch_execz .LBB8_18
; %bb.17:                               ;   in Loop: Header=BB8_14 Depth=2
	v_cvt_f32_u32_e32 v3, s28
	s_sub_i32 s34, 0, s28
	v_mov_b32_e32 v11, v2
	v_rcp_iflag_f32_e32 v3, v3
	v_mul_f32_e32 v3, 0x4f7ffffe, v3
	v_cvt_u32_f32_e32 v3, v3
	v_mul_lo_u32 v5, s34, v3
	v_mul_hi_u32 v5, v3, v5
	v_add_u32_e32 v3, v3, v5
	v_mul_hi_u32 v3, v8, v3
	v_mul_lo_u32 v5, v3, s28
	v_add_u32_e32 v7, 1, v3
	v_sub_u32_e32 v5, v8, v5
	v_subrev_u32_e32 v9, s28, v5
	v_cmp_le_u32_e32 vcc, s28, v5
	v_cndmask_b32_e32 v5, v5, v9, vcc
	v_cndmask_b32_e32 v3, v3, v7, vcc
	v_add_u32_e32 v7, 1, v3
	v_cmp_le_u32_e32 vcc, s28, v5
	v_cndmask_b32_e32 v10, v3, v7, vcc
.LBB8_18:                               ;   in Loop: Header=BB8_14 Depth=2
	s_or_b64 exec, exec, s[0:1]
	s_add_u32 s0, s4, s30
	s_addc_u32 s1, s5, s31
	v_mul_lo_u32 v3, v10, s28
	s_load_dword s0, s[0:1], 0x6c
	s_add_i32 s16, s16, -1
	s_add_i32 s25, s25, -1
	v_sub_u32_e32 v3, v8, v3
	s_cmp_lg_u32 s25, 0
	s_waitcnt lgkmcnt(0)
	v_mad_u64_u32 v[6:7], s[0:1], s0, v3, v[6:7]
	s_cbranch_scc0 .LBB8_20
; %bb.19:                               ;   in Loop: Header=BB8_14 Depth=2
	v_mov_b32_e32 v8, v10
	v_mov_b32_e32 v9, v11
	s_branch .LBB8_14
.LBB8_20:                               ;   in Loop: Header=BB8_3 Depth=1
	v_mov_b32_e32 v8, v10
	s_mov_b32 s0, s16
	v_mov_b32_e32 v9, v11
.LBB8_21:                               ;   in Loop: Header=BB8_3 Depth=1
	s_andn2_b64 vcc, exec, s[20:21]
	s_cbranch_vccnz .LBB8_57
; %bb.22:                               ;   in Loop: Header=BB8_3 Depth=1
	s_add_i32 s30, s0, -7
.LBB8_23:                               ;   Parent Loop BB8_3 Depth=1
                                        ; =>  This Inner Loop Header: Depth=2
	s_add_i32 s16, s30, 7
	s_lshl_b64 s[34:35], s[16:17], 2
	s_add_u32 s0, s42, s34
	s_addc_u32 s1, s43, s35
	s_load_dword s25, s[0:1], 0x8
                                        ; implicit-def: $vgpr10_vgpr11
	s_waitcnt lgkmcnt(0)
	s_ashr_i32 s0, s25, 31
	v_or_b32_e32 v3, s0, v9
	v_cmp_ne_u64_e32 vcc, 0, v[2:3]
	s_and_saveexec_b64 s[36:37], vcc
	s_xor_b64 s[36:37], exec, s[36:37]
	s_cbranch_execz .LBB8_25
; %bb.24:                               ;   in Loop: Header=BB8_23 Depth=2
	s_ashr_i32 s38, s0, 31
	s_add_u32 s40, s25, s38
	s_mov_b32 s39, s38
	s_addc_u32 s41, s0, s38
	s_xor_b64 s[40:41], s[40:41], s[38:39]
	v_cvt_f32_u32_e32 v3, s40
	v_cvt_f32_u32_e32 v5, s41
	s_sub_u32 s16, 0, s40
	s_subb_u32 s28, 0, s41
	v_mac_f32_e32 v3, 0x4f800000, v5
	v_rcp_f32_e32 v3, v3
	v_mul_f32_e32 v3, 0x5f7ffffc, v3
	v_mul_f32_e32 v5, 0x2f800000, v3
	v_trunc_f32_e32 v5, v5
	v_mac_f32_e32 v3, 0xcf800000, v5
	v_cvt_u32_f32_e32 v5, v5
	v_cvt_u32_f32_e32 v3, v3
	v_readfirstlane_b32 s31, v5
	v_readfirstlane_b32 s0, v3
	s_mul_i32 s1, s16, s31
	s_mul_hi_u32 s50, s16, s0
	s_mul_i32 s39, s28, s0
	s_add_i32 s1, s50, s1
	s_add_i32 s1, s1, s39
	s_mul_i32 s51, s16, s0
	s_mul_i32 s50, s0, s1
	s_mul_hi_u32 s52, s0, s51
	s_mul_hi_u32 s39, s0, s1
	s_add_u32 s50, s52, s50
	s_addc_u32 s39, 0, s39
	s_mul_hi_u32 s53, s31, s51
	s_mul_i32 s51, s31, s51
	s_add_u32 s50, s50, s51
	s_mul_hi_u32 s52, s31, s1
	s_addc_u32 s39, s39, s53
	s_addc_u32 s50, s52, 0
	s_mul_i32 s1, s31, s1
	s_add_u32 s1, s39, s1
	s_addc_u32 s39, 0, s50
	s_add_u32 s50, s0, s1
	s_cselect_b64 s[0:1], -1, 0
	s_cmp_lg_u64 s[0:1], 0
	s_addc_u32 s31, s31, s39
	s_mul_i32 s0, s16, s31
	s_mul_hi_u32 s1, s16, s50
	s_add_i32 s0, s1, s0
	s_mul_i32 s28, s28, s50
	s_add_i32 s0, s0, s28
	s_mul_i32 s16, s16, s50
	s_mul_hi_u32 s28, s31, s16
	s_mul_i32 s39, s31, s16
	s_mul_i32 s52, s50, s0
	s_mul_hi_u32 s16, s50, s16
	s_mul_hi_u32 s51, s50, s0
	s_add_u32 s16, s16, s52
	s_addc_u32 s51, 0, s51
	s_add_u32 s16, s16, s39
	s_mul_hi_u32 s1, s31, s0
	s_addc_u32 s16, s51, s28
	s_addc_u32 s1, s1, 0
	s_mul_i32 s0, s31, s0
	s_add_u32 s0, s16, s0
	s_addc_u32 s16, 0, s1
	s_add_u32 s28, s50, s0
	s_cselect_b64 s[0:1], -1, 0
	v_ashrrev_i32_e32 v3, 31, v9
	s_cmp_lg_u64 s[0:1], 0
	v_add_co_u32_e32 v5, vcc, v8, v3
	s_addc_u32 s16, s31, s16
	v_xor_b32_e32 v5, v5, v3
	v_addc_co_u32_e32 v7, vcc, v9, v3, vcc
	v_mad_u64_u32 v[9:10], s[0:1], v5, s16, 0
	v_mul_hi_u32 v11, v5, s28
	v_xor_b32_e32 v7, v7, v3
	v_xor_b32_e32 v3, s38, v3
	v_add_co_u32_e32 v13, vcc, v11, v9
	v_addc_co_u32_e32 v14, vcc, 0, v10, vcc
	v_mad_u64_u32 v[9:10], s[0:1], v7, s28, 0
	v_mad_u64_u32 v[11:12], s[0:1], v7, s16, 0
	v_add_co_u32_e32 v9, vcc, v13, v9
	v_addc_co_u32_e32 v9, vcc, v14, v10, vcc
	v_addc_co_u32_e32 v10, vcc, 0, v12, vcc
	v_add_co_u32_e32 v11, vcc, v9, v11
	v_addc_co_u32_e32 v12, vcc, 0, v10, vcc
	v_mul_lo_u32 v13, s41, v11
	v_mul_lo_u32 v14, s40, v12
	v_mad_u64_u32 v[9:10], s[0:1], s40, v11, 0
	v_add3_u32 v10, v10, v14, v13
	v_sub_u32_e32 v13, v7, v10
	v_mov_b32_e32 v14, s41
	v_sub_co_u32_e32 v5, vcc, v5, v9
	v_subb_co_u32_e64 v9, s[0:1], v13, v14, vcc
	v_subrev_co_u32_e64 v13, s[0:1], s40, v5
	v_subbrev_co_u32_e64 v9, s[0:1], 0, v9, s[0:1]
	v_cmp_le_u32_e64 s[0:1], s41, v9
	v_cndmask_b32_e64 v14, 0, -1, s[0:1]
	v_cmp_le_u32_e64 s[0:1], s40, v13
	v_cndmask_b32_e64 v13, 0, -1, s[0:1]
	v_cmp_eq_u32_e64 s[0:1], s41, v9
	v_cndmask_b32_e64 v9, v14, v13, s[0:1]
	v_add_co_u32_e64 v13, s[0:1], 2, v11
	v_subb_co_u32_e32 v7, vcc, v7, v10, vcc
	v_addc_co_u32_e64 v14, s[0:1], 0, v12, s[0:1]
	v_cmp_le_u32_e32 vcc, s41, v7
	v_add_co_u32_e64 v15, s[0:1], 1, v11
	v_cndmask_b32_e64 v10, 0, -1, vcc
	v_cmp_le_u32_e32 vcc, s40, v5
	v_addc_co_u32_e64 v16, s[0:1], 0, v12, s[0:1]
	v_cndmask_b32_e64 v5, 0, -1, vcc
	v_cmp_eq_u32_e32 vcc, s41, v7
	v_cmp_ne_u32_e64 s[0:1], 0, v9
	v_cndmask_b32_e32 v5, v10, v5, vcc
	v_cmp_ne_u32_e32 vcc, 0, v5
	v_cndmask_b32_e64 v7, v15, v13, s[0:1]
	v_cndmask_b32_e64 v9, v16, v14, s[0:1]
	v_cndmask_b32_e32 v7, v11, v7, vcc
	v_cndmask_b32_e32 v5, v12, v9, vcc
	v_xor_b32_e32 v7, v7, v3
	v_xor_b32_e32 v5, v5, v3
	v_sub_co_u32_e32 v10, vcc, v7, v3
	v_subb_co_u32_e32 v11, vcc, v5, v3, vcc
.LBB8_25:                               ;   in Loop: Header=BB8_23 Depth=2
	s_andn2_saveexec_b64 s[0:1], s[36:37]
	s_cbranch_execz .LBB8_27
; %bb.26:                               ;   in Loop: Header=BB8_23 Depth=2
	v_cvt_f32_u32_e32 v3, s25
	s_sub_i32 s16, 0, s25
	v_mov_b32_e32 v11, v2
	v_rcp_iflag_f32_e32 v3, v3
	v_mul_f32_e32 v3, 0x4f7ffffe, v3
	v_cvt_u32_f32_e32 v3, v3
	v_mul_lo_u32 v5, s16, v3
	v_mul_hi_u32 v5, v3, v5
	v_add_u32_e32 v3, v3, v5
	v_mul_hi_u32 v3, v8, v3
	v_mul_lo_u32 v5, v3, s25
	v_add_u32_e32 v7, 1, v3
	v_sub_u32_e32 v5, v8, v5
	v_subrev_u32_e32 v9, s25, v5
	v_cmp_le_u32_e32 vcc, s25, v5
	v_cndmask_b32_e32 v5, v5, v9, vcc
	v_cndmask_b32_e32 v3, v3, v7, vcc
	v_add_u32_e32 v7, 1, v3
	v_cmp_le_u32_e32 vcc, s25, v5
	v_cndmask_b32_e32 v10, v3, v7, vcc
.LBB8_27:                               ;   in Loop: Header=BB8_23 Depth=2
	s_or_b64 exec, exec, s[0:1]
	s_add_u32 s0, s4, s34
	s_addc_u32 s1, s5, s35
	s_add_i32 s16, s30, 6
	s_lshl_b64 s[34:35], s[16:17], 2
	s_add_u32 s36, s42, s34
	s_addc_u32 s37, s43, s35
	s_load_dword s50, s[36:37], 0x8
	s_load_dword s28, s[0:1], 0x6c
                                        ; implicit-def: $vgpr12_vgpr13
	s_waitcnt lgkmcnt(0)
	s_ashr_i32 s0, s50, 31
	v_or_b32_e32 v3, s0, v11
	v_cmp_ne_u64_e32 vcc, 0, v[2:3]
	s_and_saveexec_b64 s[36:37], vcc
	s_xor_b64 s[36:37], exec, s[36:37]
	s_cbranch_execz .LBB8_29
; %bb.28:                               ;   in Loop: Header=BB8_23 Depth=2
	s_ashr_i32 s38, s0, 31
	s_add_u32 s40, s50, s38
	s_mov_b32 s39, s38
	s_addc_u32 s41, s0, s38
	s_xor_b64 s[40:41], s[40:41], s[38:39]
	v_cvt_f32_u32_e32 v3, s40
	v_cvt_f32_u32_e32 v5, s41
	s_sub_u32 s16, 0, s40
	s_subb_u32 s31, 0, s41
	v_mac_f32_e32 v3, 0x4f800000, v5
	v_rcp_f32_e32 v3, v3
	v_mul_f32_e32 v3, 0x5f7ffffc, v3
	v_mul_f32_e32 v5, 0x2f800000, v3
	v_trunc_f32_e32 v5, v5
	v_mac_f32_e32 v3, 0xcf800000, v5
	v_cvt_u32_f32_e32 v5, v5
	v_cvt_u32_f32_e32 v3, v3
	v_readfirstlane_b32 s39, v5
	v_readfirstlane_b32 s0, v3
	s_mul_i32 s1, s16, s39
	s_mul_hi_u32 s52, s16, s0
	s_mul_i32 s51, s31, s0
	s_add_i32 s1, s52, s1
	s_add_i32 s1, s1, s51
	s_mul_i32 s53, s16, s0
	s_mul_i32 s52, s0, s1
	s_mul_hi_u32 s54, s0, s53
	s_mul_hi_u32 s51, s0, s1
	s_add_u32 s52, s54, s52
	s_addc_u32 s51, 0, s51
	s_mul_hi_u32 s55, s39, s53
	s_mul_i32 s53, s39, s53
	s_add_u32 s52, s52, s53
	s_mul_hi_u32 s54, s39, s1
	s_addc_u32 s51, s51, s55
	s_addc_u32 s52, s54, 0
	s_mul_i32 s1, s39, s1
	s_add_u32 s1, s51, s1
	s_addc_u32 s51, 0, s52
	s_add_u32 s52, s0, s1
	s_cselect_b64 s[0:1], -1, 0
	s_cmp_lg_u64 s[0:1], 0
	s_addc_u32 s39, s39, s51
	s_mul_i32 s0, s16, s39
	s_mul_hi_u32 s1, s16, s52
	s_add_i32 s0, s1, s0
	s_mul_i32 s31, s31, s52
	s_add_i32 s0, s0, s31
	s_mul_i32 s16, s16, s52
	s_mul_hi_u32 s31, s39, s16
	s_mul_i32 s51, s39, s16
	s_mul_i32 s54, s52, s0
	s_mul_hi_u32 s16, s52, s16
	s_mul_hi_u32 s53, s52, s0
	s_add_u32 s16, s16, s54
	s_addc_u32 s53, 0, s53
	s_add_u32 s16, s16, s51
	s_mul_hi_u32 s1, s39, s0
	s_addc_u32 s16, s53, s31
	s_addc_u32 s1, s1, 0
	s_mul_i32 s0, s39, s0
	s_add_u32 s0, s16, s0
	s_addc_u32 s16, 0, s1
	s_add_u32 s31, s52, s0
	s_cselect_b64 s[0:1], -1, 0
	v_ashrrev_i32_e32 v3, 31, v11
	s_cmp_lg_u64 s[0:1], 0
	v_add_co_u32_e32 v5, vcc, v10, v3
	s_addc_u32 s16, s39, s16
	v_xor_b32_e32 v5, v5, v3
	v_addc_co_u32_e32 v7, vcc, v11, v3, vcc
	v_mad_u64_u32 v[11:12], s[0:1], v5, s16, 0
	v_mul_hi_u32 v9, v5, s31
	v_xor_b32_e32 v7, v7, v3
	v_mad_u64_u32 v[13:14], s[0:1], v7, s16, 0
	v_add_co_u32_e32 v9, vcc, v9, v11
	v_addc_co_u32_e32 v15, vcc, 0, v12, vcc
	v_mad_u64_u32 v[11:12], s[0:1], v7, s31, 0
	v_xor_b32_e32 v3, s38, v3
	v_add_co_u32_e32 v9, vcc, v9, v11
	v_addc_co_u32_e32 v9, vcc, v15, v12, vcc
	v_addc_co_u32_e32 v11, vcc, 0, v14, vcc
	v_add_co_u32_e32 v9, vcc, v9, v13
	v_addc_co_u32_e32 v13, vcc, 0, v11, vcc
	v_mul_lo_u32 v14, s41, v9
	v_mul_lo_u32 v15, s40, v13
	v_mad_u64_u32 v[11:12], s[0:1], s40, v9, 0
	v_add3_u32 v12, v12, v15, v14
	v_sub_u32_e32 v14, v7, v12
	v_mov_b32_e32 v15, s41
	v_sub_co_u32_e32 v5, vcc, v5, v11
	v_subb_co_u32_e64 v11, s[0:1], v14, v15, vcc
	v_subrev_co_u32_e64 v14, s[0:1], s40, v5
	v_subbrev_co_u32_e64 v11, s[0:1], 0, v11, s[0:1]
	v_cmp_le_u32_e64 s[0:1], s41, v11
	v_cndmask_b32_e64 v15, 0, -1, s[0:1]
	v_cmp_le_u32_e64 s[0:1], s40, v14
	v_cndmask_b32_e64 v14, 0, -1, s[0:1]
	v_cmp_eq_u32_e64 s[0:1], s41, v11
	v_cndmask_b32_e64 v11, v15, v14, s[0:1]
	v_add_co_u32_e64 v14, s[0:1], 2, v9
	v_subb_co_u32_e32 v7, vcc, v7, v12, vcc
	v_addc_co_u32_e64 v15, s[0:1], 0, v13, s[0:1]
	v_cmp_le_u32_e32 vcc, s41, v7
	v_add_co_u32_e64 v16, s[0:1], 1, v9
	v_cndmask_b32_e64 v12, 0, -1, vcc
	v_cmp_le_u32_e32 vcc, s40, v5
	v_addc_co_u32_e64 v17, s[0:1], 0, v13, s[0:1]
	v_cndmask_b32_e64 v5, 0, -1, vcc
	v_cmp_eq_u32_e32 vcc, s41, v7
	v_cmp_ne_u32_e64 s[0:1], 0, v11
	v_cndmask_b32_e32 v5, v12, v5, vcc
	v_cmp_ne_u32_e32 vcc, 0, v5
	v_cndmask_b32_e64 v7, v16, v14, s[0:1]
	v_cndmask_b32_e64 v11, v17, v15, s[0:1]
	v_cndmask_b32_e32 v7, v9, v7, vcc
	v_cndmask_b32_e32 v5, v13, v11, vcc
	v_xor_b32_e32 v7, v7, v3
	v_xor_b32_e32 v5, v5, v3
	v_sub_co_u32_e32 v12, vcc, v7, v3
	v_subb_co_u32_e32 v13, vcc, v5, v3, vcc
.LBB8_29:                               ;   in Loop: Header=BB8_23 Depth=2
	s_andn2_saveexec_b64 s[0:1], s[36:37]
	s_cbranch_execz .LBB8_31
; %bb.30:                               ;   in Loop: Header=BB8_23 Depth=2
	v_cvt_f32_u32_e32 v3, s50
	s_sub_i32 s16, 0, s50
	v_mov_b32_e32 v13, v2
	v_rcp_iflag_f32_e32 v3, v3
	v_mul_f32_e32 v3, 0x4f7ffffe, v3
	v_cvt_u32_f32_e32 v3, v3
	v_mul_lo_u32 v5, s16, v3
	v_mul_hi_u32 v5, v3, v5
	v_add_u32_e32 v3, v3, v5
	v_mul_hi_u32 v3, v10, v3
	v_mul_lo_u32 v5, v3, s50
	v_add_u32_e32 v7, 1, v3
	v_sub_u32_e32 v5, v10, v5
	v_subrev_u32_e32 v9, s50, v5
	v_cmp_le_u32_e32 vcc, s50, v5
	v_cndmask_b32_e32 v5, v5, v9, vcc
	v_cndmask_b32_e32 v3, v3, v7, vcc
	v_add_u32_e32 v7, 1, v3
	v_cmp_le_u32_e32 vcc, s50, v5
	v_cndmask_b32_e32 v12, v3, v7, vcc
.LBB8_31:                               ;   in Loop: Header=BB8_23 Depth=2
	s_or_b64 exec, exec, s[0:1]
	s_add_u32 s0, s4, s34
	s_addc_u32 s1, s5, s35
	s_add_i32 s16, s30, 5
	s_lshl_b64 s[34:35], s[16:17], 2
	s_add_u32 s36, s42, s34
	s_addc_u32 s37, s43, s35
	s_load_dword s52, s[36:37], 0x8
	s_load_dword s51, s[0:1], 0x6c
                                        ; implicit-def: $vgpr14_vgpr15
	s_waitcnt lgkmcnt(0)
	s_ashr_i32 s0, s52, 31
	v_or_b32_e32 v3, s0, v13
	v_cmp_ne_u64_e32 vcc, 0, v[2:3]
	s_and_saveexec_b64 s[36:37], vcc
	s_xor_b64 s[36:37], exec, s[36:37]
	s_cbranch_execz .LBB8_33
; %bb.32:                               ;   in Loop: Header=BB8_23 Depth=2
	s_ashr_i32 s38, s0, 31
	s_add_u32 s40, s52, s38
	s_mov_b32 s39, s38
	s_addc_u32 s41, s0, s38
	s_xor_b64 s[40:41], s[40:41], s[38:39]
	v_cvt_f32_u32_e32 v3, s40
	v_cvt_f32_u32_e32 v5, s41
	s_sub_u32 s16, 0, s40
	s_subb_u32 s31, 0, s41
	v_mac_f32_e32 v3, 0x4f800000, v5
	v_rcp_f32_e32 v3, v3
	v_mul_f32_e32 v3, 0x5f7ffffc, v3
	v_mul_f32_e32 v5, 0x2f800000, v3
	v_trunc_f32_e32 v5, v5
	v_mac_f32_e32 v3, 0xcf800000, v5
	v_cvt_u32_f32_e32 v5, v5
	v_cvt_u32_f32_e32 v3, v3
	v_readfirstlane_b32 s39, v5
	v_readfirstlane_b32 s0, v3
	s_mul_i32 s1, s16, s39
	s_mul_hi_u32 s54, s16, s0
	s_mul_i32 s53, s31, s0
	s_add_i32 s1, s54, s1
	s_add_i32 s1, s1, s53
	s_mul_i32 s55, s16, s0
	s_mul_i32 s54, s0, s1
	s_mul_hi_u32 s56, s0, s55
	s_mul_hi_u32 s53, s0, s1
	s_add_u32 s54, s56, s54
	s_addc_u32 s53, 0, s53
	s_mul_hi_u32 s57, s39, s55
	s_mul_i32 s55, s39, s55
	s_add_u32 s54, s54, s55
	s_mul_hi_u32 s56, s39, s1
	s_addc_u32 s53, s53, s57
	s_addc_u32 s54, s56, 0
	s_mul_i32 s1, s39, s1
	s_add_u32 s1, s53, s1
	s_addc_u32 s53, 0, s54
	s_add_u32 s54, s0, s1
	s_cselect_b64 s[0:1], -1, 0
	s_cmp_lg_u64 s[0:1], 0
	s_addc_u32 s39, s39, s53
	s_mul_i32 s0, s16, s39
	s_mul_hi_u32 s1, s16, s54
	s_add_i32 s0, s1, s0
	s_mul_i32 s31, s31, s54
	s_add_i32 s0, s0, s31
	s_mul_i32 s16, s16, s54
	s_mul_hi_u32 s31, s39, s16
	s_mul_i32 s53, s39, s16
	s_mul_i32 s56, s54, s0
	s_mul_hi_u32 s16, s54, s16
	s_mul_hi_u32 s55, s54, s0
	s_add_u32 s16, s16, s56
	s_addc_u32 s55, 0, s55
	s_add_u32 s16, s16, s53
	s_mul_hi_u32 s1, s39, s0
	s_addc_u32 s16, s55, s31
	s_addc_u32 s1, s1, 0
	s_mul_i32 s0, s39, s0
	s_add_u32 s0, s16, s0
	s_addc_u32 s16, 0, s1
	s_add_u32 s31, s54, s0
	s_cselect_b64 s[0:1], -1, 0
	v_ashrrev_i32_e32 v3, 31, v13
	s_cmp_lg_u64 s[0:1], 0
	v_add_co_u32_e32 v5, vcc, v12, v3
	s_addc_u32 s16, s39, s16
	v_xor_b32_e32 v5, v5, v3
	v_addc_co_u32_e32 v7, vcc, v13, v3, vcc
	v_mad_u64_u32 v[13:14], s[0:1], v5, s16, 0
	v_mul_hi_u32 v9, v5, s31
	v_xor_b32_e32 v7, v7, v3
	v_mad_u64_u32 v[15:16], s[0:1], v7, s16, 0
	v_add_co_u32_e32 v9, vcc, v9, v13
	v_addc_co_u32_e32 v11, vcc, 0, v14, vcc
	v_mad_u64_u32 v[13:14], s[0:1], v7, s31, 0
	v_xor_b32_e32 v3, s38, v3
	v_add_co_u32_e32 v9, vcc, v9, v13
	v_addc_co_u32_e32 v9, vcc, v11, v14, vcc
	v_addc_co_u32_e32 v11, vcc, 0, v16, vcc
	v_add_co_u32_e32 v9, vcc, v9, v15
	v_addc_co_u32_e32 v11, vcc, 0, v11, vcc
	v_mul_lo_u32 v15, s41, v9
	v_mul_lo_u32 v16, s40, v11
	v_mad_u64_u32 v[13:14], s[0:1], s40, v9, 0
	v_add3_u32 v14, v14, v16, v15
	v_sub_u32_e32 v15, v7, v14
	v_mov_b32_e32 v16, s41
	v_sub_co_u32_e32 v5, vcc, v5, v13
	v_subb_co_u32_e64 v13, s[0:1], v15, v16, vcc
	v_subrev_co_u32_e64 v15, s[0:1], s40, v5
	v_subbrev_co_u32_e64 v13, s[0:1], 0, v13, s[0:1]
	v_cmp_le_u32_e64 s[0:1], s41, v13
	v_cndmask_b32_e64 v16, 0, -1, s[0:1]
	v_cmp_le_u32_e64 s[0:1], s40, v15
	v_cndmask_b32_e64 v15, 0, -1, s[0:1]
	v_cmp_eq_u32_e64 s[0:1], s41, v13
	v_cndmask_b32_e64 v13, v16, v15, s[0:1]
	v_add_co_u32_e64 v15, s[0:1], 2, v9
	v_subb_co_u32_e32 v7, vcc, v7, v14, vcc
	v_addc_co_u32_e64 v16, s[0:1], 0, v11, s[0:1]
	v_cmp_le_u32_e32 vcc, s41, v7
	v_add_co_u32_e64 v17, s[0:1], 1, v9
	v_cndmask_b32_e64 v14, 0, -1, vcc
	v_cmp_le_u32_e32 vcc, s40, v5
	v_addc_co_u32_e64 v18, s[0:1], 0, v11, s[0:1]
	v_cndmask_b32_e64 v5, 0, -1, vcc
	v_cmp_eq_u32_e32 vcc, s41, v7
	v_cmp_ne_u32_e64 s[0:1], 0, v13
	v_cndmask_b32_e32 v5, v14, v5, vcc
	v_cmp_ne_u32_e32 vcc, 0, v5
	v_cndmask_b32_e64 v7, v17, v15, s[0:1]
	v_cndmask_b32_e64 v13, v18, v16, s[0:1]
	v_cndmask_b32_e32 v7, v9, v7, vcc
	v_cndmask_b32_e32 v5, v11, v13, vcc
	v_xor_b32_e32 v7, v7, v3
	v_xor_b32_e32 v5, v5, v3
	v_sub_co_u32_e32 v14, vcc, v7, v3
	v_subb_co_u32_e32 v15, vcc, v5, v3, vcc
.LBB8_33:                               ;   in Loop: Header=BB8_23 Depth=2
	s_andn2_saveexec_b64 s[0:1], s[36:37]
	s_cbranch_execz .LBB8_35
; %bb.34:                               ;   in Loop: Header=BB8_23 Depth=2
	v_cvt_f32_u32_e32 v3, s52
	s_sub_i32 s16, 0, s52
	v_mov_b32_e32 v15, v2
	v_rcp_iflag_f32_e32 v3, v3
	v_mul_f32_e32 v3, 0x4f7ffffe, v3
	v_cvt_u32_f32_e32 v3, v3
	v_mul_lo_u32 v5, s16, v3
	v_mul_hi_u32 v5, v3, v5
	v_add_u32_e32 v3, v3, v5
	v_mul_hi_u32 v3, v12, v3
	v_mul_lo_u32 v5, v3, s52
	v_add_u32_e32 v7, 1, v3
	v_sub_u32_e32 v5, v12, v5
	v_subrev_u32_e32 v9, s52, v5
	v_cmp_le_u32_e32 vcc, s52, v5
	v_cndmask_b32_e32 v5, v5, v9, vcc
	v_cndmask_b32_e32 v3, v3, v7, vcc
	v_add_u32_e32 v7, 1, v3
	v_cmp_le_u32_e32 vcc, s52, v5
	v_cndmask_b32_e32 v14, v3, v7, vcc
.LBB8_35:                               ;   in Loop: Header=BB8_23 Depth=2
	s_or_b64 exec, exec, s[0:1]
	s_add_u32 s0, s4, s34
	s_addc_u32 s1, s5, s35
	s_add_i32 s16, s30, 4
	s_lshl_b64 s[34:35], s[16:17], 2
	s_add_u32 s36, s42, s34
	s_addc_u32 s37, s43, s35
	s_load_dword s54, s[36:37], 0x8
	s_load_dword s53, s[0:1], 0x6c
                                        ; implicit-def: $vgpr16_vgpr17
	s_waitcnt lgkmcnt(0)
	s_ashr_i32 s0, s54, 31
	v_or_b32_e32 v3, s0, v15
	v_cmp_ne_u64_e32 vcc, 0, v[2:3]
	s_and_saveexec_b64 s[36:37], vcc
	s_xor_b64 s[36:37], exec, s[36:37]
	s_cbranch_execz .LBB8_37
; %bb.36:                               ;   in Loop: Header=BB8_23 Depth=2
	s_ashr_i32 s38, s0, 31
	s_add_u32 s40, s54, s38
	s_mov_b32 s39, s38
	s_addc_u32 s41, s0, s38
	s_xor_b64 s[40:41], s[40:41], s[38:39]
	v_cvt_f32_u32_e32 v3, s40
	v_cvt_f32_u32_e32 v5, s41
	s_sub_u32 s16, 0, s40
	s_subb_u32 s31, 0, s41
	v_mac_f32_e32 v3, 0x4f800000, v5
	v_rcp_f32_e32 v3, v3
	v_mul_f32_e32 v3, 0x5f7ffffc, v3
	v_mul_f32_e32 v5, 0x2f800000, v3
	v_trunc_f32_e32 v5, v5
	v_mac_f32_e32 v3, 0xcf800000, v5
	v_cvt_u32_f32_e32 v5, v5
	v_cvt_u32_f32_e32 v3, v3
	v_readfirstlane_b32 s39, v5
	v_readfirstlane_b32 s0, v3
	s_mul_i32 s1, s16, s39
	s_mul_hi_u32 s56, s16, s0
	s_mul_i32 s55, s31, s0
	s_add_i32 s1, s56, s1
	s_add_i32 s1, s1, s55
	s_mul_i32 s57, s16, s0
	s_mul_i32 s56, s0, s1
	s_mul_hi_u32 s58, s0, s57
	s_mul_hi_u32 s55, s0, s1
	s_add_u32 s56, s58, s56
	s_addc_u32 s55, 0, s55
	s_mul_hi_u32 s59, s39, s57
	s_mul_i32 s57, s39, s57
	s_add_u32 s56, s56, s57
	s_mul_hi_u32 s58, s39, s1
	s_addc_u32 s55, s55, s59
	s_addc_u32 s56, s58, 0
	s_mul_i32 s1, s39, s1
	s_add_u32 s1, s55, s1
	s_addc_u32 s55, 0, s56
	s_add_u32 s56, s0, s1
	s_cselect_b64 s[0:1], -1, 0
	s_cmp_lg_u64 s[0:1], 0
	s_addc_u32 s39, s39, s55
	s_mul_i32 s0, s16, s39
	s_mul_hi_u32 s1, s16, s56
	s_add_i32 s0, s1, s0
	s_mul_i32 s31, s31, s56
	s_add_i32 s0, s0, s31
	s_mul_i32 s16, s16, s56
	s_mul_hi_u32 s31, s39, s16
	s_mul_i32 s55, s39, s16
	s_mul_i32 s58, s56, s0
	s_mul_hi_u32 s16, s56, s16
	s_mul_hi_u32 s57, s56, s0
	s_add_u32 s16, s16, s58
	s_addc_u32 s57, 0, s57
	s_add_u32 s16, s16, s55
	s_mul_hi_u32 s1, s39, s0
	s_addc_u32 s16, s57, s31
	s_addc_u32 s1, s1, 0
	s_mul_i32 s0, s39, s0
	s_add_u32 s0, s16, s0
	s_addc_u32 s16, 0, s1
	s_add_u32 s31, s56, s0
	s_cselect_b64 s[0:1], -1, 0
	v_ashrrev_i32_e32 v3, 31, v15
	s_cmp_lg_u64 s[0:1], 0
	v_add_co_u32_e32 v5, vcc, v14, v3
	s_addc_u32 s16, s39, s16
	v_xor_b32_e32 v5, v5, v3
	v_addc_co_u32_e32 v7, vcc, v15, v3, vcc
	v_mad_u64_u32 v[15:16], s[0:1], v5, s16, 0
	v_mul_hi_u32 v9, v5, s31
	v_xor_b32_e32 v7, v7, v3
	v_mad_u64_u32 v[17:18], s[0:1], v7, s16, 0
	v_add_co_u32_e32 v9, vcc, v9, v15
	v_addc_co_u32_e32 v11, vcc, 0, v16, vcc
	v_mad_u64_u32 v[15:16], s[0:1], v7, s31, 0
	v_xor_b32_e32 v3, s38, v3
	v_add_co_u32_e32 v9, vcc, v9, v15
	v_addc_co_u32_e32 v9, vcc, v11, v16, vcc
	v_addc_co_u32_e32 v11, vcc, 0, v18, vcc
	v_add_co_u32_e32 v9, vcc, v9, v17
	v_addc_co_u32_e32 v11, vcc, 0, v11, vcc
	v_mul_lo_u32 v13, s41, v9
	v_mul_lo_u32 v17, s40, v11
	v_mad_u64_u32 v[15:16], s[0:1], s40, v9, 0
	v_add3_u32 v13, v16, v17, v13
	v_sub_u32_e32 v16, v7, v13
	v_mov_b32_e32 v17, s41
	v_sub_co_u32_e32 v5, vcc, v5, v15
	v_subb_co_u32_e64 v15, s[0:1], v16, v17, vcc
	v_subrev_co_u32_e64 v16, s[0:1], s40, v5
	v_subbrev_co_u32_e64 v15, s[0:1], 0, v15, s[0:1]
	v_cmp_le_u32_e64 s[0:1], s41, v15
	v_cndmask_b32_e64 v17, 0, -1, s[0:1]
	v_cmp_le_u32_e64 s[0:1], s40, v16
	v_cndmask_b32_e64 v16, 0, -1, s[0:1]
	v_cmp_eq_u32_e64 s[0:1], s41, v15
	v_cndmask_b32_e64 v15, v17, v16, s[0:1]
	v_add_co_u32_e64 v16, s[0:1], 2, v9
	v_subb_co_u32_e32 v7, vcc, v7, v13, vcc
	v_addc_co_u32_e64 v17, s[0:1], 0, v11, s[0:1]
	v_cmp_le_u32_e32 vcc, s41, v7
	v_add_co_u32_e64 v18, s[0:1], 1, v9
	v_cndmask_b32_e64 v13, 0, -1, vcc
	v_cmp_le_u32_e32 vcc, s40, v5
	v_addc_co_u32_e64 v19, s[0:1], 0, v11, s[0:1]
	v_cndmask_b32_e64 v5, 0, -1, vcc
	v_cmp_eq_u32_e32 vcc, s41, v7
	v_cmp_ne_u32_e64 s[0:1], 0, v15
	v_cndmask_b32_e32 v5, v13, v5, vcc
	v_cmp_ne_u32_e32 vcc, 0, v5
	v_cndmask_b32_e64 v7, v18, v16, s[0:1]
	v_cndmask_b32_e64 v15, v19, v17, s[0:1]
	v_cndmask_b32_e32 v7, v9, v7, vcc
	v_cndmask_b32_e32 v5, v11, v15, vcc
	v_xor_b32_e32 v7, v7, v3
	v_xor_b32_e32 v5, v5, v3
	v_sub_co_u32_e32 v16, vcc, v7, v3
	v_subb_co_u32_e32 v17, vcc, v5, v3, vcc
.LBB8_37:                               ;   in Loop: Header=BB8_23 Depth=2
	s_andn2_saveexec_b64 s[0:1], s[36:37]
	s_cbranch_execz .LBB8_39
; %bb.38:                               ;   in Loop: Header=BB8_23 Depth=2
	v_cvt_f32_u32_e32 v3, s54
	s_sub_i32 s16, 0, s54
	v_mov_b32_e32 v17, v2
	v_rcp_iflag_f32_e32 v3, v3
	v_mul_f32_e32 v3, 0x4f7ffffe, v3
	v_cvt_u32_f32_e32 v3, v3
	v_mul_lo_u32 v5, s16, v3
	v_mul_hi_u32 v5, v3, v5
	v_add_u32_e32 v3, v3, v5
	v_mul_hi_u32 v3, v14, v3
	v_mul_lo_u32 v5, v3, s54
	v_add_u32_e32 v7, 1, v3
	v_sub_u32_e32 v5, v14, v5
	v_subrev_u32_e32 v9, s54, v5
	v_cmp_le_u32_e32 vcc, s54, v5
	v_cndmask_b32_e32 v5, v5, v9, vcc
	v_cndmask_b32_e32 v3, v3, v7, vcc
	v_add_u32_e32 v7, 1, v3
	v_cmp_le_u32_e32 vcc, s54, v5
	v_cndmask_b32_e32 v16, v3, v7, vcc
.LBB8_39:                               ;   in Loop: Header=BB8_23 Depth=2
	s_or_b64 exec, exec, s[0:1]
	s_add_u32 s0, s4, s34
	s_addc_u32 s1, s5, s35
	s_add_i32 s16, s30, 3
	s_lshl_b64 s[34:35], s[16:17], 2
	s_add_u32 s36, s42, s34
	s_addc_u32 s37, s43, s35
	s_load_dword s55, s[36:37], 0x8
	s_load_dword s56, s[0:1], 0x6c
                                        ; implicit-def: $vgpr18_vgpr19
	s_waitcnt lgkmcnt(0)
	s_ashr_i32 s0, s55, 31
	v_or_b32_e32 v3, s0, v17
	v_cmp_ne_u64_e32 vcc, 0, v[2:3]
	s_and_saveexec_b64 s[36:37], vcc
	s_xor_b64 s[36:37], exec, s[36:37]
	s_cbranch_execz .LBB8_41
; %bb.40:                               ;   in Loop: Header=BB8_23 Depth=2
	s_ashr_i32 s38, s0, 31
	s_add_u32 s40, s55, s38
	s_mov_b32 s39, s38
	s_addc_u32 s41, s0, s38
	s_xor_b64 s[40:41], s[40:41], s[38:39]
	v_cvt_f32_u32_e32 v3, s40
	v_cvt_f32_u32_e32 v5, s41
	s_sub_u32 s16, 0, s40
	s_subb_u32 s31, 0, s41
	v_mac_f32_e32 v3, 0x4f800000, v5
	v_rcp_f32_e32 v3, v3
	v_mul_f32_e32 v3, 0x5f7ffffc, v3
	v_mul_f32_e32 v5, 0x2f800000, v3
	v_trunc_f32_e32 v5, v5
	v_mac_f32_e32 v3, 0xcf800000, v5
	v_cvt_u32_f32_e32 v5, v5
	v_cvt_u32_f32_e32 v3, v3
	v_readfirstlane_b32 s39, v5
	v_readfirstlane_b32 s0, v3
	s_mul_i32 s1, s16, s39
	s_mul_hi_u32 s58, s16, s0
	s_mul_i32 s57, s31, s0
	s_add_i32 s1, s58, s1
	s_add_i32 s1, s1, s57
	s_mul_i32 s59, s16, s0
	s_mul_i32 s58, s0, s1
	s_mul_hi_u32 s60, s0, s59
	s_mul_hi_u32 s57, s0, s1
	s_add_u32 s58, s60, s58
	s_addc_u32 s57, 0, s57
	s_mul_hi_u32 s61, s39, s59
	s_mul_i32 s59, s39, s59
	s_add_u32 s58, s58, s59
	s_mul_hi_u32 s60, s39, s1
	s_addc_u32 s57, s57, s61
	s_addc_u32 s58, s60, 0
	s_mul_i32 s1, s39, s1
	s_add_u32 s1, s57, s1
	s_addc_u32 s57, 0, s58
	s_add_u32 s58, s0, s1
	s_cselect_b64 s[0:1], -1, 0
	s_cmp_lg_u64 s[0:1], 0
	s_addc_u32 s39, s39, s57
	s_mul_i32 s0, s16, s39
	s_mul_hi_u32 s1, s16, s58
	s_add_i32 s0, s1, s0
	s_mul_i32 s31, s31, s58
	s_add_i32 s0, s0, s31
	s_mul_i32 s16, s16, s58
	s_mul_hi_u32 s31, s39, s16
	s_mul_i32 s57, s39, s16
	s_mul_i32 s60, s58, s0
	s_mul_hi_u32 s16, s58, s16
	s_mul_hi_u32 s59, s58, s0
	s_add_u32 s16, s16, s60
	s_addc_u32 s59, 0, s59
	s_add_u32 s16, s16, s57
	s_mul_hi_u32 s1, s39, s0
	s_addc_u32 s16, s59, s31
	s_addc_u32 s1, s1, 0
	s_mul_i32 s0, s39, s0
	s_add_u32 s0, s16, s0
	s_addc_u32 s16, 0, s1
	s_add_u32 s31, s58, s0
	s_cselect_b64 s[0:1], -1, 0
	v_ashrrev_i32_e32 v3, 31, v17
	s_cmp_lg_u64 s[0:1], 0
	v_add_co_u32_e32 v5, vcc, v16, v3
	s_addc_u32 s16, s39, s16
	v_xor_b32_e32 v5, v5, v3
	v_addc_co_u32_e32 v7, vcc, v17, v3, vcc
	v_mad_u64_u32 v[17:18], s[0:1], v5, s16, 0
	v_mul_hi_u32 v9, v5, s31
	v_xor_b32_e32 v7, v7, v3
	v_mad_u64_u32 v[19:20], s[0:1], v7, s16, 0
	v_add_co_u32_e32 v9, vcc, v9, v17
	v_addc_co_u32_e32 v11, vcc, 0, v18, vcc
	v_mad_u64_u32 v[17:18], s[0:1], v7, s31, 0
	v_xor_b32_e32 v3, s38, v3
	v_add_co_u32_e32 v9, vcc, v9, v17
	v_addc_co_u32_e32 v9, vcc, v11, v18, vcc
	v_addc_co_u32_e32 v11, vcc, 0, v20, vcc
	v_add_co_u32_e32 v9, vcc, v9, v19
	v_addc_co_u32_e32 v11, vcc, 0, v11, vcc
	v_mul_lo_u32 v13, s41, v9
	v_mul_lo_u32 v15, s40, v11
	v_mad_u64_u32 v[17:18], s[0:1], s40, v9, 0
	v_add3_u32 v13, v18, v15, v13
	v_sub_u32_e32 v15, v7, v13
	v_mov_b32_e32 v18, s41
	v_sub_co_u32_e32 v5, vcc, v5, v17
	v_subb_co_u32_e64 v15, s[0:1], v15, v18, vcc
	v_subrev_co_u32_e64 v17, s[0:1], s40, v5
	v_subbrev_co_u32_e64 v15, s[0:1], 0, v15, s[0:1]
	v_cmp_le_u32_e64 s[0:1], s41, v15
	v_cndmask_b32_e64 v18, 0, -1, s[0:1]
	v_cmp_le_u32_e64 s[0:1], s40, v17
	v_cndmask_b32_e64 v17, 0, -1, s[0:1]
	v_cmp_eq_u32_e64 s[0:1], s41, v15
	v_cndmask_b32_e64 v15, v18, v17, s[0:1]
	v_add_co_u32_e64 v17, s[0:1], 2, v9
	v_subb_co_u32_e32 v7, vcc, v7, v13, vcc
	v_addc_co_u32_e64 v18, s[0:1], 0, v11, s[0:1]
	v_cmp_le_u32_e32 vcc, s41, v7
	v_add_co_u32_e64 v19, s[0:1], 1, v9
	v_cndmask_b32_e64 v13, 0, -1, vcc
	v_cmp_le_u32_e32 vcc, s40, v5
	v_addc_co_u32_e64 v20, s[0:1], 0, v11, s[0:1]
	v_cndmask_b32_e64 v5, 0, -1, vcc
	v_cmp_eq_u32_e32 vcc, s41, v7
	v_cmp_ne_u32_e64 s[0:1], 0, v15
	v_cndmask_b32_e32 v5, v13, v5, vcc
	v_cmp_ne_u32_e32 vcc, 0, v5
	v_cndmask_b32_e64 v7, v19, v17, s[0:1]
	v_cndmask_b32_e64 v15, v20, v18, s[0:1]
	v_cndmask_b32_e32 v7, v9, v7, vcc
	v_cndmask_b32_e32 v5, v11, v15, vcc
	v_xor_b32_e32 v7, v7, v3
	v_xor_b32_e32 v5, v5, v3
	v_sub_co_u32_e32 v18, vcc, v7, v3
	v_subb_co_u32_e32 v19, vcc, v5, v3, vcc
.LBB8_41:                               ;   in Loop: Header=BB8_23 Depth=2
	s_andn2_saveexec_b64 s[0:1], s[36:37]
	s_cbranch_execz .LBB8_43
; %bb.42:                               ;   in Loop: Header=BB8_23 Depth=2
	v_cvt_f32_u32_e32 v3, s55
	s_sub_i32 s16, 0, s55
	v_mov_b32_e32 v19, v2
	v_rcp_iflag_f32_e32 v3, v3
	v_mul_f32_e32 v3, 0x4f7ffffe, v3
	v_cvt_u32_f32_e32 v3, v3
	v_mul_lo_u32 v5, s16, v3
	v_mul_hi_u32 v5, v3, v5
	v_add_u32_e32 v3, v3, v5
	v_mul_hi_u32 v3, v16, v3
	v_mul_lo_u32 v5, v3, s55
	v_add_u32_e32 v7, 1, v3
	v_sub_u32_e32 v5, v16, v5
	v_subrev_u32_e32 v9, s55, v5
	v_cmp_le_u32_e32 vcc, s55, v5
	v_cndmask_b32_e32 v5, v5, v9, vcc
	v_cndmask_b32_e32 v3, v3, v7, vcc
	v_add_u32_e32 v7, 1, v3
	v_cmp_le_u32_e32 vcc, s55, v5
	v_cndmask_b32_e32 v18, v3, v7, vcc
.LBB8_43:                               ;   in Loop: Header=BB8_23 Depth=2
	s_or_b64 exec, exec, s[0:1]
	s_add_u32 s0, s4, s34
	s_addc_u32 s1, s5, s35
	s_add_i32 s16, s30, 2
	s_lshl_b64 s[34:35], s[16:17], 2
	s_add_u32 s36, s42, s34
	s_addc_u32 s37, s43, s35
	s_load_dword s58, s[36:37], 0x8
	s_load_dword s57, s[0:1], 0x6c
                                        ; implicit-def: $vgpr20_vgpr21
	s_waitcnt lgkmcnt(0)
	s_ashr_i32 s0, s58, 31
	v_or_b32_e32 v3, s0, v19
	v_cmp_ne_u64_e32 vcc, 0, v[2:3]
	s_and_saveexec_b64 s[36:37], vcc
	s_xor_b64 s[36:37], exec, s[36:37]
	s_cbranch_execz .LBB8_45
; %bb.44:                               ;   in Loop: Header=BB8_23 Depth=2
	s_ashr_i32 s38, s0, 31
	s_add_u32 s40, s58, s38
	s_mov_b32 s39, s38
	s_addc_u32 s41, s0, s38
	s_xor_b64 s[40:41], s[40:41], s[38:39]
	v_cvt_f32_u32_e32 v3, s40
	v_cvt_f32_u32_e32 v5, s41
	s_sub_u32 s16, 0, s40
	s_subb_u32 s31, 0, s41
	v_mov_b32_e32 v17, s41
	v_mac_f32_e32 v3, 0x4f800000, v5
	v_rcp_f32_e32 v3, v3
	v_mul_f32_e32 v3, 0x5f7ffffc, v3
	v_mul_f32_e32 v5, 0x2f800000, v3
	v_trunc_f32_e32 v5, v5
	v_mac_f32_e32 v3, 0xcf800000, v5
	v_cvt_u32_f32_e32 v5, v5
	v_cvt_u32_f32_e32 v3, v3
	v_readfirstlane_b32 s39, v5
	v_readfirstlane_b32 s0, v3
	s_mul_i32 s1, s16, s39
	s_mul_hi_u32 s60, s16, s0
	s_mul_i32 s59, s31, s0
	s_add_i32 s1, s60, s1
	s_add_i32 s1, s1, s59
	s_mul_i32 s61, s16, s0
	s_mul_i32 s60, s0, s1
	s_mul_hi_u32 s62, s0, s61
	s_mul_hi_u32 s59, s0, s1
	s_add_u32 s60, s62, s60
	s_addc_u32 s59, 0, s59
	s_mul_hi_u32 s63, s39, s61
	s_mul_i32 s61, s39, s61
	s_add_u32 s60, s60, s61
	s_mul_hi_u32 s62, s39, s1
	s_addc_u32 s59, s59, s63
	s_addc_u32 s60, s62, 0
	s_mul_i32 s1, s39, s1
	s_add_u32 s1, s59, s1
	s_addc_u32 s59, 0, s60
	s_add_u32 s60, s0, s1
	s_cselect_b64 s[0:1], -1, 0
	s_cmp_lg_u64 s[0:1], 0
	s_addc_u32 s39, s39, s59
	s_mul_i32 s0, s16, s39
	s_mul_hi_u32 s1, s16, s60
	s_add_i32 s0, s1, s0
	s_mul_i32 s31, s31, s60
	s_add_i32 s0, s0, s31
	s_mul_i32 s16, s16, s60
	s_mul_hi_u32 s31, s39, s16
	s_mul_i32 s59, s39, s16
	s_mul_i32 s62, s60, s0
	s_mul_hi_u32 s16, s60, s16
	s_mul_hi_u32 s61, s60, s0
	s_add_u32 s16, s16, s62
	s_addc_u32 s61, 0, s61
	s_add_u32 s16, s16, s59
	s_mul_hi_u32 s1, s39, s0
	s_addc_u32 s16, s61, s31
	s_addc_u32 s1, s1, 0
	s_mul_i32 s0, s39, s0
	s_add_u32 s0, s16, s0
	s_addc_u32 s16, 0, s1
	s_add_u32 s31, s60, s0
	s_cselect_b64 s[0:1], -1, 0
	v_ashrrev_i32_e32 v3, 31, v19
	s_cmp_lg_u64 s[0:1], 0
	v_add_co_u32_e32 v5, vcc, v18, v3
	s_addc_u32 s16, s39, s16
	v_xor_b32_e32 v5, v5, v3
	v_addc_co_u32_e32 v7, vcc, v19, v3, vcc
	v_mad_u64_u32 v[19:20], s[0:1], v5, s16, 0
	v_mul_hi_u32 v9, v5, s31
	v_xor_b32_e32 v7, v7, v3
	v_mad_u64_u32 v[21:22], s[0:1], v7, s16, 0
	v_add_co_u32_e32 v9, vcc, v9, v19
	v_addc_co_u32_e32 v11, vcc, 0, v20, vcc
	v_mad_u64_u32 v[19:20], s[0:1], v7, s31, 0
	v_xor_b32_e32 v3, s38, v3
	v_add_co_u32_e32 v9, vcc, v9, v19
	v_addc_co_u32_e32 v9, vcc, v11, v20, vcc
	v_addc_co_u32_e32 v11, vcc, 0, v22, vcc
	v_add_co_u32_e32 v9, vcc, v9, v21
	v_addc_co_u32_e32 v11, vcc, 0, v11, vcc
	v_mul_lo_u32 v13, s41, v9
	v_mul_lo_u32 v15, s40, v11
	v_mad_u64_u32 v[19:20], s[0:1], s40, v9, 0
	v_add3_u32 v13, v20, v15, v13
	v_sub_u32_e32 v15, v7, v13
	v_sub_co_u32_e32 v5, vcc, v5, v19
	v_subb_co_u32_e64 v15, s[0:1], v15, v17, vcc
	v_subrev_co_u32_e64 v17, s[0:1], s40, v5
	v_subbrev_co_u32_e64 v15, s[0:1], 0, v15, s[0:1]
	v_cmp_le_u32_e64 s[0:1], s41, v15
	v_cndmask_b32_e64 v19, 0, -1, s[0:1]
	v_cmp_le_u32_e64 s[0:1], s40, v17
	v_cndmask_b32_e64 v17, 0, -1, s[0:1]
	v_cmp_eq_u32_e64 s[0:1], s41, v15
	v_cndmask_b32_e64 v15, v19, v17, s[0:1]
	v_add_co_u32_e64 v17, s[0:1], 2, v9
	v_subb_co_u32_e32 v7, vcc, v7, v13, vcc
	v_addc_co_u32_e64 v19, s[0:1], 0, v11, s[0:1]
	v_cmp_le_u32_e32 vcc, s41, v7
	v_add_co_u32_e64 v20, s[0:1], 1, v9
	v_cndmask_b32_e64 v13, 0, -1, vcc
	v_cmp_le_u32_e32 vcc, s40, v5
	v_addc_co_u32_e64 v21, s[0:1], 0, v11, s[0:1]
	v_cndmask_b32_e64 v5, 0, -1, vcc
	v_cmp_eq_u32_e32 vcc, s41, v7
	v_cmp_ne_u32_e64 s[0:1], 0, v15
	v_cndmask_b32_e32 v5, v13, v5, vcc
	v_cmp_ne_u32_e32 vcc, 0, v5
	v_cndmask_b32_e64 v7, v20, v17, s[0:1]
	v_cndmask_b32_e64 v15, v21, v19, s[0:1]
	v_cndmask_b32_e32 v7, v9, v7, vcc
	v_cndmask_b32_e32 v5, v11, v15, vcc
	v_xor_b32_e32 v7, v7, v3
	v_xor_b32_e32 v5, v5, v3
	v_sub_co_u32_e32 v20, vcc, v7, v3
	v_subb_co_u32_e32 v21, vcc, v5, v3, vcc
.LBB8_45:                               ;   in Loop: Header=BB8_23 Depth=2
	s_andn2_saveexec_b64 s[0:1], s[36:37]
	s_cbranch_execz .LBB8_47
; %bb.46:                               ;   in Loop: Header=BB8_23 Depth=2
	v_cvt_f32_u32_e32 v3, s58
	s_sub_i32 s16, 0, s58
	v_mov_b32_e32 v21, v2
	v_rcp_iflag_f32_e32 v3, v3
	v_mul_f32_e32 v3, 0x4f7ffffe, v3
	v_cvt_u32_f32_e32 v3, v3
	v_mul_lo_u32 v5, s16, v3
	v_mul_hi_u32 v5, v3, v5
	v_add_u32_e32 v3, v3, v5
	v_mul_hi_u32 v3, v18, v3
	v_mul_lo_u32 v5, v3, s58
	v_add_u32_e32 v7, 1, v3
	v_sub_u32_e32 v5, v18, v5
	v_subrev_u32_e32 v9, s58, v5
	v_cmp_le_u32_e32 vcc, s58, v5
	v_cndmask_b32_e32 v5, v5, v9, vcc
	v_cndmask_b32_e32 v3, v3, v7, vcc
	v_add_u32_e32 v7, 1, v3
	v_cmp_le_u32_e32 vcc, s58, v5
	v_cndmask_b32_e32 v20, v3, v7, vcc
.LBB8_47:                               ;   in Loop: Header=BB8_23 Depth=2
	s_or_b64 exec, exec, s[0:1]
	s_add_u32 s0, s4, s34
	s_addc_u32 s1, s5, s35
	s_add_i32 s16, s30, 1
	s_lshl_b64 s[34:35], s[16:17], 2
	s_add_u32 s36, s42, s34
	s_addc_u32 s37, s43, s35
	s_load_dword s59, s[36:37], 0x8
	s_load_dword s16, s[0:1], 0x6c
                                        ; implicit-def: $vgpr22_vgpr23
	s_waitcnt lgkmcnt(0)
	s_ashr_i32 s0, s59, 31
	v_or_b32_e32 v3, s0, v21
	v_cmp_ne_u64_e32 vcc, 0, v[2:3]
	s_and_saveexec_b64 s[36:37], vcc
	s_xor_b64 s[36:37], exec, s[36:37]
	s_cbranch_execz .LBB8_49
; %bb.48:                               ;   in Loop: Header=BB8_23 Depth=2
	s_ashr_i32 s38, s0, 31
	s_add_u32 s40, s59, s38
	s_mov_b32 s39, s38
	s_addc_u32 s41, s0, s38
	s_xor_b64 s[40:41], s[40:41], s[38:39]
	v_cvt_f32_u32_e32 v3, s40
	v_cvt_f32_u32_e32 v5, s41
	s_sub_u32 s31, 0, s40
	s_subb_u32 s39, 0, s41
	v_mov_b32_e32 v17, s41
	v_mac_f32_e32 v3, 0x4f800000, v5
	v_rcp_f32_e32 v3, v3
	v_mul_f32_e32 v3, 0x5f7ffffc, v3
	v_mul_f32_e32 v5, 0x2f800000, v3
	v_trunc_f32_e32 v5, v5
	v_mac_f32_e32 v3, 0xcf800000, v5
	v_cvt_u32_f32_e32 v5, v5
	v_cvt_u32_f32_e32 v3, v3
	v_readfirstlane_b32 s60, v5
	v_readfirstlane_b32 s0, v3
	s_mul_i32 s1, s31, s60
	s_mul_hi_u32 s62, s31, s0
	s_mul_i32 s61, s39, s0
	s_add_i32 s1, s62, s1
	s_add_i32 s1, s1, s61
	s_mul_i32 s63, s31, s0
	s_mul_i32 s62, s0, s1
	s_mul_hi_u32 s64, s0, s63
	s_mul_hi_u32 s61, s0, s1
	s_add_u32 s62, s64, s62
	s_addc_u32 s61, 0, s61
	s_mul_hi_u32 s65, s60, s63
	s_mul_i32 s63, s60, s63
	s_add_u32 s62, s62, s63
	s_mul_hi_u32 s64, s60, s1
	s_addc_u32 s61, s61, s65
	s_addc_u32 s62, s64, 0
	s_mul_i32 s1, s60, s1
	s_add_u32 s1, s61, s1
	s_addc_u32 s61, 0, s62
	s_add_u32 s62, s0, s1
	s_cselect_b64 s[0:1], -1, 0
	s_cmp_lg_u64 s[0:1], 0
	s_addc_u32 s60, s60, s61
	s_mul_i32 s0, s31, s60
	s_mul_hi_u32 s1, s31, s62
	s_add_i32 s0, s1, s0
	s_mul_i32 s39, s39, s62
	s_add_i32 s0, s0, s39
	s_mul_i32 s31, s31, s62
	s_mul_hi_u32 s39, s60, s31
	s_mul_i32 s61, s60, s31
	s_mul_i32 s64, s62, s0
	s_mul_hi_u32 s31, s62, s31
	s_mul_hi_u32 s63, s62, s0
	s_add_u32 s31, s31, s64
	s_addc_u32 s63, 0, s63
	s_add_u32 s31, s31, s61
	s_mul_hi_u32 s1, s60, s0
	s_addc_u32 s31, s63, s39
	s_addc_u32 s1, s1, 0
	s_mul_i32 s0, s60, s0
	s_add_u32 s0, s31, s0
	s_addc_u32 s31, 0, s1
	s_add_u32 s39, s62, s0
	s_cselect_b64 s[0:1], -1, 0
	v_ashrrev_i32_e32 v3, 31, v21
	s_cmp_lg_u64 s[0:1], 0
	v_add_co_u32_e32 v5, vcc, v20, v3
	s_addc_u32 s31, s60, s31
	v_xor_b32_e32 v5, v5, v3
	v_addc_co_u32_e32 v7, vcc, v21, v3, vcc
	v_mad_u64_u32 v[21:22], s[0:1], v5, s31, 0
	v_mul_hi_u32 v9, v5, s39
	v_xor_b32_e32 v7, v7, v3
	v_mad_u64_u32 v[23:24], s[0:1], v7, s31, 0
	v_add_co_u32_e32 v9, vcc, v9, v21
	v_addc_co_u32_e32 v11, vcc, 0, v22, vcc
	v_mad_u64_u32 v[21:22], s[0:1], v7, s39, 0
	v_xor_b32_e32 v3, s38, v3
	v_add_co_u32_e32 v9, vcc, v9, v21
	v_addc_co_u32_e32 v9, vcc, v11, v22, vcc
	v_addc_co_u32_e32 v11, vcc, 0, v24, vcc
	v_add_co_u32_e32 v9, vcc, v9, v23
	v_addc_co_u32_e32 v11, vcc, 0, v11, vcc
	v_mul_lo_u32 v13, s41, v9
	v_mul_lo_u32 v15, s40, v11
	v_mad_u64_u32 v[21:22], s[0:1], s40, v9, 0
	v_add3_u32 v13, v22, v15, v13
	v_sub_u32_e32 v15, v7, v13
	v_sub_co_u32_e32 v5, vcc, v5, v21
	v_subb_co_u32_e64 v15, s[0:1], v15, v17, vcc
	v_subrev_co_u32_e64 v17, s[0:1], s40, v5
	v_subbrev_co_u32_e64 v15, s[0:1], 0, v15, s[0:1]
	v_cmp_le_u32_e64 s[0:1], s41, v15
	v_cndmask_b32_e64 v19, 0, -1, s[0:1]
	v_cmp_le_u32_e64 s[0:1], s40, v17
	v_cndmask_b32_e64 v17, 0, -1, s[0:1]
	v_cmp_eq_u32_e64 s[0:1], s41, v15
	v_cndmask_b32_e64 v15, v19, v17, s[0:1]
	v_add_co_u32_e64 v17, s[0:1], 2, v9
	v_subb_co_u32_e32 v7, vcc, v7, v13, vcc
	v_addc_co_u32_e64 v19, s[0:1], 0, v11, s[0:1]
	v_cmp_le_u32_e32 vcc, s41, v7
	v_add_co_u32_e64 v21, s[0:1], 1, v9
	v_cndmask_b32_e64 v13, 0, -1, vcc
	v_cmp_le_u32_e32 vcc, s40, v5
	v_addc_co_u32_e64 v22, s[0:1], 0, v11, s[0:1]
	v_cndmask_b32_e64 v5, 0, -1, vcc
	v_cmp_eq_u32_e32 vcc, s41, v7
	v_cmp_ne_u32_e64 s[0:1], 0, v15
	v_cndmask_b32_e32 v5, v13, v5, vcc
	v_cmp_ne_u32_e32 vcc, 0, v5
	v_cndmask_b32_e64 v7, v21, v17, s[0:1]
	v_cndmask_b32_e64 v15, v22, v19, s[0:1]
	v_cndmask_b32_e32 v7, v9, v7, vcc
	v_cndmask_b32_e32 v5, v11, v15, vcc
	v_xor_b32_e32 v7, v7, v3
	v_xor_b32_e32 v5, v5, v3
	v_sub_co_u32_e32 v22, vcc, v7, v3
	v_subb_co_u32_e32 v23, vcc, v5, v3, vcc
.LBB8_49:                               ;   in Loop: Header=BB8_23 Depth=2
	s_andn2_saveexec_b64 s[0:1], s[36:37]
	s_cbranch_execz .LBB8_51
; %bb.50:                               ;   in Loop: Header=BB8_23 Depth=2
	v_cvt_f32_u32_e32 v3, s59
	s_sub_i32 s31, 0, s59
	v_mov_b32_e32 v23, v2
	v_rcp_iflag_f32_e32 v3, v3
	v_mul_f32_e32 v3, 0x4f7ffffe, v3
	v_cvt_u32_f32_e32 v3, v3
	v_mul_lo_u32 v5, s31, v3
	v_mul_hi_u32 v5, v3, v5
	v_add_u32_e32 v3, v3, v5
	v_mul_hi_u32 v3, v20, v3
	v_mul_lo_u32 v5, v3, s59
	v_add_u32_e32 v7, 1, v3
	v_sub_u32_e32 v5, v20, v5
	v_subrev_u32_e32 v9, s59, v5
	v_cmp_le_u32_e32 vcc, s59, v5
	v_cndmask_b32_e32 v5, v5, v9, vcc
	v_cndmask_b32_e32 v3, v3, v7, vcc
	v_add_u32_e32 v7, 1, v3
	v_cmp_le_u32_e32 vcc, s59, v5
	v_cndmask_b32_e32 v22, v3, v7, vcc
.LBB8_51:                               ;   in Loop: Header=BB8_23 Depth=2
	s_or_b64 exec, exec, s[0:1]
	s_add_u32 s0, s4, s34
	s_mov_b32 s31, s17
	s_addc_u32 s1, s5, s35
	s_lshl_b64 s[34:35], s[30:31], 2
	s_add_u32 s36, s42, s34
	s_addc_u32 s37, s43, s35
	s_load_dword s60, s[36:37], 0x8
	s_load_dword s31, s[0:1], 0x6c
                                        ; implicit-def: $vgpr24_vgpr25
	s_waitcnt lgkmcnt(0)
	s_ashr_i32 s0, s60, 31
	v_or_b32_e32 v3, s0, v23
	v_cmp_ne_u64_e32 vcc, 0, v[2:3]
	s_and_saveexec_b64 s[36:37], vcc
	s_xor_b64 s[36:37], exec, s[36:37]
	s_cbranch_execz .LBB8_53
; %bb.52:                               ;   in Loop: Header=BB8_23 Depth=2
	s_ashr_i32 s38, s0, 31
	s_add_u32 s40, s60, s38
	s_mov_b32 s39, s38
	s_addc_u32 s41, s0, s38
	s_xor_b64 s[40:41], s[40:41], s[38:39]
	v_cvt_f32_u32_e32 v3, s40
	v_cvt_f32_u32_e32 v5, s41
	s_sub_u32 s39, 0, s40
	s_subb_u32 s61, 0, s41
	v_mov_b32_e32 v17, s41
	v_mac_f32_e32 v3, 0x4f800000, v5
	v_rcp_f32_e32 v3, v3
	v_mul_f32_e32 v3, 0x5f7ffffc, v3
	v_mul_f32_e32 v5, 0x2f800000, v3
	v_trunc_f32_e32 v5, v5
	v_mac_f32_e32 v3, 0xcf800000, v5
	v_cvt_u32_f32_e32 v5, v5
	v_cvt_u32_f32_e32 v3, v3
	v_readfirstlane_b32 s62, v5
	v_readfirstlane_b32 s0, v3
	s_mul_i32 s1, s39, s62
	s_mul_hi_u32 s64, s39, s0
	s_mul_i32 s63, s61, s0
	s_add_i32 s1, s64, s1
	s_add_i32 s1, s1, s63
	s_mul_i32 s65, s39, s0
	s_mul_i32 s64, s0, s1
	s_mul_hi_u32 s66, s0, s65
	s_mul_hi_u32 s63, s0, s1
	s_add_u32 s64, s66, s64
	s_addc_u32 s63, 0, s63
	s_mul_hi_u32 s67, s62, s65
	s_mul_i32 s65, s62, s65
	s_add_u32 s64, s64, s65
	s_mul_hi_u32 s66, s62, s1
	s_addc_u32 s63, s63, s67
	s_addc_u32 s64, s66, 0
	s_mul_i32 s1, s62, s1
	s_add_u32 s1, s63, s1
	s_addc_u32 s63, 0, s64
	s_add_u32 s64, s0, s1
	s_cselect_b64 s[0:1], -1, 0
	s_cmp_lg_u64 s[0:1], 0
	s_addc_u32 s62, s62, s63
	s_mul_i32 s0, s39, s62
	s_mul_hi_u32 s1, s39, s64
	s_add_i32 s0, s1, s0
	s_mul_i32 s61, s61, s64
	s_add_i32 s0, s0, s61
	s_mul_i32 s39, s39, s64
	s_mul_hi_u32 s61, s62, s39
	s_mul_i32 s63, s62, s39
	s_mul_i32 s66, s64, s0
	s_mul_hi_u32 s39, s64, s39
	s_mul_hi_u32 s65, s64, s0
	s_add_u32 s39, s39, s66
	s_addc_u32 s65, 0, s65
	s_add_u32 s39, s39, s63
	s_mul_hi_u32 s1, s62, s0
	s_addc_u32 s39, s65, s61
	s_addc_u32 s1, s1, 0
	s_mul_i32 s0, s62, s0
	s_add_u32 s0, s39, s0
	s_addc_u32 s39, 0, s1
	s_add_u32 s61, s64, s0
	s_cselect_b64 s[0:1], -1, 0
	v_ashrrev_i32_e32 v3, 31, v23
	s_cmp_lg_u64 s[0:1], 0
	v_add_co_u32_e32 v5, vcc, v22, v3
	s_addc_u32 s39, s62, s39
	v_xor_b32_e32 v5, v5, v3
	v_addc_co_u32_e32 v7, vcc, v23, v3, vcc
	v_mad_u64_u32 v[23:24], s[0:1], v5, s39, 0
	v_mul_hi_u32 v9, v5, s61
	v_xor_b32_e32 v7, v7, v3
	v_mad_u64_u32 v[28:29], s[0:1], v7, s39, 0
	v_add_co_u32_e32 v9, vcc, v9, v23
	v_addc_co_u32_e32 v11, vcc, 0, v24, vcc
	v_mad_u64_u32 v[23:24], s[0:1], v7, s61, 0
	v_xor_b32_e32 v3, s38, v3
	v_add_co_u32_e32 v9, vcc, v9, v23
	v_addc_co_u32_e32 v9, vcc, v11, v24, vcc
	v_addc_co_u32_e32 v11, vcc, 0, v29, vcc
	v_add_co_u32_e32 v9, vcc, v9, v28
	v_addc_co_u32_e32 v11, vcc, 0, v11, vcc
	v_mul_lo_u32 v13, s41, v9
	v_mul_lo_u32 v15, s40, v11
	v_mad_u64_u32 v[23:24], s[0:1], s40, v9, 0
	v_add3_u32 v13, v24, v15, v13
	v_sub_u32_e32 v15, v7, v13
	v_sub_co_u32_e32 v5, vcc, v5, v23
	v_subb_co_u32_e64 v15, s[0:1], v15, v17, vcc
	v_subrev_co_u32_e64 v17, s[0:1], s40, v5
	v_subbrev_co_u32_e64 v15, s[0:1], 0, v15, s[0:1]
	v_cmp_le_u32_e64 s[0:1], s41, v15
	v_cndmask_b32_e64 v19, 0, -1, s[0:1]
	v_cmp_le_u32_e64 s[0:1], s40, v17
	v_cndmask_b32_e64 v17, 0, -1, s[0:1]
	v_cmp_eq_u32_e64 s[0:1], s41, v15
	v_cndmask_b32_e64 v15, v19, v17, s[0:1]
	v_add_co_u32_e64 v17, s[0:1], 2, v9
	v_subb_co_u32_e32 v7, vcc, v7, v13, vcc
	v_addc_co_u32_e64 v19, s[0:1], 0, v11, s[0:1]
	v_cmp_le_u32_e32 vcc, s41, v7
	v_add_co_u32_e64 v21, s[0:1], 1, v9
	v_cndmask_b32_e64 v13, 0, -1, vcc
	v_cmp_le_u32_e32 vcc, s40, v5
	v_addc_co_u32_e64 v23, s[0:1], 0, v11, s[0:1]
	v_cndmask_b32_e64 v5, 0, -1, vcc
	v_cmp_eq_u32_e32 vcc, s41, v7
	v_cmp_ne_u32_e64 s[0:1], 0, v15
	v_cndmask_b32_e32 v5, v13, v5, vcc
	v_cmp_ne_u32_e32 vcc, 0, v5
	v_cndmask_b32_e64 v7, v21, v17, s[0:1]
	v_cndmask_b32_e64 v15, v23, v19, s[0:1]
	v_cndmask_b32_e32 v7, v9, v7, vcc
	v_cndmask_b32_e32 v5, v11, v15, vcc
	v_xor_b32_e32 v7, v7, v3
	v_xor_b32_e32 v5, v5, v3
	v_sub_co_u32_e32 v24, vcc, v7, v3
	v_subb_co_u32_e32 v25, vcc, v5, v3, vcc
.LBB8_53:                               ;   in Loop: Header=BB8_23 Depth=2
	s_andn2_saveexec_b64 s[0:1], s[36:37]
	s_cbranch_execz .LBB8_55
; %bb.54:                               ;   in Loop: Header=BB8_23 Depth=2
	v_cvt_f32_u32_e32 v3, s60
	s_sub_i32 s36, 0, s60
	v_mov_b32_e32 v25, v2
	v_rcp_iflag_f32_e32 v3, v3
	v_mul_f32_e32 v3, 0x4f7ffffe, v3
	v_cvt_u32_f32_e32 v3, v3
	v_mul_lo_u32 v5, s36, v3
	v_mul_hi_u32 v5, v3, v5
	v_add_u32_e32 v3, v3, v5
	v_mul_hi_u32 v3, v22, v3
	v_mul_lo_u32 v5, v3, s60
	v_add_u32_e32 v7, 1, v3
	v_sub_u32_e32 v5, v22, v5
	v_subrev_u32_e32 v9, s60, v5
	v_cmp_le_u32_e32 vcc, s60, v5
	v_cndmask_b32_e32 v5, v5, v9, vcc
	v_cndmask_b32_e32 v3, v3, v7, vcc
	v_add_u32_e32 v7, 1, v3
	v_cmp_le_u32_e32 vcc, s60, v5
	v_cndmask_b32_e32 v24, v3, v7, vcc
.LBB8_55:                               ;   in Loop: Header=BB8_23 Depth=2
	s_or_b64 exec, exec, s[0:1]
	v_mul_lo_u32 v3, v10, s25
	v_mul_lo_u32 v5, v12, s50
	v_mul_lo_u32 v7, v14, s52
	s_add_u32 s0, s4, s34
	v_sub_u32_e32 v3, v8, v3
	v_mul_lo_u32 v8, v16, s54
	v_sub_u32_e32 v5, v10, v5
	v_mul_lo_u32 v3, s28, v3
	v_mul_lo_u32 v5, s51, v5
	v_sub_u32_e32 v7, v12, v7
	v_sub_u32_e32 v8, v14, v8
	v_mul_lo_u32 v7, s53, v7
	v_mul_lo_u32 v8, s56, v8
	;; [unrolled: 1-line block ×3, first 2 shown]
	v_add3_u32 v3, v3, v6, v5
	v_mul_lo_u32 v5, v20, s58
	s_addc_u32 s1, s5, s35
	v_add3_u32 v3, v7, v3, v8
	v_mul_lo_u32 v7, v22, s59
	v_mul_lo_u32 v8, v24, s60
	s_load_dword s0, s[0:1], 0x6c
	v_sub_u32_e32 v6, v16, v9
	v_sub_u32_e32 v5, v18, v5
	v_mul_lo_u32 v6, s57, v6
	v_mul_lo_u32 v5, s16, v5
	v_sub_u32_e32 v7, v20, v7
	v_sub_u32_e32 v8, v22, v8
	v_mul_lo_u32 v7, s31, v7
	s_waitcnt lgkmcnt(0)
	v_mul_lo_u32 v8, s0, v8
	v_add3_u32 v3, v6, v3, v5
	s_add_i32 s30, s30, -8
	s_cmp_eq_u32 s30, -8
	v_add3_u32 v6, v7, v3, v8
	s_cbranch_scc1 .LBB8_57
; %bb.56:                               ;   in Loop: Header=BB8_23 Depth=2
	v_mov_b32_e32 v8, v24
	v_mov_b32_e32 v9, v25
	s_branch .LBB8_23
.LBB8_57:                               ;   in Loop: Header=BB8_3 Depth=1
	s_load_dword s16, s[2:3], 0x4
	s_waitcnt lgkmcnt(0)
	v_cmp_gt_i32_e32 vcc, s16, v27
	s_and_b64 exec, exec, vcc
	s_cbranch_execz .LBB8_2
; %bb.58:                               ;   in Loop: Header=BB8_3 Depth=1
	v_ashrrev_i32_e32 v5, 31, v4
	v_cmp_lt_i64_e32 vcc, s[8:9], v[4:5]
	s_and_saveexec_b64 s[0:1], vcc
	s_cbranch_execz .LBB8_60
; %bb.59:                               ;   in Loop: Header=BB8_3 Depth=1
	v_ashrrev_i32_e32 v7, 31, v6
	v_lshlrev_b64 v[3:4], 2, v[6:7]
	v_mov_b32_e32 v5, s13
	v_add_co_u32_e32 v3, vcc, s12, v3
	v_addc_co_u32_e32 v4, vcc, v5, v4, vcc
	global_store_dword v[3:4], v2, off
.LBB8_60:                               ;   in Loop: Header=BB8_3 Depth=1
	s_or_b64 exec, exec, s[0:1]
	v_add_u32_e32 v3, 1, v27
	v_cmp_gt_i32_e32 vcc, s16, v3
	s_and_b64 exec, exec, vcc
	s_cbranch_execz .LBB8_2
; %bb.61:                               ;   in Loop: Header=BB8_3 Depth=1
	v_sub_u32_e32 v3, v3, v26
	v_ashrrev_i32_e32 v4, 31, v3
	v_cmp_lt_i64_e32 vcc, s[8:9], v[3:4]
	s_and_b64 exec, exec, vcc
	s_cbranch_execz .LBB8_2
; %bb.62:                               ;   in Loop: Header=BB8_3 Depth=1
	v_add_u32_e32 v3, s29, v6
	v_ashrrev_i32_e32 v4, 31, v3
	v_lshlrev_b64 v[3:4], 2, v[3:4]
	v_mov_b32_e32 v5, s13
	v_add_co_u32_e32 v3, vcc, s12, v3
	v_addc_co_u32_e32 v4, vcc, v5, v4, vcc
	global_store_dword v[3:4], v2, off
	s_branch .LBB8_2
.LBB8_63:
	s_endpgm
	.section	.rodata,"a",@progbits
	.p2align	6, 0x0
	.amdhsa_kernel _ZN2at6native16triu_tril_kernelIiiLb0ELi2ELb1EEEvNS_4cuda6detail10TensorInfoIT_T0_EENS4_IKS5_S6_EEllS6_
		.amdhsa_group_segment_fixed_size 0
		.amdhsa_private_segment_fixed_size 0
		.amdhsa_kernarg_size 712
		.amdhsa_user_sgpr_count 6
		.amdhsa_user_sgpr_private_segment_buffer 1
		.amdhsa_user_sgpr_dispatch_ptr 0
		.amdhsa_user_sgpr_queue_ptr 0
		.amdhsa_user_sgpr_kernarg_segment_ptr 1
		.amdhsa_user_sgpr_dispatch_id 0
		.amdhsa_user_sgpr_flat_scratch_init 0
		.amdhsa_user_sgpr_private_segment_size 0
		.amdhsa_uses_dynamic_stack 0
		.amdhsa_system_sgpr_private_segment_wavefront_offset 0
		.amdhsa_system_sgpr_workgroup_id_x 1
		.amdhsa_system_sgpr_workgroup_id_y 0
		.amdhsa_system_sgpr_workgroup_id_z 0
		.amdhsa_system_sgpr_workgroup_info 0
		.amdhsa_system_vgpr_workitem_id 0
		.amdhsa_next_free_vgpr 30
		.amdhsa_next_free_sgpr 68
		.amdhsa_reserve_vcc 1
		.amdhsa_reserve_flat_scratch 0
		.amdhsa_float_round_mode_32 0
		.amdhsa_float_round_mode_16_64 0
		.amdhsa_float_denorm_mode_32 3
		.amdhsa_float_denorm_mode_16_64 3
		.amdhsa_dx10_clamp 1
		.amdhsa_ieee_mode 1
		.amdhsa_fp16_overflow 0
		.amdhsa_exception_fp_ieee_invalid_op 0
		.amdhsa_exception_fp_denorm_src 0
		.amdhsa_exception_fp_ieee_div_zero 0
		.amdhsa_exception_fp_ieee_overflow 0
		.amdhsa_exception_fp_ieee_underflow 0
		.amdhsa_exception_fp_ieee_inexact 0
		.amdhsa_exception_int_div_zero 0
	.end_amdhsa_kernel
	.section	.text._ZN2at6native16triu_tril_kernelIiiLb0ELi2ELb1EEEvNS_4cuda6detail10TensorInfoIT_T0_EENS4_IKS5_S6_EEllS6_,"axG",@progbits,_ZN2at6native16triu_tril_kernelIiiLb0ELi2ELb1EEEvNS_4cuda6detail10TensorInfoIT_T0_EENS4_IKS5_S6_EEllS6_,comdat
.Lfunc_end8:
	.size	_ZN2at6native16triu_tril_kernelIiiLb0ELi2ELb1EEEvNS_4cuda6detail10TensorInfoIT_T0_EENS4_IKS5_S6_EEllS6_, .Lfunc_end8-_ZN2at6native16triu_tril_kernelIiiLb0ELi2ELb1EEEvNS_4cuda6detail10TensorInfoIT_T0_EENS4_IKS5_S6_EEllS6_
                                        ; -- End function
	.set _ZN2at6native16triu_tril_kernelIiiLb0ELi2ELb1EEEvNS_4cuda6detail10TensorInfoIT_T0_EENS4_IKS5_S6_EEllS6_.num_vgpr, 30
	.set _ZN2at6native16triu_tril_kernelIiiLb0ELi2ELb1EEEvNS_4cuda6detail10TensorInfoIT_T0_EENS4_IKS5_S6_EEllS6_.num_agpr, 0
	.set _ZN2at6native16triu_tril_kernelIiiLb0ELi2ELb1EEEvNS_4cuda6detail10TensorInfoIT_T0_EENS4_IKS5_S6_EEllS6_.numbered_sgpr, 68
	.set _ZN2at6native16triu_tril_kernelIiiLb0ELi2ELb1EEEvNS_4cuda6detail10TensorInfoIT_T0_EENS4_IKS5_S6_EEllS6_.num_named_barrier, 0
	.set _ZN2at6native16triu_tril_kernelIiiLb0ELi2ELb1EEEvNS_4cuda6detail10TensorInfoIT_T0_EENS4_IKS5_S6_EEllS6_.private_seg_size, 0
	.set _ZN2at6native16triu_tril_kernelIiiLb0ELi2ELb1EEEvNS_4cuda6detail10TensorInfoIT_T0_EENS4_IKS5_S6_EEllS6_.uses_vcc, 1
	.set _ZN2at6native16triu_tril_kernelIiiLb0ELi2ELb1EEEvNS_4cuda6detail10TensorInfoIT_T0_EENS4_IKS5_S6_EEllS6_.uses_flat_scratch, 0
	.set _ZN2at6native16triu_tril_kernelIiiLb0ELi2ELb1EEEvNS_4cuda6detail10TensorInfoIT_T0_EENS4_IKS5_S6_EEllS6_.has_dyn_sized_stack, 0
	.set _ZN2at6native16triu_tril_kernelIiiLb0ELi2ELb1EEEvNS_4cuda6detail10TensorInfoIT_T0_EENS4_IKS5_S6_EEllS6_.has_recursion, 0
	.set _ZN2at6native16triu_tril_kernelIiiLb0ELi2ELb1EEEvNS_4cuda6detail10TensorInfoIT_T0_EENS4_IKS5_S6_EEllS6_.has_indirect_call, 0
	.section	.AMDGPU.csdata,"",@progbits
; Kernel info:
; codeLenInByte = 9340
; TotalNumSgprs: 72
; NumVgprs: 30
; ScratchSize: 0
; MemoryBound: 0
; FloatMode: 240
; IeeeMode: 1
; LDSByteSize: 0 bytes/workgroup (compile time only)
; SGPRBlocks: 8
; VGPRBlocks: 7
; NumSGPRsForWavesPerEU: 72
; NumVGPRsForWavesPerEU: 30
; Occupancy: 8
; WaveLimiterHint : 0
; COMPUTE_PGM_RSRC2:SCRATCH_EN: 0
; COMPUTE_PGM_RSRC2:USER_SGPR: 6
; COMPUTE_PGM_RSRC2:TRAP_HANDLER: 0
; COMPUTE_PGM_RSRC2:TGID_X_EN: 1
; COMPUTE_PGM_RSRC2:TGID_Y_EN: 0
; COMPUTE_PGM_RSRC2:TGID_Z_EN: 0
; COMPUTE_PGM_RSRC2:TIDIG_COMP_CNT: 0
	.section	.text._ZN2at6native16triu_tril_kernelIiiLb0ELi2ELb0EEEvNS_4cuda6detail10TensorInfoIT_T0_EENS4_IKS5_S6_EEllS6_,"axG",@progbits,_ZN2at6native16triu_tril_kernelIiiLb0ELi2ELb0EEEvNS_4cuda6detail10TensorInfoIT_T0_EENS4_IKS5_S6_EEllS6_,comdat
	.protected	_ZN2at6native16triu_tril_kernelIiiLb0ELi2ELb0EEEvNS_4cuda6detail10TensorInfoIT_T0_EENS4_IKS5_S6_EEllS6_ ; -- Begin function _ZN2at6native16triu_tril_kernelIiiLb0ELi2ELb0EEEvNS_4cuda6detail10TensorInfoIT_T0_EENS4_IKS5_S6_EEllS6_
	.globl	_ZN2at6native16triu_tril_kernelIiiLb0ELi2ELb0EEEvNS_4cuda6detail10TensorInfoIT_T0_EENS4_IKS5_S6_EEllS6_
	.p2align	8
	.type	_ZN2at6native16triu_tril_kernelIiiLb0ELi2ELb0EEEvNS_4cuda6detail10TensorInfoIT_T0_EENS4_IKS5_S6_EEllS6_,@function
_ZN2at6native16triu_tril_kernelIiiLb0ELi2ELb0EEEvNS_4cuda6detail10TensorInfoIT_T0_EENS4_IKS5_S6_EEllS6_: ; @_ZN2at6native16triu_tril_kernelIiiLb0ELi2ELb0EEEvNS_4cuda6detail10TensorInfoIT_T0_EENS4_IKS5_S6_EEllS6_
; %bb.0:
	s_load_dword s2, s[4:5], 0x1d4
	s_load_dwordx4 s[8:11], s[4:5], 0x1b0
	s_add_u32 s0, s4, 0x1c8
	v_mov_b32_e32 v2, 0
	s_addc_u32 s1, s5, 0
	s_waitcnt lgkmcnt(0)
	s_and_b32 s12, s2, 0xffff
	v_mov_b32_e32 v1, v2
	v_mov_b32_e32 v3, s6
	v_mad_u64_u32 v[0:1], s[2:3], s12, v3, v[0:1]
	v_lshlrev_b64 v[0:1], 1, v[0:1]
	v_cmp_gt_i64_e32 vcc, s[10:11], v[0:1]
	s_and_saveexec_b64 s[2:3], vcc
	s_cbranch_execz .LBB9_48
; %bb.1:
	s_load_dword s33, s[4:5], 0x1c0
	s_load_dwordx2 s[2:3], s[4:5], 0xd8
	s_load_dwordx2 s[18:19], s[4:5], 0x0
	s_load_dword s20, s[4:5], 0x1a8
	s_load_dword s13, s[0:1], 0x0
	s_add_u32 s46, s4, 0xd8
	s_addc_u32 s47, s5, 0
	s_waitcnt lgkmcnt(0)
	s_ashr_i32 s48, s33, 31
	s_ashr_i32 s21, s20, 31
	s_lshl_b64 s[0:1], s[20:21], 2
	s_add_u32 s16, s46, s0
	s_addc_u32 s17, s47, s1
	s_load_dwordx2 s[6:7], s[16:17], 0x0
	s_load_dwordx2 s[14:15], s[16:17], 0x64
	s_mul_i32 s22, s13, s12
	v_cmp_gt_i64_e64 s[12:13], s[20:21], 2
	s_mov_b32 s21, 0
	s_waitcnt lgkmcnt(0)
	s_ashr_i32 s49, s6, 31
	s_add_u32 s0, s4, s0
	s_addc_u32 s1, s5, s1
	s_load_dwordx2 s[16:17], s[0:1], 0x64
	s_add_i32 s50, s20, -3
	s_lshl_b32 s51, s22, 1
	s_and_b32 s52, s20, 3
	s_cmp_lg_u32 s52, 2
	s_cselect_b64 s[22:23], -1, 0
	s_cmp_gt_u32 s50, 2
	s_cselect_b64 s[24:25], -1, 0
	s_ashr_i32 s27, s15, 31
	s_mov_b32 s26, s15
	s_waitcnt lgkmcnt(0)
	s_ashr_i32 s29, s17, 31
	s_mov_b32 s28, s17
	s_mov_b64 s[30:31], 0
	s_ashr_i32 s34, s48, 31
	s_branch .LBB9_3
.LBB9_2:                                ;   in Loop: Header=BB9_3 Depth=1
	s_or_b64 exec, exec, s[0:1]
	v_add_co_u32_e32 v0, vcc, s51, v0
	v_addc_co_u32_e32 v1, vcc, 0, v1, vcc
	v_cmp_le_i64_e32 vcc, s[10:11], v[0:1]
	s_or_b64 s[30:31], vcc, s[30:31]
	s_andn2_b64 exec, exec, s[30:31]
	s_cbranch_execz .LBB9_48
.LBB9_3:                                ; =>This Loop Header: Depth=1
                                        ;     Child Loop BB9_13 Depth 2
                                        ;     Child Loop BB9_21 Depth 2
	v_or_b32_e32 v3, s48, v1
	v_cmp_ne_u64_e32 vcc, 0, v[2:3]
                                        ; implicit-def: $vgpr4_vgpr5
	s_and_saveexec_b64 s[0:1], vcc
	s_xor_b64 s[36:37], exec, s[0:1]
	s_cbranch_execz .LBB9_5
; %bb.4:                                ;   in Loop: Header=BB9_3 Depth=1
	s_add_u32 s0, s33, s34
	s_mov_b32 s35, s34
	s_addc_u32 s1, s48, s34
	s_xor_b64 s[38:39], s[0:1], s[34:35]
	v_cvt_f32_u32_e32 v3, s38
	v_cvt_f32_u32_e32 v4, s39
	s_sub_u32 s15, 0, s38
	s_subb_u32 s17, 0, s39
	v_ashrrev_i32_e32 v7, 31, v1
	v_mac_f32_e32 v3, 0x4f800000, v4
	v_rcp_f32_e32 v3, v3
	v_mul_f32_e32 v3, 0x5f7ffffc, v3
	v_mul_f32_e32 v4, 0x2f800000, v3
	v_trunc_f32_e32 v4, v4
	v_mac_f32_e32 v3, 0xcf800000, v4
	v_cvt_u32_f32_e32 v4, v4
	v_cvt_u32_f32_e32 v3, v3
	v_readfirstlane_b32 s20, v4
	v_readfirstlane_b32 s0, v3
	s_mul_i32 s1, s15, s20
	s_mul_hi_u32 s40, s15, s0
	s_mul_i32 s35, s17, s0
	s_add_i32 s1, s40, s1
	s_add_i32 s1, s1, s35
	s_mul_i32 s41, s15, s0
	s_mul_i32 s40, s0, s1
	s_mul_hi_u32 s42, s0, s41
	s_mul_hi_u32 s35, s0, s1
	s_add_u32 s40, s42, s40
	s_addc_u32 s35, 0, s35
	s_mul_hi_u32 s43, s20, s41
	s_mul_i32 s41, s20, s41
	s_add_u32 s40, s40, s41
	s_mul_hi_u32 s42, s20, s1
	s_addc_u32 s35, s35, s43
	s_addc_u32 s40, s42, 0
	s_mul_i32 s1, s20, s1
	s_add_u32 s1, s35, s1
	s_addc_u32 s35, 0, s40
	s_add_u32 s40, s0, s1
	s_cselect_b64 s[0:1], -1, 0
	s_cmp_lg_u64 s[0:1], 0
	s_addc_u32 s20, s20, s35
	s_mul_i32 s0, s15, s20
	s_mul_hi_u32 s1, s15, s40
	s_add_i32 s0, s1, s0
	s_mul_i32 s17, s17, s40
	s_add_i32 s0, s0, s17
	s_mul_i32 s15, s15, s40
	s_mul_hi_u32 s17, s20, s15
	s_mul_i32 s35, s20, s15
	s_mul_i32 s42, s40, s0
	s_mul_hi_u32 s15, s40, s15
	s_mul_hi_u32 s41, s40, s0
	s_add_u32 s15, s15, s42
	s_addc_u32 s41, 0, s41
	s_add_u32 s15, s15, s35
	s_mul_hi_u32 s1, s20, s0
	s_addc_u32 s15, s41, s17
	s_addc_u32 s1, s1, 0
	s_mul_i32 s0, s20, s0
	s_add_u32 s0, s15, s0
	s_addc_u32 s15, 0, s1
	s_add_u32 s17, s40, s0
	s_cselect_b64 s[0:1], -1, 0
	s_cmp_lg_u64 s[0:1], 0
	v_add_co_u32_e32 v3, vcc, v0, v7
	s_addc_u32 s15, s20, s15
	v_xor_b32_e32 v8, v3, v7
	v_mad_u64_u32 v[3:4], s[0:1], v8, s15, 0
	v_mul_hi_u32 v6, v8, s17
	v_addc_co_u32_e32 v5, vcc, v1, v7, vcc
	v_xor_b32_e32 v9, v5, v7
	v_add_co_u32_e32 v10, vcc, v6, v3
	v_addc_co_u32_e32 v11, vcc, 0, v4, vcc
	v_mad_u64_u32 v[3:4], s[0:1], v9, s17, 0
	v_mad_u64_u32 v[5:6], s[0:1], v9, s15, 0
	v_add_co_u32_e32 v3, vcc, v10, v3
	v_addc_co_u32_e32 v3, vcc, v11, v4, vcc
	v_addc_co_u32_e32 v4, vcc, 0, v6, vcc
	v_add_co_u32_e32 v5, vcc, v3, v5
	v_addc_co_u32_e32 v6, vcc, 0, v4, vcc
	v_mul_lo_u32 v10, s39, v5
	v_mul_lo_u32 v11, s38, v6
	v_mad_u64_u32 v[3:4], s[0:1], s38, v5, 0
	v_add3_u32 v4, v4, v11, v10
	v_sub_u32_e32 v10, v9, v4
	v_mov_b32_e32 v11, s39
	v_sub_co_u32_e32 v3, vcc, v8, v3
	v_subb_co_u32_e64 v8, s[0:1], v10, v11, vcc
	v_subrev_co_u32_e64 v10, s[0:1], s38, v3
	v_subbrev_co_u32_e64 v8, s[0:1], 0, v8, s[0:1]
	v_cmp_le_u32_e64 s[0:1], s39, v8
	v_cndmask_b32_e64 v11, 0, -1, s[0:1]
	v_cmp_le_u32_e64 s[0:1], s38, v10
	v_cndmask_b32_e64 v10, 0, -1, s[0:1]
	v_cmp_eq_u32_e64 s[0:1], s39, v8
	v_cndmask_b32_e64 v8, v11, v10, s[0:1]
	v_add_co_u32_e64 v10, s[0:1], 2, v5
	v_subb_co_u32_e32 v4, vcc, v9, v4, vcc
	v_addc_co_u32_e64 v11, s[0:1], 0, v6, s[0:1]
	v_cmp_le_u32_e32 vcc, s39, v4
	v_add_co_u32_e64 v12, s[0:1], 1, v5
	v_cndmask_b32_e64 v9, 0, -1, vcc
	v_cmp_le_u32_e32 vcc, s38, v3
	v_addc_co_u32_e64 v13, s[0:1], 0, v6, s[0:1]
	v_cndmask_b32_e64 v3, 0, -1, vcc
	v_cmp_eq_u32_e32 vcc, s39, v4
	v_cmp_ne_u32_e64 s[0:1], 0, v8
	v_cndmask_b32_e32 v3, v9, v3, vcc
	v_cmp_ne_u32_e32 vcc, 0, v3
	v_cndmask_b32_e64 v4, v12, v10, s[0:1]
	v_cndmask_b32_e64 v8, v13, v11, s[0:1]
	v_cndmask_b32_e32 v4, v5, v4, vcc
	v_xor_b32_e32 v5, s34, v7
	v_cndmask_b32_e32 v3, v6, v8, vcc
	v_xor_b32_e32 v4, v4, v5
	v_xor_b32_e32 v3, v3, v5
	v_sub_co_u32_e32 v4, vcc, v4, v5
	v_subb_co_u32_e32 v5, vcc, v3, v5, vcc
.LBB9_5:                                ;   in Loop: Header=BB9_3 Depth=1
	s_andn2_saveexec_b64 s[0:1], s[36:37]
	s_cbranch_execz .LBB9_7
; %bb.6:                                ;   in Loop: Header=BB9_3 Depth=1
	v_cvt_f32_u32_e32 v3, s33
	s_sub_i32 s15, 0, s33
	v_rcp_iflag_f32_e32 v3, v3
	v_mul_f32_e32 v3, 0x4f7ffffe, v3
	v_cvt_u32_f32_e32 v3, v3
	v_mul_lo_u32 v4, s15, v3
	v_mul_hi_u32 v4, v3, v4
	v_add_u32_e32 v3, v3, v4
	v_mul_hi_u32 v3, v0, v3
	v_mul_lo_u32 v4, v3, s33
	v_add_u32_e32 v5, 1, v3
	v_sub_u32_e32 v4, v0, v4
	v_subrev_u32_e32 v6, s33, v4
	v_cmp_le_u32_e32 vcc, s33, v4
	v_cndmask_b32_e32 v4, v4, v6, vcc
	v_cndmask_b32_e32 v3, v3, v5, vcc
	v_add_u32_e32 v5, 1, v3
	v_cmp_le_u32_e32 vcc, s33, v4
	v_cndmask_b32_e32 v4, v3, v5, vcc
	v_mov_b32_e32 v5, v2
.LBB9_7:                                ;   in Loop: Header=BB9_3 Depth=1
	s_or_b64 exec, exec, s[0:1]
	v_or_b32_e32 v3, s49, v5
	v_cmp_ne_u64_e32 vcc, 0, v[2:3]
                                        ; implicit-def: $vgpr8_vgpr9
	s_and_saveexec_b64 s[0:1], vcc
	s_xor_b64 s[36:37], exec, s[0:1]
	s_cbranch_execz .LBB9_9
; %bb.8:                                ;   in Loop: Header=BB9_3 Depth=1
	s_ashr_i32 s38, s49, 31
	s_add_u32 s0, s6, s38
	s_mov_b32 s39, s38
	s_addc_u32 s1, s49, s38
	s_xor_b64 s[40:41], s[0:1], s[38:39]
	v_cvt_f32_u32_e32 v3, s40
	v_cvt_f32_u32_e32 v6, s41
	s_sub_u32 s15, 0, s40
	s_subb_u32 s17, 0, s41
	v_mac_f32_e32 v3, 0x4f800000, v6
	v_rcp_f32_e32 v3, v3
	v_mul_f32_e32 v3, 0x5f7ffffc, v3
	v_mul_f32_e32 v6, 0x2f800000, v3
	v_trunc_f32_e32 v6, v6
	v_mac_f32_e32 v3, 0xcf800000, v6
	v_cvt_u32_f32_e32 v6, v6
	v_cvt_u32_f32_e32 v3, v3
	v_readfirstlane_b32 s20, v6
	v_readfirstlane_b32 s0, v3
	s_mul_i32 s1, s15, s20
	s_mul_hi_u32 s39, s15, s0
	s_mul_i32 s35, s17, s0
	s_add_i32 s1, s39, s1
	s_add_i32 s1, s1, s35
	s_mul_i32 s42, s15, s0
	s_mul_i32 s39, s0, s1
	s_mul_hi_u32 s43, s0, s42
	s_mul_hi_u32 s35, s0, s1
	s_add_u32 s39, s43, s39
	s_addc_u32 s35, 0, s35
	s_mul_hi_u32 s44, s20, s42
	s_mul_i32 s42, s20, s42
	s_add_u32 s39, s39, s42
	s_mul_hi_u32 s43, s20, s1
	s_addc_u32 s35, s35, s44
	s_addc_u32 s39, s43, 0
	s_mul_i32 s1, s20, s1
	s_add_u32 s1, s35, s1
	s_addc_u32 s35, 0, s39
	s_add_u32 s39, s0, s1
	s_cselect_b64 s[0:1], -1, 0
	s_cmp_lg_u64 s[0:1], 0
	s_addc_u32 s20, s20, s35
	s_mul_i32 s0, s15, s20
	s_mul_hi_u32 s1, s15, s39
	s_add_i32 s0, s1, s0
	s_mul_i32 s17, s17, s39
	s_add_i32 s0, s0, s17
	s_mul_i32 s15, s15, s39
	s_mul_hi_u32 s17, s20, s15
	s_mul_i32 s35, s20, s15
	s_mul_i32 s43, s39, s0
	s_mul_hi_u32 s15, s39, s15
	s_mul_hi_u32 s42, s39, s0
	s_add_u32 s15, s15, s43
	s_addc_u32 s42, 0, s42
	s_add_u32 s15, s15, s35
	s_mul_hi_u32 s1, s20, s0
	s_addc_u32 s15, s42, s17
	s_addc_u32 s1, s1, 0
	s_mul_i32 s0, s20, s0
	s_add_u32 s0, s15, s0
	s_addc_u32 s15, 0, s1
	s_add_u32 s17, s39, s0
	s_cselect_b64 s[0:1], -1, 0
	v_ashrrev_i32_e32 v3, 31, v5
	s_cmp_lg_u64 s[0:1], 0
	v_add_co_u32_e32 v6, vcc, v4, v3
	s_addc_u32 s15, s20, s15
	v_xor_b32_e32 v9, v6, v3
	v_addc_co_u32_e32 v7, vcc, v5, v3, vcc
	v_mad_u64_u32 v[5:6], s[0:1], v9, s15, 0
	v_mul_hi_u32 v8, v9, s17
	v_xor_b32_e32 v10, v7, v3
	v_xor_b32_e32 v3, s38, v3
	v_add_co_u32_e32 v11, vcc, v8, v5
	v_addc_co_u32_e32 v12, vcc, 0, v6, vcc
	v_mad_u64_u32 v[5:6], s[0:1], v10, s17, 0
	v_mad_u64_u32 v[7:8], s[0:1], v10, s15, 0
	v_add_co_u32_e32 v5, vcc, v11, v5
	v_addc_co_u32_e32 v5, vcc, v12, v6, vcc
	v_addc_co_u32_e32 v6, vcc, 0, v8, vcc
	v_add_co_u32_e32 v7, vcc, v5, v7
	v_addc_co_u32_e32 v8, vcc, 0, v6, vcc
	v_mul_lo_u32 v11, s41, v7
	v_mul_lo_u32 v12, s40, v8
	v_mad_u64_u32 v[5:6], s[0:1], s40, v7, 0
	v_add3_u32 v6, v6, v12, v11
	v_sub_u32_e32 v11, v10, v6
	v_mov_b32_e32 v12, s41
	v_sub_co_u32_e32 v5, vcc, v9, v5
	v_subb_co_u32_e64 v9, s[0:1], v11, v12, vcc
	v_subrev_co_u32_e64 v11, s[0:1], s40, v5
	v_subbrev_co_u32_e64 v9, s[0:1], 0, v9, s[0:1]
	v_cmp_le_u32_e64 s[0:1], s41, v9
	v_cndmask_b32_e64 v12, 0, -1, s[0:1]
	v_cmp_le_u32_e64 s[0:1], s40, v11
	v_cndmask_b32_e64 v11, 0, -1, s[0:1]
	v_cmp_eq_u32_e64 s[0:1], s41, v9
	v_cndmask_b32_e64 v9, v12, v11, s[0:1]
	v_add_co_u32_e64 v11, s[0:1], 2, v7
	v_subb_co_u32_e32 v6, vcc, v10, v6, vcc
	v_addc_co_u32_e64 v12, s[0:1], 0, v8, s[0:1]
	v_cmp_le_u32_e32 vcc, s41, v6
	v_add_co_u32_e64 v13, s[0:1], 1, v7
	v_cndmask_b32_e64 v10, 0, -1, vcc
	v_cmp_le_u32_e32 vcc, s40, v5
	v_addc_co_u32_e64 v14, s[0:1], 0, v8, s[0:1]
	v_cndmask_b32_e64 v5, 0, -1, vcc
	v_cmp_eq_u32_e32 vcc, s41, v6
	v_cmp_ne_u32_e64 s[0:1], 0, v9
	v_cndmask_b32_e32 v5, v10, v5, vcc
	v_cmp_ne_u32_e32 vcc, 0, v5
	v_cndmask_b32_e64 v6, v13, v11, s[0:1]
	v_cndmask_b32_e64 v9, v14, v12, s[0:1]
	v_cndmask_b32_e32 v6, v7, v6, vcc
	v_cndmask_b32_e32 v5, v8, v9, vcc
	v_xor_b32_e32 v6, v6, v3
	v_xor_b32_e32 v5, v5, v3
	v_sub_co_u32_e32 v8, vcc, v6, v3
	v_subb_co_u32_e32 v9, vcc, v5, v3, vcc
.LBB9_9:                                ;   in Loop: Header=BB9_3 Depth=1
	s_andn2_saveexec_b64 s[0:1], s[36:37]
	s_cbranch_execz .LBB9_11
; %bb.10:                               ;   in Loop: Header=BB9_3 Depth=1
	v_cvt_f32_u32_e32 v3, s6
	s_sub_i32 s15, 0, s6
	v_mov_b32_e32 v9, v2
	v_rcp_iflag_f32_e32 v3, v3
	v_mul_f32_e32 v3, 0x4f7ffffe, v3
	v_cvt_u32_f32_e32 v3, v3
	v_mul_lo_u32 v5, s15, v3
	v_mul_hi_u32 v5, v3, v5
	v_add_u32_e32 v3, v3, v5
	v_mul_hi_u32 v3, v4, v3
	v_mul_lo_u32 v5, v3, s6
	v_add_u32_e32 v6, 1, v3
	v_sub_u32_e32 v5, v4, v5
	v_subrev_u32_e32 v7, s6, v5
	v_cmp_le_u32_e32 vcc, s6, v5
	v_cndmask_b32_e32 v5, v5, v7, vcc
	v_cndmask_b32_e32 v3, v3, v6, vcc
	v_add_u32_e32 v6, 1, v3
	v_cmp_le_u32_e32 vcc, s6, v5
	v_cndmask_b32_e32 v8, v3, v6, vcc
.LBB9_11:                               ;   in Loop: Header=BB9_3 Depth=1
	s_or_b64 exec, exec, s[0:1]
	v_mad_u64_u32 v[5:6], s[0:1], v4, s33, 0
	v_mad_u64_u32 v[6:7], s[0:1], v8, s6, 0
	v_sub_co_u32_e32 v18, vcc, v0, v5
	v_mul_lo_u32 v3, s26, v18
	v_sub_co_u32_e32 v19, vcc, v4, v6
	v_mul_lo_u32 v4, s28, v18
	s_andn2_b64 vcc, exec, s[12:13]
	v_mad_u64_u32 v[6:7], s[0:1], s14, v19, v[3:4]
	v_mad_u64_u32 v[4:5], s[0:1], s16, v19, v[4:5]
	s_cbranch_vccnz .LBB9_39
; %bb.12:                               ;   in Loop: Header=BB9_3 Depth=1
	s_mov_b32 s15, 1
	s_andn2_b64 vcc, exec, s[22:23]
	s_mov_b32 s20, s50
	s_mov_b32 s0, s50
	s_cbranch_vccnz .LBB9_20
.LBB9_13:                               ;   Parent Loop BB9_3 Depth=1
                                        ; =>  This Inner Loop Header: Depth=2
	s_lshl_b64 s[36:37], s[20:21], 2
	s_add_u32 s38, s46, s36
	s_addc_u32 s39, s47, s37
	s_load_dword s17, s[38:39], 0x8
                                        ; implicit-def: $vgpr10_vgpr11
	s_waitcnt lgkmcnt(0)
	s_ashr_i32 s0, s17, 31
	v_or_b32_e32 v3, s0, v9
	v_cmp_ne_u64_e32 vcc, 0, v[2:3]
	s_and_saveexec_b64 s[40:41], vcc
	s_xor_b64 s[40:41], exec, s[40:41]
	s_cbranch_execz .LBB9_15
; %bb.14:                               ;   in Loop: Header=BB9_13 Depth=2
	s_ashr_i32 s42, s0, 31
	s_add_u32 s44, s17, s42
	s_mov_b32 s43, s42
	s_addc_u32 s45, s0, s42
	s_xor_b64 s[44:45], s[44:45], s[42:43]
	v_cvt_f32_u32_e32 v3, s44
	v_cvt_f32_u32_e32 v5, s45
	s_sub_u32 s35, 0, s44
	s_subb_u32 s43, 0, s45
	v_mac_f32_e32 v3, 0x4f800000, v5
	v_rcp_f32_e32 v3, v3
	v_mul_f32_e32 v3, 0x5f7ffffc, v3
	v_mul_f32_e32 v5, 0x2f800000, v3
	v_trunc_f32_e32 v5, v5
	v_mac_f32_e32 v3, 0xcf800000, v5
	v_cvt_u32_f32_e32 v5, v5
	v_cvt_u32_f32_e32 v3, v3
	v_readfirstlane_b32 s53, v5
	v_readfirstlane_b32 s0, v3
	s_mul_i32 s1, s35, s53
	s_mul_hi_u32 s55, s35, s0
	s_mul_i32 s54, s43, s0
	s_add_i32 s1, s55, s1
	s_add_i32 s1, s1, s54
	s_mul_i32 s56, s35, s0
	s_mul_i32 s55, s0, s1
	s_mul_hi_u32 s57, s0, s56
	s_mul_hi_u32 s54, s0, s1
	s_add_u32 s55, s57, s55
	s_addc_u32 s54, 0, s54
	s_mul_hi_u32 s58, s53, s56
	s_mul_i32 s56, s53, s56
	s_add_u32 s55, s55, s56
	s_mul_hi_u32 s57, s53, s1
	s_addc_u32 s54, s54, s58
	s_addc_u32 s55, s57, 0
	s_mul_i32 s1, s53, s1
	s_add_u32 s1, s54, s1
	s_addc_u32 s54, 0, s55
	s_add_u32 s55, s0, s1
	s_cselect_b64 s[0:1], -1, 0
	s_cmp_lg_u64 s[0:1], 0
	s_addc_u32 s53, s53, s54
	s_mul_i32 s0, s35, s53
	s_mul_hi_u32 s1, s35, s55
	s_add_i32 s0, s1, s0
	s_mul_i32 s43, s43, s55
	s_add_i32 s0, s0, s43
	s_mul_i32 s35, s35, s55
	s_mul_hi_u32 s43, s53, s35
	s_mul_i32 s54, s53, s35
	s_mul_i32 s57, s55, s0
	s_mul_hi_u32 s35, s55, s35
	s_mul_hi_u32 s56, s55, s0
	s_add_u32 s35, s35, s57
	s_addc_u32 s56, 0, s56
	s_add_u32 s35, s35, s54
	s_mul_hi_u32 s1, s53, s0
	s_addc_u32 s35, s56, s43
	s_addc_u32 s1, s1, 0
	s_mul_i32 s0, s53, s0
	s_add_u32 s0, s35, s0
	s_addc_u32 s35, 0, s1
	s_add_u32 s43, s55, s0
	s_cselect_b64 s[0:1], -1, 0
	v_ashrrev_i32_e32 v3, 31, v9
	s_cmp_lg_u64 s[0:1], 0
	v_add_co_u32_e32 v5, vcc, v8, v3
	s_addc_u32 s35, s53, s35
	v_xor_b32_e32 v5, v5, v3
	v_addc_co_u32_e32 v7, vcc, v9, v3, vcc
	v_mad_u64_u32 v[9:10], s[0:1], v5, s35, 0
	v_mul_hi_u32 v11, v5, s43
	v_xor_b32_e32 v7, v7, v3
	v_xor_b32_e32 v3, s42, v3
	v_add_co_u32_e32 v13, vcc, v11, v9
	v_addc_co_u32_e32 v14, vcc, 0, v10, vcc
	v_mad_u64_u32 v[9:10], s[0:1], v7, s43, 0
	v_mad_u64_u32 v[11:12], s[0:1], v7, s35, 0
	v_add_co_u32_e32 v9, vcc, v13, v9
	v_addc_co_u32_e32 v9, vcc, v14, v10, vcc
	v_addc_co_u32_e32 v10, vcc, 0, v12, vcc
	v_add_co_u32_e32 v11, vcc, v9, v11
	v_addc_co_u32_e32 v12, vcc, 0, v10, vcc
	v_mul_lo_u32 v13, s45, v11
	v_mul_lo_u32 v14, s44, v12
	v_mad_u64_u32 v[9:10], s[0:1], s44, v11, 0
	v_add3_u32 v10, v10, v14, v13
	v_sub_u32_e32 v13, v7, v10
	v_mov_b32_e32 v14, s45
	v_sub_co_u32_e32 v5, vcc, v5, v9
	v_subb_co_u32_e64 v9, s[0:1], v13, v14, vcc
	v_subrev_co_u32_e64 v13, s[0:1], s44, v5
	v_subbrev_co_u32_e64 v9, s[0:1], 0, v9, s[0:1]
	v_cmp_le_u32_e64 s[0:1], s45, v9
	v_cndmask_b32_e64 v14, 0, -1, s[0:1]
	v_cmp_le_u32_e64 s[0:1], s44, v13
	v_cndmask_b32_e64 v13, 0, -1, s[0:1]
	v_cmp_eq_u32_e64 s[0:1], s45, v9
	v_cndmask_b32_e64 v9, v14, v13, s[0:1]
	v_add_co_u32_e64 v13, s[0:1], 2, v11
	v_subb_co_u32_e32 v7, vcc, v7, v10, vcc
	v_addc_co_u32_e64 v14, s[0:1], 0, v12, s[0:1]
	v_cmp_le_u32_e32 vcc, s45, v7
	v_add_co_u32_e64 v15, s[0:1], 1, v11
	v_cndmask_b32_e64 v10, 0, -1, vcc
	v_cmp_le_u32_e32 vcc, s44, v5
	v_addc_co_u32_e64 v16, s[0:1], 0, v12, s[0:1]
	v_cndmask_b32_e64 v5, 0, -1, vcc
	v_cmp_eq_u32_e32 vcc, s45, v7
	v_cmp_ne_u32_e64 s[0:1], 0, v9
	v_cndmask_b32_e32 v5, v10, v5, vcc
	v_cmp_ne_u32_e32 vcc, 0, v5
	v_cndmask_b32_e64 v7, v15, v13, s[0:1]
	v_cndmask_b32_e64 v9, v16, v14, s[0:1]
	v_cndmask_b32_e32 v7, v11, v7, vcc
	v_cndmask_b32_e32 v5, v12, v9, vcc
	v_xor_b32_e32 v7, v7, v3
	v_xor_b32_e32 v5, v5, v3
	v_sub_co_u32_e32 v10, vcc, v7, v3
	v_subb_co_u32_e32 v11, vcc, v5, v3, vcc
.LBB9_15:                               ;   in Loop: Header=BB9_13 Depth=2
	s_andn2_saveexec_b64 s[0:1], s[40:41]
	s_cbranch_execz .LBB9_17
; %bb.16:                               ;   in Loop: Header=BB9_13 Depth=2
	v_cvt_f32_u32_e32 v3, s17
	s_sub_i32 s35, 0, s17
	v_mov_b32_e32 v11, v2
	v_rcp_iflag_f32_e32 v3, v3
	v_mul_f32_e32 v3, 0x4f7ffffe, v3
	v_cvt_u32_f32_e32 v3, v3
	v_mul_lo_u32 v5, s35, v3
	v_mul_hi_u32 v5, v3, v5
	v_add_u32_e32 v3, v3, v5
	v_mul_hi_u32 v3, v8, v3
	v_mul_lo_u32 v5, v3, s17
	v_add_u32_e32 v7, 1, v3
	v_sub_u32_e32 v5, v8, v5
	v_subrev_u32_e32 v9, s17, v5
	v_cmp_le_u32_e32 vcc, s17, v5
	v_cndmask_b32_e32 v5, v5, v9, vcc
	v_cndmask_b32_e32 v3, v3, v7, vcc
	v_add_u32_e32 v7, 1, v3
	v_cmp_le_u32_e32 vcc, s17, v5
	v_cndmask_b32_e32 v10, v3, v7, vcc
.LBB9_17:                               ;   in Loop: Header=BB9_13 Depth=2
	s_or_b64 exec, exec, s[0:1]
	s_add_u32 s0, s4, s36
	s_addc_u32 s1, s5, s37
	v_mul_lo_u32 v3, v10, s17
	s_load_dword s17, s[38:39], 0x6c
	s_load_dword s35, s[0:1], 0x6c
	s_add_i32 s20, s20, -1
	v_sub_u32_e32 v3, v8, v3
	s_waitcnt lgkmcnt(0)
	v_mad_u64_u32 v[6:7], s[0:1], s17, v3, v[6:7]
	v_mad_u64_u32 v[4:5], s[0:1], s35, v3, v[4:5]
	s_xor_b32 s0, s52, s15
	s_add_i32 s15, s15, 1
	s_cmp_lg_u32 s0, 2
	s_cbranch_scc0 .LBB9_19
; %bb.18:                               ;   in Loop: Header=BB9_13 Depth=2
	v_mov_b32_e32 v8, v10
	v_mov_b32_e32 v9, v11
	s_branch .LBB9_13
.LBB9_19:                               ;   in Loop: Header=BB9_3 Depth=1
	v_mov_b32_e32 v8, v10
	s_mov_b32 s0, s20
	v_mov_b32_e32 v9, v11
.LBB9_20:                               ;   in Loop: Header=BB9_3 Depth=1
	s_and_b64 vcc, exec, s[24:25]
	s_mov_b32 s20, s0
	s_cbranch_vccz .LBB9_39
.LBB9_21:                               ;   Parent Loop BB9_3 Depth=1
                                        ; =>  This Inner Loop Header: Depth=2
	s_lshl_b64 s[36:37], s[20:21], 2
	s_add_u32 s38, s46, s36
	s_addc_u32 s39, s47, s37
	s_load_dword s15, s[38:39], 0x8
                                        ; implicit-def: $vgpr10_vgpr11
	s_waitcnt lgkmcnt(0)
	s_ashr_i32 s0, s15, 31
	v_or_b32_e32 v3, s0, v9
	v_cmp_ne_u64_e32 vcc, 0, v[2:3]
	s_and_saveexec_b64 s[40:41], vcc
	s_xor_b64 s[40:41], exec, s[40:41]
	s_cbranch_execz .LBB9_23
; %bb.22:                               ;   in Loop: Header=BB9_21 Depth=2
	s_ashr_i32 s42, s0, 31
	s_add_u32 s44, s15, s42
	s_mov_b32 s43, s42
	s_addc_u32 s45, s0, s42
	s_xor_b64 s[44:45], s[44:45], s[42:43]
	v_cvt_f32_u32_e32 v3, s44
	v_cvt_f32_u32_e32 v5, s45
	s_sub_u32 s17, 0, s44
	s_subb_u32 s35, 0, s45
	v_mac_f32_e32 v3, 0x4f800000, v5
	v_rcp_f32_e32 v3, v3
	v_mul_f32_e32 v3, 0x5f7ffffc, v3
	v_mul_f32_e32 v5, 0x2f800000, v3
	v_trunc_f32_e32 v5, v5
	v_mac_f32_e32 v3, 0xcf800000, v5
	v_cvt_u32_f32_e32 v5, v5
	v_cvt_u32_f32_e32 v3, v3
	v_readfirstlane_b32 s43, v5
	v_readfirstlane_b32 s0, v3
	s_mul_i32 s1, s17, s43
	s_mul_hi_u32 s54, s17, s0
	s_mul_i32 s53, s35, s0
	s_add_i32 s1, s54, s1
	s_add_i32 s1, s1, s53
	s_mul_i32 s55, s17, s0
	s_mul_i32 s54, s0, s1
	s_mul_hi_u32 s56, s0, s55
	s_mul_hi_u32 s53, s0, s1
	s_add_u32 s54, s56, s54
	s_addc_u32 s53, 0, s53
	s_mul_hi_u32 s57, s43, s55
	s_mul_i32 s55, s43, s55
	s_add_u32 s54, s54, s55
	s_mul_hi_u32 s56, s43, s1
	s_addc_u32 s53, s53, s57
	s_addc_u32 s54, s56, 0
	s_mul_i32 s1, s43, s1
	s_add_u32 s1, s53, s1
	s_addc_u32 s53, 0, s54
	s_add_u32 s54, s0, s1
	s_cselect_b64 s[0:1], -1, 0
	s_cmp_lg_u64 s[0:1], 0
	s_addc_u32 s43, s43, s53
	s_mul_i32 s0, s17, s43
	s_mul_hi_u32 s1, s17, s54
	s_add_i32 s0, s1, s0
	s_mul_i32 s35, s35, s54
	s_add_i32 s0, s0, s35
	s_mul_i32 s17, s17, s54
	s_mul_hi_u32 s35, s43, s17
	s_mul_i32 s53, s43, s17
	s_mul_i32 s56, s54, s0
	s_mul_hi_u32 s17, s54, s17
	s_mul_hi_u32 s55, s54, s0
	s_add_u32 s17, s17, s56
	s_addc_u32 s55, 0, s55
	s_add_u32 s17, s17, s53
	s_mul_hi_u32 s1, s43, s0
	s_addc_u32 s17, s55, s35
	s_addc_u32 s1, s1, 0
	s_mul_i32 s0, s43, s0
	s_add_u32 s0, s17, s0
	s_addc_u32 s17, 0, s1
	s_add_u32 s35, s54, s0
	s_cselect_b64 s[0:1], -1, 0
	v_ashrrev_i32_e32 v3, 31, v9
	s_cmp_lg_u64 s[0:1], 0
	v_add_co_u32_e32 v5, vcc, v8, v3
	s_addc_u32 s17, s43, s17
	v_xor_b32_e32 v5, v5, v3
	v_addc_co_u32_e32 v7, vcc, v9, v3, vcc
	v_mad_u64_u32 v[9:10], s[0:1], v5, s17, 0
	v_mul_hi_u32 v11, v5, s35
	v_xor_b32_e32 v7, v7, v3
	v_xor_b32_e32 v3, s42, v3
	v_add_co_u32_e32 v13, vcc, v11, v9
	v_addc_co_u32_e32 v14, vcc, 0, v10, vcc
	v_mad_u64_u32 v[9:10], s[0:1], v7, s35, 0
	v_mad_u64_u32 v[11:12], s[0:1], v7, s17, 0
	v_add_co_u32_e32 v9, vcc, v13, v9
	v_addc_co_u32_e32 v9, vcc, v14, v10, vcc
	v_addc_co_u32_e32 v10, vcc, 0, v12, vcc
	v_add_co_u32_e32 v11, vcc, v9, v11
	v_addc_co_u32_e32 v12, vcc, 0, v10, vcc
	v_mul_lo_u32 v13, s45, v11
	v_mul_lo_u32 v14, s44, v12
	v_mad_u64_u32 v[9:10], s[0:1], s44, v11, 0
	v_add3_u32 v10, v10, v14, v13
	v_sub_u32_e32 v13, v7, v10
	v_mov_b32_e32 v14, s45
	v_sub_co_u32_e32 v5, vcc, v5, v9
	v_subb_co_u32_e64 v9, s[0:1], v13, v14, vcc
	v_subrev_co_u32_e64 v13, s[0:1], s44, v5
	v_subbrev_co_u32_e64 v9, s[0:1], 0, v9, s[0:1]
	v_cmp_le_u32_e64 s[0:1], s45, v9
	v_cndmask_b32_e64 v14, 0, -1, s[0:1]
	v_cmp_le_u32_e64 s[0:1], s44, v13
	v_cndmask_b32_e64 v13, 0, -1, s[0:1]
	v_cmp_eq_u32_e64 s[0:1], s45, v9
	v_cndmask_b32_e64 v9, v14, v13, s[0:1]
	v_add_co_u32_e64 v13, s[0:1], 2, v11
	v_subb_co_u32_e32 v7, vcc, v7, v10, vcc
	v_addc_co_u32_e64 v14, s[0:1], 0, v12, s[0:1]
	v_cmp_le_u32_e32 vcc, s45, v7
	v_add_co_u32_e64 v15, s[0:1], 1, v11
	v_cndmask_b32_e64 v10, 0, -1, vcc
	v_cmp_le_u32_e32 vcc, s44, v5
	v_addc_co_u32_e64 v16, s[0:1], 0, v12, s[0:1]
	v_cndmask_b32_e64 v5, 0, -1, vcc
	v_cmp_eq_u32_e32 vcc, s45, v7
	v_cmp_ne_u32_e64 s[0:1], 0, v9
	v_cndmask_b32_e32 v5, v10, v5, vcc
	v_cmp_ne_u32_e32 vcc, 0, v5
	v_cndmask_b32_e64 v7, v15, v13, s[0:1]
	v_cndmask_b32_e64 v9, v16, v14, s[0:1]
	v_cndmask_b32_e32 v7, v11, v7, vcc
	v_cndmask_b32_e32 v5, v12, v9, vcc
	v_xor_b32_e32 v7, v7, v3
	v_xor_b32_e32 v5, v5, v3
	v_sub_co_u32_e32 v10, vcc, v7, v3
	v_subb_co_u32_e32 v11, vcc, v5, v3, vcc
.LBB9_23:                               ;   in Loop: Header=BB9_21 Depth=2
	s_andn2_saveexec_b64 s[0:1], s[40:41]
	s_cbranch_execz .LBB9_25
; %bb.24:                               ;   in Loop: Header=BB9_21 Depth=2
	v_cvt_f32_u32_e32 v3, s15
	s_sub_i32 s17, 0, s15
	v_mov_b32_e32 v11, v2
	v_rcp_iflag_f32_e32 v3, v3
	v_mul_f32_e32 v3, 0x4f7ffffe, v3
	v_cvt_u32_f32_e32 v3, v3
	v_mul_lo_u32 v5, s17, v3
	v_mul_hi_u32 v5, v3, v5
	v_add_u32_e32 v3, v3, v5
	v_mul_hi_u32 v3, v8, v3
	v_mul_lo_u32 v5, v3, s15
	v_add_u32_e32 v7, 1, v3
	v_sub_u32_e32 v5, v8, v5
	v_subrev_u32_e32 v9, s15, v5
	v_cmp_le_u32_e32 vcc, s15, v5
	v_cndmask_b32_e32 v5, v5, v9, vcc
	v_cndmask_b32_e32 v3, v3, v7, vcc
	v_add_u32_e32 v7, 1, v3
	v_cmp_le_u32_e32 vcc, s15, v5
	v_cndmask_b32_e32 v10, v3, v7, vcc
.LBB9_25:                               ;   in Loop: Header=BB9_21 Depth=2
	s_or_b64 exec, exec, s[0:1]
	s_add_u32 s0, s4, s36
	s_addc_u32 s1, s5, s37
	s_add_i32 s36, s20, -1
	s_mov_b32 s37, s21
	s_lshl_b64 s[40:41], s[36:37], 2
	s_add_u32 s36, s46, s40
	s_addc_u32 s37, s47, s41
	s_load_dword s53, s[36:37], 0x8
	s_load_dword s35, s[38:39], 0x6c
	;; [unrolled: 1-line block ×3, first 2 shown]
                                        ; implicit-def: $vgpr12_vgpr13
	s_waitcnt lgkmcnt(0)
	s_ashr_i32 s0, s53, 31
	v_or_b32_e32 v3, s0, v11
	v_cmp_ne_u64_e32 vcc, 0, v[2:3]
	s_and_saveexec_b64 s[38:39], vcc
	s_xor_b64 s[38:39], exec, s[38:39]
	s_cbranch_execz .LBB9_27
; %bb.26:                               ;   in Loop: Header=BB9_21 Depth=2
	s_ashr_i32 s42, s0, 31
	s_add_u32 s44, s53, s42
	s_mov_b32 s43, s42
	s_addc_u32 s45, s0, s42
	s_xor_b64 s[44:45], s[44:45], s[42:43]
	v_cvt_f32_u32_e32 v3, s44
	v_cvt_f32_u32_e32 v5, s45
	s_sub_u32 s43, 0, s44
	s_subb_u32 s54, 0, s45
	v_mac_f32_e32 v3, 0x4f800000, v5
	v_rcp_f32_e32 v3, v3
	v_mul_f32_e32 v3, 0x5f7ffffc, v3
	v_mul_f32_e32 v5, 0x2f800000, v3
	v_trunc_f32_e32 v5, v5
	v_mac_f32_e32 v3, 0xcf800000, v5
	v_cvt_u32_f32_e32 v5, v5
	v_cvt_u32_f32_e32 v3, v3
	v_readfirstlane_b32 s55, v5
	v_readfirstlane_b32 s0, v3
	s_mul_i32 s1, s43, s55
	s_mul_hi_u32 s57, s43, s0
	s_mul_i32 s56, s54, s0
	s_add_i32 s1, s57, s1
	s_add_i32 s1, s1, s56
	s_mul_i32 s58, s43, s0
	s_mul_i32 s57, s0, s1
	s_mul_hi_u32 s59, s0, s58
	s_mul_hi_u32 s56, s0, s1
	s_add_u32 s57, s59, s57
	s_addc_u32 s56, 0, s56
	s_mul_hi_u32 s60, s55, s58
	s_mul_i32 s58, s55, s58
	s_add_u32 s57, s57, s58
	s_mul_hi_u32 s59, s55, s1
	s_addc_u32 s56, s56, s60
	s_addc_u32 s57, s59, 0
	s_mul_i32 s1, s55, s1
	s_add_u32 s1, s56, s1
	s_addc_u32 s56, 0, s57
	s_add_u32 s57, s0, s1
	s_cselect_b64 s[0:1], -1, 0
	s_cmp_lg_u64 s[0:1], 0
	s_addc_u32 s55, s55, s56
	s_mul_i32 s0, s43, s55
	s_mul_hi_u32 s1, s43, s57
	s_add_i32 s0, s1, s0
	s_mul_i32 s54, s54, s57
	s_add_i32 s0, s0, s54
	s_mul_i32 s43, s43, s57
	s_mul_hi_u32 s54, s55, s43
	s_mul_i32 s56, s55, s43
	s_mul_i32 s59, s57, s0
	s_mul_hi_u32 s43, s57, s43
	s_mul_hi_u32 s58, s57, s0
	s_add_u32 s43, s43, s59
	s_addc_u32 s58, 0, s58
	s_add_u32 s43, s43, s56
	s_mul_hi_u32 s1, s55, s0
	s_addc_u32 s43, s58, s54
	s_addc_u32 s1, s1, 0
	s_mul_i32 s0, s55, s0
	s_add_u32 s0, s43, s0
	s_addc_u32 s43, 0, s1
	s_add_u32 s54, s57, s0
	s_cselect_b64 s[0:1], -1, 0
	v_ashrrev_i32_e32 v3, 31, v11
	s_cmp_lg_u64 s[0:1], 0
	v_add_co_u32_e32 v5, vcc, v10, v3
	s_addc_u32 s43, s55, s43
	v_xor_b32_e32 v5, v5, v3
	v_addc_co_u32_e32 v7, vcc, v11, v3, vcc
	v_mad_u64_u32 v[11:12], s[0:1], v5, s43, 0
	v_mul_hi_u32 v9, v5, s54
	v_xor_b32_e32 v7, v7, v3
	v_mad_u64_u32 v[13:14], s[0:1], v7, s43, 0
	v_add_co_u32_e32 v9, vcc, v9, v11
	v_addc_co_u32_e32 v15, vcc, 0, v12, vcc
	v_mad_u64_u32 v[11:12], s[0:1], v7, s54, 0
	v_xor_b32_e32 v3, s42, v3
	v_add_co_u32_e32 v9, vcc, v9, v11
	v_addc_co_u32_e32 v9, vcc, v15, v12, vcc
	v_addc_co_u32_e32 v11, vcc, 0, v14, vcc
	v_add_co_u32_e32 v9, vcc, v9, v13
	v_addc_co_u32_e32 v13, vcc, 0, v11, vcc
	v_mul_lo_u32 v14, s45, v9
	v_mul_lo_u32 v15, s44, v13
	v_mad_u64_u32 v[11:12], s[0:1], s44, v9, 0
	v_add3_u32 v12, v12, v15, v14
	v_sub_u32_e32 v14, v7, v12
	v_mov_b32_e32 v15, s45
	v_sub_co_u32_e32 v5, vcc, v5, v11
	v_subb_co_u32_e64 v11, s[0:1], v14, v15, vcc
	v_subrev_co_u32_e64 v14, s[0:1], s44, v5
	v_subbrev_co_u32_e64 v11, s[0:1], 0, v11, s[0:1]
	v_cmp_le_u32_e64 s[0:1], s45, v11
	v_cndmask_b32_e64 v15, 0, -1, s[0:1]
	v_cmp_le_u32_e64 s[0:1], s44, v14
	v_cndmask_b32_e64 v14, 0, -1, s[0:1]
	v_cmp_eq_u32_e64 s[0:1], s45, v11
	v_cndmask_b32_e64 v11, v15, v14, s[0:1]
	v_add_co_u32_e64 v14, s[0:1], 2, v9
	v_subb_co_u32_e32 v7, vcc, v7, v12, vcc
	v_addc_co_u32_e64 v15, s[0:1], 0, v13, s[0:1]
	v_cmp_le_u32_e32 vcc, s45, v7
	v_add_co_u32_e64 v16, s[0:1], 1, v9
	v_cndmask_b32_e64 v12, 0, -1, vcc
	v_cmp_le_u32_e32 vcc, s44, v5
	v_addc_co_u32_e64 v17, s[0:1], 0, v13, s[0:1]
	v_cndmask_b32_e64 v5, 0, -1, vcc
	v_cmp_eq_u32_e32 vcc, s45, v7
	v_cmp_ne_u32_e64 s[0:1], 0, v11
	v_cndmask_b32_e32 v5, v12, v5, vcc
	v_cmp_ne_u32_e32 vcc, 0, v5
	v_cndmask_b32_e64 v7, v16, v14, s[0:1]
	v_cndmask_b32_e64 v11, v17, v15, s[0:1]
	v_cndmask_b32_e32 v7, v9, v7, vcc
	v_cndmask_b32_e32 v5, v13, v11, vcc
	v_xor_b32_e32 v7, v7, v3
	v_xor_b32_e32 v5, v5, v3
	v_sub_co_u32_e32 v12, vcc, v7, v3
	v_subb_co_u32_e32 v13, vcc, v5, v3, vcc
.LBB9_27:                               ;   in Loop: Header=BB9_21 Depth=2
	s_andn2_saveexec_b64 s[0:1], s[38:39]
	s_cbranch_execz .LBB9_29
; %bb.28:                               ;   in Loop: Header=BB9_21 Depth=2
	v_cvt_f32_u32_e32 v3, s53
	s_sub_i32 s38, 0, s53
	v_mov_b32_e32 v13, v2
	v_rcp_iflag_f32_e32 v3, v3
	v_mul_f32_e32 v3, 0x4f7ffffe, v3
	v_cvt_u32_f32_e32 v3, v3
	v_mul_lo_u32 v5, s38, v3
	v_mul_hi_u32 v5, v3, v5
	v_add_u32_e32 v3, v3, v5
	v_mul_hi_u32 v3, v10, v3
	v_mul_lo_u32 v5, v3, s53
	v_add_u32_e32 v7, 1, v3
	v_sub_u32_e32 v5, v10, v5
	v_subrev_u32_e32 v9, s53, v5
	v_cmp_le_u32_e32 vcc, s53, v5
	v_cndmask_b32_e32 v5, v5, v9, vcc
	v_cndmask_b32_e32 v3, v3, v7, vcc
	v_add_u32_e32 v7, 1, v3
	v_cmp_le_u32_e32 vcc, s53, v5
	v_cndmask_b32_e32 v12, v3, v7, vcc
.LBB9_29:                               ;   in Loop: Header=BB9_21 Depth=2
	s_or_b64 exec, exec, s[0:1]
	s_add_u32 s0, s4, s40
	s_addc_u32 s1, s5, s41
	s_add_i32 s38, s20, -2
	s_mov_b32 s39, s21
	s_lshl_b64 s[38:39], s[38:39], 2
	s_add_u32 s40, s46, s38
	s_addc_u32 s41, s47, s39
	s_load_dword s55, s[40:41], 0x8
	s_load_dword s56, s[36:37], 0x6c
	;; [unrolled: 1-line block ×3, first 2 shown]
                                        ; implicit-def: $vgpr14_vgpr15
	s_waitcnt lgkmcnt(0)
	s_ashr_i32 s0, s55, 31
	v_or_b32_e32 v3, s0, v13
	v_cmp_ne_u64_e32 vcc, 0, v[2:3]
	s_and_saveexec_b64 s[36:37], vcc
	s_xor_b64 s[36:37], exec, s[36:37]
	s_cbranch_execz .LBB9_31
; %bb.30:                               ;   in Loop: Header=BB9_21 Depth=2
	s_ashr_i32 s42, s0, 31
	s_add_u32 s44, s55, s42
	s_mov_b32 s43, s42
	s_addc_u32 s45, s0, s42
	s_xor_b64 s[44:45], s[44:45], s[42:43]
	v_cvt_f32_u32_e32 v3, s44
	v_cvt_f32_u32_e32 v5, s45
	s_sub_u32 s43, 0, s44
	s_subb_u32 s57, 0, s45
	v_mac_f32_e32 v3, 0x4f800000, v5
	v_rcp_f32_e32 v3, v3
	v_mul_f32_e32 v3, 0x5f7ffffc, v3
	v_mul_f32_e32 v5, 0x2f800000, v3
	v_trunc_f32_e32 v5, v5
	v_mac_f32_e32 v3, 0xcf800000, v5
	v_cvt_u32_f32_e32 v5, v5
	v_cvt_u32_f32_e32 v3, v3
	v_readfirstlane_b32 s58, v5
	v_readfirstlane_b32 s0, v3
	s_mul_i32 s1, s43, s58
	s_mul_hi_u32 s60, s43, s0
	s_mul_i32 s59, s57, s0
	s_add_i32 s1, s60, s1
	s_add_i32 s1, s1, s59
	s_mul_i32 s61, s43, s0
	s_mul_i32 s60, s0, s1
	s_mul_hi_u32 s62, s0, s61
	s_mul_hi_u32 s59, s0, s1
	s_add_u32 s60, s62, s60
	s_addc_u32 s59, 0, s59
	s_mul_hi_u32 s63, s58, s61
	s_mul_i32 s61, s58, s61
	s_add_u32 s60, s60, s61
	s_mul_hi_u32 s62, s58, s1
	s_addc_u32 s59, s59, s63
	s_addc_u32 s60, s62, 0
	s_mul_i32 s1, s58, s1
	s_add_u32 s1, s59, s1
	s_addc_u32 s59, 0, s60
	s_add_u32 s60, s0, s1
	s_cselect_b64 s[0:1], -1, 0
	s_cmp_lg_u64 s[0:1], 0
	s_addc_u32 s58, s58, s59
	s_mul_i32 s0, s43, s58
	s_mul_hi_u32 s1, s43, s60
	s_add_i32 s0, s1, s0
	s_mul_i32 s57, s57, s60
	s_add_i32 s0, s0, s57
	s_mul_i32 s43, s43, s60
	s_mul_hi_u32 s57, s58, s43
	s_mul_i32 s59, s58, s43
	s_mul_i32 s62, s60, s0
	s_mul_hi_u32 s43, s60, s43
	s_mul_hi_u32 s61, s60, s0
	s_add_u32 s43, s43, s62
	s_addc_u32 s61, 0, s61
	s_add_u32 s43, s43, s59
	s_mul_hi_u32 s1, s58, s0
	s_addc_u32 s43, s61, s57
	s_addc_u32 s1, s1, 0
	s_mul_i32 s0, s58, s0
	s_add_u32 s0, s43, s0
	s_addc_u32 s43, 0, s1
	s_add_u32 s57, s60, s0
	s_cselect_b64 s[0:1], -1, 0
	v_ashrrev_i32_e32 v3, 31, v13
	s_cmp_lg_u64 s[0:1], 0
	v_add_co_u32_e32 v5, vcc, v12, v3
	s_addc_u32 s43, s58, s43
	v_xor_b32_e32 v5, v5, v3
	v_addc_co_u32_e32 v7, vcc, v13, v3, vcc
	v_mad_u64_u32 v[13:14], s[0:1], v5, s43, 0
	v_mul_hi_u32 v9, v5, s57
	v_xor_b32_e32 v7, v7, v3
	v_mad_u64_u32 v[15:16], s[0:1], v7, s43, 0
	v_add_co_u32_e32 v9, vcc, v9, v13
	v_addc_co_u32_e32 v11, vcc, 0, v14, vcc
	v_mad_u64_u32 v[13:14], s[0:1], v7, s57, 0
	v_xor_b32_e32 v3, s42, v3
	v_add_co_u32_e32 v9, vcc, v9, v13
	v_addc_co_u32_e32 v9, vcc, v11, v14, vcc
	v_addc_co_u32_e32 v11, vcc, 0, v16, vcc
	v_add_co_u32_e32 v9, vcc, v9, v15
	v_addc_co_u32_e32 v11, vcc, 0, v11, vcc
	v_mul_lo_u32 v15, s45, v9
	v_mul_lo_u32 v16, s44, v11
	v_mad_u64_u32 v[13:14], s[0:1], s44, v9, 0
	v_add3_u32 v14, v14, v16, v15
	v_sub_u32_e32 v15, v7, v14
	v_mov_b32_e32 v16, s45
	v_sub_co_u32_e32 v5, vcc, v5, v13
	v_subb_co_u32_e64 v13, s[0:1], v15, v16, vcc
	v_subrev_co_u32_e64 v15, s[0:1], s44, v5
	v_subbrev_co_u32_e64 v13, s[0:1], 0, v13, s[0:1]
	v_cmp_le_u32_e64 s[0:1], s45, v13
	v_cndmask_b32_e64 v16, 0, -1, s[0:1]
	v_cmp_le_u32_e64 s[0:1], s44, v15
	v_cndmask_b32_e64 v15, 0, -1, s[0:1]
	v_cmp_eq_u32_e64 s[0:1], s45, v13
	v_cndmask_b32_e64 v13, v16, v15, s[0:1]
	v_add_co_u32_e64 v15, s[0:1], 2, v9
	v_subb_co_u32_e32 v7, vcc, v7, v14, vcc
	v_addc_co_u32_e64 v16, s[0:1], 0, v11, s[0:1]
	v_cmp_le_u32_e32 vcc, s45, v7
	v_add_co_u32_e64 v17, s[0:1], 1, v9
	v_cndmask_b32_e64 v14, 0, -1, vcc
	v_cmp_le_u32_e32 vcc, s44, v5
	v_addc_co_u32_e64 v20, s[0:1], 0, v11, s[0:1]
	v_cndmask_b32_e64 v5, 0, -1, vcc
	v_cmp_eq_u32_e32 vcc, s45, v7
	v_cmp_ne_u32_e64 s[0:1], 0, v13
	v_cndmask_b32_e32 v5, v14, v5, vcc
	v_cmp_ne_u32_e32 vcc, 0, v5
	v_cndmask_b32_e64 v7, v17, v15, s[0:1]
	v_cndmask_b32_e64 v13, v20, v16, s[0:1]
	v_cndmask_b32_e32 v7, v9, v7, vcc
	v_cndmask_b32_e32 v5, v11, v13, vcc
	v_xor_b32_e32 v7, v7, v3
	v_xor_b32_e32 v5, v5, v3
	v_sub_co_u32_e32 v14, vcc, v7, v3
	v_subb_co_u32_e32 v15, vcc, v5, v3, vcc
.LBB9_31:                               ;   in Loop: Header=BB9_21 Depth=2
	s_andn2_saveexec_b64 s[0:1], s[36:37]
	s_cbranch_execz .LBB9_33
; %bb.32:                               ;   in Loop: Header=BB9_21 Depth=2
	v_cvt_f32_u32_e32 v3, s55
	s_sub_i32 s36, 0, s55
	v_mov_b32_e32 v15, v2
	v_rcp_iflag_f32_e32 v3, v3
	v_mul_f32_e32 v3, 0x4f7ffffe, v3
	v_cvt_u32_f32_e32 v3, v3
	v_mul_lo_u32 v5, s36, v3
	v_mul_hi_u32 v5, v3, v5
	v_add_u32_e32 v3, v3, v5
	v_mul_hi_u32 v3, v12, v3
	v_mul_lo_u32 v5, v3, s55
	v_add_u32_e32 v7, 1, v3
	v_sub_u32_e32 v5, v12, v5
	v_subrev_u32_e32 v9, s55, v5
	v_cmp_le_u32_e32 vcc, s55, v5
	v_cndmask_b32_e32 v5, v5, v9, vcc
	v_cndmask_b32_e32 v3, v3, v7, vcc
	v_add_u32_e32 v7, 1, v3
	v_cmp_le_u32_e32 vcc, s55, v5
	v_cndmask_b32_e32 v14, v3, v7, vcc
.LBB9_33:                               ;   in Loop: Header=BB9_21 Depth=2
	s_or_b64 exec, exec, s[0:1]
	s_add_u32 s0, s4, s38
	s_addc_u32 s1, s5, s39
	s_add_i32 s36, s20, -3
	s_mov_b32 s37, s21
	s_lshl_b64 s[36:37], s[36:37], 2
	s_add_u32 s38, s46, s36
	s_addc_u32 s39, s47, s37
	s_load_dword s58, s[38:39], 0x8
	s_load_dword s59, s[40:41], 0x6c
	;; [unrolled: 1-line block ×3, first 2 shown]
                                        ; implicit-def: $vgpr16_vgpr17
	s_waitcnt lgkmcnt(0)
	s_ashr_i32 s0, s58, 31
	v_or_b32_e32 v3, s0, v15
	v_cmp_ne_u64_e32 vcc, 0, v[2:3]
	s_and_saveexec_b64 s[40:41], vcc
	s_xor_b64 s[40:41], exec, s[40:41]
	s_cbranch_execz .LBB9_35
; %bb.34:                               ;   in Loop: Header=BB9_21 Depth=2
	s_ashr_i32 s42, s0, 31
	s_add_u32 s44, s58, s42
	s_mov_b32 s43, s42
	s_addc_u32 s45, s0, s42
	s_xor_b64 s[44:45], s[44:45], s[42:43]
	v_cvt_f32_u32_e32 v3, s44
	v_cvt_f32_u32_e32 v5, s45
	s_sub_u32 s43, 0, s44
	s_subb_u32 s60, 0, s45
	v_mac_f32_e32 v3, 0x4f800000, v5
	v_rcp_f32_e32 v3, v3
	v_mul_f32_e32 v3, 0x5f7ffffc, v3
	v_mul_f32_e32 v5, 0x2f800000, v3
	v_trunc_f32_e32 v5, v5
	v_mac_f32_e32 v3, 0xcf800000, v5
	v_cvt_u32_f32_e32 v5, v5
	v_cvt_u32_f32_e32 v3, v3
	v_readfirstlane_b32 s61, v5
	v_readfirstlane_b32 s0, v3
	s_mul_i32 s1, s43, s61
	s_mul_hi_u32 s63, s43, s0
	s_mul_i32 s62, s60, s0
	s_add_i32 s1, s63, s1
	s_add_i32 s1, s1, s62
	s_mul_i32 s64, s43, s0
	s_mul_i32 s63, s0, s1
	s_mul_hi_u32 s65, s0, s64
	s_mul_hi_u32 s62, s0, s1
	s_add_u32 s63, s65, s63
	s_addc_u32 s62, 0, s62
	s_mul_hi_u32 s66, s61, s64
	s_mul_i32 s64, s61, s64
	s_add_u32 s63, s63, s64
	s_mul_hi_u32 s65, s61, s1
	s_addc_u32 s62, s62, s66
	s_addc_u32 s63, s65, 0
	s_mul_i32 s1, s61, s1
	s_add_u32 s1, s62, s1
	s_addc_u32 s62, 0, s63
	s_add_u32 s63, s0, s1
	s_cselect_b64 s[0:1], -1, 0
	s_cmp_lg_u64 s[0:1], 0
	s_addc_u32 s61, s61, s62
	s_mul_i32 s0, s43, s61
	s_mul_hi_u32 s1, s43, s63
	s_add_i32 s0, s1, s0
	s_mul_i32 s60, s60, s63
	s_add_i32 s0, s0, s60
	s_mul_i32 s43, s43, s63
	s_mul_hi_u32 s60, s61, s43
	s_mul_i32 s62, s61, s43
	s_mul_i32 s65, s63, s0
	s_mul_hi_u32 s43, s63, s43
	s_mul_hi_u32 s64, s63, s0
	s_add_u32 s43, s43, s65
	s_addc_u32 s64, 0, s64
	s_add_u32 s43, s43, s62
	s_mul_hi_u32 s1, s61, s0
	s_addc_u32 s43, s64, s60
	s_addc_u32 s1, s1, 0
	s_mul_i32 s0, s61, s0
	s_add_u32 s0, s43, s0
	s_addc_u32 s43, 0, s1
	s_add_u32 s60, s63, s0
	s_cselect_b64 s[0:1], -1, 0
	v_ashrrev_i32_e32 v3, 31, v15
	s_cmp_lg_u64 s[0:1], 0
	v_add_co_u32_e32 v5, vcc, v14, v3
	s_addc_u32 s43, s61, s43
	v_xor_b32_e32 v5, v5, v3
	v_addc_co_u32_e32 v7, vcc, v15, v3, vcc
	v_mad_u64_u32 v[15:16], s[0:1], v5, s43, 0
	v_mul_hi_u32 v9, v5, s60
	v_xor_b32_e32 v7, v7, v3
	v_mad_u64_u32 v[20:21], s[0:1], v7, s43, 0
	v_add_co_u32_e32 v9, vcc, v9, v15
	v_addc_co_u32_e32 v11, vcc, 0, v16, vcc
	v_mad_u64_u32 v[15:16], s[0:1], v7, s60, 0
	v_xor_b32_e32 v3, s42, v3
	v_add_co_u32_e32 v9, vcc, v9, v15
	v_addc_co_u32_e32 v9, vcc, v11, v16, vcc
	v_addc_co_u32_e32 v11, vcc, 0, v21, vcc
	v_add_co_u32_e32 v9, vcc, v9, v20
	v_addc_co_u32_e32 v11, vcc, 0, v11, vcc
	v_mul_lo_u32 v13, s45, v9
	v_mul_lo_u32 v17, s44, v11
	v_mad_u64_u32 v[15:16], s[0:1], s44, v9, 0
	v_add3_u32 v13, v16, v17, v13
	v_sub_u32_e32 v16, v7, v13
	v_mov_b32_e32 v17, s45
	v_sub_co_u32_e32 v5, vcc, v5, v15
	v_subb_co_u32_e64 v15, s[0:1], v16, v17, vcc
	v_subrev_co_u32_e64 v16, s[0:1], s44, v5
	v_subbrev_co_u32_e64 v15, s[0:1], 0, v15, s[0:1]
	v_cmp_le_u32_e64 s[0:1], s45, v15
	v_cndmask_b32_e64 v17, 0, -1, s[0:1]
	v_cmp_le_u32_e64 s[0:1], s44, v16
	v_cndmask_b32_e64 v16, 0, -1, s[0:1]
	v_cmp_eq_u32_e64 s[0:1], s45, v15
	v_cndmask_b32_e64 v15, v17, v16, s[0:1]
	v_add_co_u32_e64 v16, s[0:1], 2, v9
	v_subb_co_u32_e32 v7, vcc, v7, v13, vcc
	v_addc_co_u32_e64 v17, s[0:1], 0, v11, s[0:1]
	v_cmp_le_u32_e32 vcc, s45, v7
	v_add_co_u32_e64 v20, s[0:1], 1, v9
	v_cndmask_b32_e64 v13, 0, -1, vcc
	v_cmp_le_u32_e32 vcc, s44, v5
	v_addc_co_u32_e64 v21, s[0:1], 0, v11, s[0:1]
	v_cndmask_b32_e64 v5, 0, -1, vcc
	v_cmp_eq_u32_e32 vcc, s45, v7
	v_cmp_ne_u32_e64 s[0:1], 0, v15
	v_cndmask_b32_e32 v5, v13, v5, vcc
	v_cmp_ne_u32_e32 vcc, 0, v5
	v_cndmask_b32_e64 v7, v20, v16, s[0:1]
	v_cndmask_b32_e64 v15, v21, v17, s[0:1]
	v_cndmask_b32_e32 v7, v9, v7, vcc
	v_cndmask_b32_e32 v5, v11, v15, vcc
	v_xor_b32_e32 v7, v7, v3
	v_xor_b32_e32 v5, v5, v3
	v_sub_co_u32_e32 v16, vcc, v7, v3
	v_subb_co_u32_e32 v17, vcc, v5, v3, vcc
.LBB9_35:                               ;   in Loop: Header=BB9_21 Depth=2
	s_andn2_saveexec_b64 s[0:1], s[40:41]
	s_cbranch_execz .LBB9_37
; %bb.36:                               ;   in Loop: Header=BB9_21 Depth=2
	v_cvt_f32_u32_e32 v3, s58
	s_sub_i32 s40, 0, s58
	v_mov_b32_e32 v17, v2
	v_rcp_iflag_f32_e32 v3, v3
	v_mul_f32_e32 v3, 0x4f7ffffe, v3
	v_cvt_u32_f32_e32 v3, v3
	v_mul_lo_u32 v5, s40, v3
	v_mul_hi_u32 v5, v3, v5
	v_add_u32_e32 v3, v3, v5
	v_mul_hi_u32 v3, v14, v3
	v_mul_lo_u32 v5, v3, s58
	v_add_u32_e32 v7, 1, v3
	v_sub_u32_e32 v5, v14, v5
	v_subrev_u32_e32 v9, s58, v5
	v_cmp_le_u32_e32 vcc, s58, v5
	v_cndmask_b32_e32 v5, v5, v9, vcc
	v_cndmask_b32_e32 v3, v3, v7, vcc
	v_add_u32_e32 v7, 1, v3
	v_cmp_le_u32_e32 vcc, s58, v5
	v_cndmask_b32_e32 v16, v3, v7, vcc
.LBB9_37:                               ;   in Loop: Header=BB9_21 Depth=2
	s_or_b64 exec, exec, s[0:1]
	v_mul_lo_u32 v3, v10, s15
	v_mul_lo_u32 v5, v12, s53
	;; [unrolled: 1-line block ×3, first 2 shown]
	s_add_u32 s0, s4, s36
	v_sub_u32_e32 v3, v8, v3
	v_sub_u32_e32 v5, v10, v5
	v_mul_lo_u32 v7, s35, v3
	v_mul_lo_u32 v8, s56, v5
	s_addc_u32 s1, s5, s37
	s_load_dword s15, s[38:39], 0x6c
	v_mul_lo_u32 v3, s17, v3
	v_add3_u32 v6, v7, v6, v8
	v_sub_u32_e32 v7, v12, v9
	v_mul_lo_u32 v9, v16, s58
	s_load_dword s0, s[0:1], 0x6c
	v_mul_lo_u32 v5, s54, v5
	v_mul_lo_u32 v8, s59, v7
	v_sub_u32_e32 v9, v14, v9
	s_waitcnt lgkmcnt(0)
	v_mul_lo_u32 v10, s15, v9
	v_add3_u32 v3, v3, v4, v5
	v_mul_lo_u32 v4, s57, v7
	v_mul_lo_u32 v5, s0, v9
	s_add_i32 s20, s20, -4
	v_add3_u32 v6, v8, v6, v10
	s_cmp_eq_u32 s20, -1
	v_add3_u32 v4, v4, v3, v5
	s_cbranch_scc1 .LBB9_39
; %bb.38:                               ;   in Loop: Header=BB9_21 Depth=2
	v_mov_b32_e32 v8, v16
	v_mov_b32_e32 v9, v17
	s_branch .LBB9_21
.LBB9_39:                               ;   in Loop: Header=BB9_3 Depth=1
	v_sub_u32_e32 v8, v18, v19
	v_ashrrev_i32_e32 v9, 31, v8
	v_cmp_ge_i64_e32 vcc, s[8:9], v[8:9]
	v_mov_b32_e32 v7, 0
	v_mov_b32_e32 v10, 0
	s_and_saveexec_b64 s[0:1], vcc
	s_cbranch_execz .LBB9_45
; %bb.40:                               ;   in Loop: Header=BB9_3 Depth=1
	v_cmp_gt_i32_e32 vcc, s7, v18
	v_mov_b32_e32 v3, 0
	v_mov_b32_e32 v7, 0
	s_and_saveexec_b64 s[36:37], vcc
	s_cbranch_execz .LBB9_44
; %bb.41:                               ;   in Loop: Header=BB9_3 Depth=1
	v_ashrrev_i32_e32 v7, 31, v6
	v_lshlrev_b64 v[5:6], 2, v[6:7]
	v_mov_b32_e32 v3, s3
	v_add_co_u32_e32 v5, vcc, s2, v5
	v_addc_co_u32_e32 v6, vcc, v3, v6, vcc
	global_load_dword v3, v[5:6], off
	v_add_u32_e32 v7, 1, v18
	v_cmp_gt_i32_e32 vcc, s7, v7
	v_mov_b32_e32 v7, 0
	s_and_saveexec_b64 s[38:39], vcc
	s_xor_b64 s[38:39], exec, s[38:39]
	s_cbranch_execz .LBB9_43
; %bb.42:                               ;   in Loop: Header=BB9_3 Depth=1
	s_lshl_b64 s[40:41], s[26:27], 2
	v_mov_b32_e32 v7, s41
	v_add_co_u32_e32 v5, vcc, s40, v5
	v_addc_co_u32_e32 v6, vcc, v6, v7, vcc
	global_load_dword v7, v[5:6], off
.LBB9_43:                               ;   in Loop: Header=BB9_3 Depth=1
	s_or_b64 exec, exec, s[38:39]
.LBB9_44:                               ;   in Loop: Header=BB9_3 Depth=1
	s_or_b64 exec, exec, s[36:37]
	v_cmp_ge_i64_e32 vcc, s[8:9], v[8:9]
	v_add_u32_e32 v5, 1, v8
	v_ashrrev_i32_e32 v6, 31, v5
	s_waitcnt vmcnt(0)
	v_cndmask_b32_e32 v10, 0, v3, vcc
	v_cmp_ge_i64_e32 vcc, s[8:9], v[5:6]
	v_cndmask_b32_e32 v7, 0, v7, vcc
.LBB9_45:                               ;   in Loop: Header=BB9_3 Depth=1
	s_or_b64 exec, exec, s[0:1]
	v_cmp_gt_i32_e32 vcc, s7, v18
	s_and_saveexec_b64 s[0:1], vcc
	s_cbranch_execz .LBB9_2
; %bb.46:                               ;   in Loop: Header=BB9_3 Depth=1
	v_ashrrev_i32_e32 v5, 31, v4
	v_lshlrev_b64 v[3:4], 2, v[4:5]
	v_mov_b32_e32 v5, s19
	v_add_co_u32_e32 v3, vcc, s18, v3
	v_addc_co_u32_e32 v4, vcc, v5, v4, vcc
	v_add_u32_e32 v5, 1, v18
	v_cmp_gt_i32_e32 vcc, s7, v5
	global_store_dword v[3:4], v10, off
	s_and_saveexec_b64 s[36:37], vcc
	s_xor_b64 s[36:37], exec, s[36:37]
	s_cbranch_execz .LBB9_2
; %bb.47:                               ;   in Loop: Header=BB9_3 Depth=1
	s_lshl_b64 s[36:37], s[28:29], 2
	v_mov_b32_e32 v5, s37
	v_add_co_u32_e32 v3, vcc, s36, v3
	v_addc_co_u32_e32 v4, vcc, v4, v5, vcc
	global_store_dword v[3:4], v7, off
	s_branch .LBB9_2
.LBB9_48:
	s_endpgm
	.section	.rodata,"a",@progbits
	.p2align	6, 0x0
	.amdhsa_kernel _ZN2at6native16triu_tril_kernelIiiLb0ELi2ELb0EEEvNS_4cuda6detail10TensorInfoIT_T0_EENS4_IKS5_S6_EEllS6_
		.amdhsa_group_segment_fixed_size 0
		.amdhsa_private_segment_fixed_size 0
		.amdhsa_kernarg_size 712
		.amdhsa_user_sgpr_count 6
		.amdhsa_user_sgpr_private_segment_buffer 1
		.amdhsa_user_sgpr_dispatch_ptr 0
		.amdhsa_user_sgpr_queue_ptr 0
		.amdhsa_user_sgpr_kernarg_segment_ptr 1
		.amdhsa_user_sgpr_dispatch_id 0
		.amdhsa_user_sgpr_flat_scratch_init 0
		.amdhsa_user_sgpr_private_segment_size 0
		.amdhsa_uses_dynamic_stack 0
		.amdhsa_system_sgpr_private_segment_wavefront_offset 0
		.amdhsa_system_sgpr_workgroup_id_x 1
		.amdhsa_system_sgpr_workgroup_id_y 0
		.amdhsa_system_sgpr_workgroup_id_z 0
		.amdhsa_system_sgpr_workgroup_info 0
		.amdhsa_system_vgpr_workitem_id 0
		.amdhsa_next_free_vgpr 22
		.amdhsa_next_free_sgpr 67
		.amdhsa_reserve_vcc 1
		.amdhsa_reserve_flat_scratch 0
		.amdhsa_float_round_mode_32 0
		.amdhsa_float_round_mode_16_64 0
		.amdhsa_float_denorm_mode_32 3
		.amdhsa_float_denorm_mode_16_64 3
		.amdhsa_dx10_clamp 1
		.amdhsa_ieee_mode 1
		.amdhsa_fp16_overflow 0
		.amdhsa_exception_fp_ieee_invalid_op 0
		.amdhsa_exception_fp_denorm_src 0
		.amdhsa_exception_fp_ieee_div_zero 0
		.amdhsa_exception_fp_ieee_overflow 0
		.amdhsa_exception_fp_ieee_underflow 0
		.amdhsa_exception_fp_ieee_inexact 0
		.amdhsa_exception_int_div_zero 0
	.end_amdhsa_kernel
	.section	.text._ZN2at6native16triu_tril_kernelIiiLb0ELi2ELb0EEEvNS_4cuda6detail10TensorInfoIT_T0_EENS4_IKS5_S6_EEllS6_,"axG",@progbits,_ZN2at6native16triu_tril_kernelIiiLb0ELi2ELb0EEEvNS_4cuda6detail10TensorInfoIT_T0_EENS4_IKS5_S6_EEllS6_,comdat
.Lfunc_end9:
	.size	_ZN2at6native16triu_tril_kernelIiiLb0ELi2ELb0EEEvNS_4cuda6detail10TensorInfoIT_T0_EENS4_IKS5_S6_EEllS6_, .Lfunc_end9-_ZN2at6native16triu_tril_kernelIiiLb0ELi2ELb0EEEvNS_4cuda6detail10TensorInfoIT_T0_EENS4_IKS5_S6_EEllS6_
                                        ; -- End function
	.set _ZN2at6native16triu_tril_kernelIiiLb0ELi2ELb0EEEvNS_4cuda6detail10TensorInfoIT_T0_EENS4_IKS5_S6_EEllS6_.num_vgpr, 22
	.set _ZN2at6native16triu_tril_kernelIiiLb0ELi2ELb0EEEvNS_4cuda6detail10TensorInfoIT_T0_EENS4_IKS5_S6_EEllS6_.num_agpr, 0
	.set _ZN2at6native16triu_tril_kernelIiiLb0ELi2ELb0EEEvNS_4cuda6detail10TensorInfoIT_T0_EENS4_IKS5_S6_EEllS6_.numbered_sgpr, 67
	.set _ZN2at6native16triu_tril_kernelIiiLb0ELi2ELb0EEEvNS_4cuda6detail10TensorInfoIT_T0_EENS4_IKS5_S6_EEllS6_.num_named_barrier, 0
	.set _ZN2at6native16triu_tril_kernelIiiLb0ELi2ELb0EEEvNS_4cuda6detail10TensorInfoIT_T0_EENS4_IKS5_S6_EEllS6_.private_seg_size, 0
	.set _ZN2at6native16triu_tril_kernelIiiLb0ELi2ELb0EEEvNS_4cuda6detail10TensorInfoIT_T0_EENS4_IKS5_S6_EEllS6_.uses_vcc, 1
	.set _ZN2at6native16triu_tril_kernelIiiLb0ELi2ELb0EEEvNS_4cuda6detail10TensorInfoIT_T0_EENS4_IKS5_S6_EEllS6_.uses_flat_scratch, 0
	.set _ZN2at6native16triu_tril_kernelIiiLb0ELi2ELb0EEEvNS_4cuda6detail10TensorInfoIT_T0_EENS4_IKS5_S6_EEllS6_.has_dyn_sized_stack, 0
	.set _ZN2at6native16triu_tril_kernelIiiLb0ELi2ELb0EEEvNS_4cuda6detail10TensorInfoIT_T0_EENS4_IKS5_S6_EEllS6_.has_recursion, 0
	.set _ZN2at6native16triu_tril_kernelIiiLb0ELi2ELb0EEEvNS_4cuda6detail10TensorInfoIT_T0_EENS4_IKS5_S6_EEllS6_.has_indirect_call, 0
	.section	.AMDGPU.csdata,"",@progbits
; Kernel info:
; codeLenInByte = 6340
; TotalNumSgprs: 71
; NumVgprs: 22
; ScratchSize: 0
; MemoryBound: 0
; FloatMode: 240
; IeeeMode: 1
; LDSByteSize: 0 bytes/workgroup (compile time only)
; SGPRBlocks: 8
; VGPRBlocks: 5
; NumSGPRsForWavesPerEU: 71
; NumVGPRsForWavesPerEU: 22
; Occupancy: 10
; WaveLimiterHint : 1
; COMPUTE_PGM_RSRC2:SCRATCH_EN: 0
; COMPUTE_PGM_RSRC2:USER_SGPR: 6
; COMPUTE_PGM_RSRC2:TRAP_HANDLER: 0
; COMPUTE_PGM_RSRC2:TGID_X_EN: 1
; COMPUTE_PGM_RSRC2:TGID_Y_EN: 0
; COMPUTE_PGM_RSRC2:TGID_Z_EN: 0
; COMPUTE_PGM_RSRC2:TIDIG_COMP_CNT: 0
	.section	.text._ZN2at6native16triu_tril_kernelIilLb0ELi2ELb1EEEvNS_4cuda6detail10TensorInfoIT_T0_EENS4_IKS5_S6_EEllS6_,"axG",@progbits,_ZN2at6native16triu_tril_kernelIilLb0ELi2ELb1EEEvNS_4cuda6detail10TensorInfoIT_T0_EENS4_IKS5_S6_EEllS6_,comdat
	.protected	_ZN2at6native16triu_tril_kernelIilLb0ELi2ELb1EEEvNS_4cuda6detail10TensorInfoIT_T0_EENS4_IKS5_S6_EEllS6_ ; -- Begin function _ZN2at6native16triu_tril_kernelIilLb0ELi2ELb1EEEvNS_4cuda6detail10TensorInfoIT_T0_EENS4_IKS5_S6_EEllS6_
	.globl	_ZN2at6native16triu_tril_kernelIilLb0ELi2ELb1EEEvNS_4cuda6detail10TensorInfoIT_T0_EENS4_IKS5_S6_EEllS6_
	.p2align	8
	.type	_ZN2at6native16triu_tril_kernelIilLb0ELi2ELb1EEEvNS_4cuda6detail10TensorInfoIT_T0_EENS4_IKS5_S6_EEllS6_,@function
_ZN2at6native16triu_tril_kernelIilLb0ELi2ELb1EEEvNS_4cuda6detail10TensorInfoIT_T0_EENS4_IKS5_S6_EEllS6_: ; @_ZN2at6native16triu_tril_kernelIilLb0ELi2ELb1EEEvNS_4cuda6detail10TensorInfoIT_T0_EENS4_IKS5_S6_EEllS6_
; %bb.0:
	s_load_dword s2, s[4:5], 0x364
	s_load_dwordx4 s[8:11], s[4:5], 0x340
	s_add_u32 s0, s4, 0x358
	v_mov_b32_e32 v2, 0
	s_addc_u32 s1, s5, 0
	s_waitcnt lgkmcnt(0)
	s_and_b32 s2, s2, 0xffff
	v_mov_b32_e32 v1, v2
	v_mov_b32_e32 v3, s6
	v_mad_u64_u32 v[0:1], s[6:7], s2, v3, v[0:1]
	v_lshlrev_b64 v[0:1], 1, v[0:1]
	v_cmp_gt_i64_e32 vcc, s[10:11], v[0:1]
	s_and_saveexec_b64 s[6:7], vcc
	s_cbranch_execz .LBB10_43
; %bb.1:
	s_load_dword s1, s[0:1], 0x0
	s_add_u32 s34, s4, 0x1a0
	s_load_dword s0, s[4:5], 0x338
	s_addc_u32 s35, s5, 0
	s_load_dwordx2 s[6:7], s[4:5], 0x350
	s_load_dwordx2 s[12:13], s[4:5], 0x0
	s_waitcnt lgkmcnt(0)
	s_mul_i32 s24, s1, s2
	s_mov_b32 s25, 0
	s_add_i32 s2, s0, -2
	s_ashr_i32 s3, s2, 31
	s_ashr_i32 s1, s0, 31
	s_lshl_b64 s[16:17], s[2:3], 3
	s_add_u32 s16, s34, s16
	s_addc_u32 s17, s35, s17
	s_lshl_b64 s[22:23], s[0:1], 3
	s_add_u32 s18, s4, s22
	s_addc_u32 s19, s5, s23
	s_add_i32 s20, s0, -3
	s_ashr_i32 s21, s20, 31
	s_add_u32 s22, s34, s22
	v_cmp_gt_i64_e64 s[14:15], s[0:1], 2
	s_addc_u32 s23, s35, s23
	s_lshl_b32 s33, s24, 1
	s_and_b32 s24, s2, 3
	s_and_b32 s0, s20, 3
	s_cmp_lg_u32 s0, 3
	s_cselect_b64 s[26:27], -1, 0
	s_cmp_gt_u32 s20, 2
	s_cselect_b64 s[28:29], -1, 0
	s_lshl_b64 s[0:1], s[20:21], 3
	s_add_u32 s2, s4, s0
	s_addc_u32 s3, s5, s1
	s_add_u32 s30, s2, 0xd0
	s_addc_u32 s31, s3, 0
	;; [unrolled: 2-line block ×3, first 2 shown]
	s_add_u32 s34, s0, 8
	s_load_dwordx2 s[16:17], s[16:17], 0x8
	s_addc_u32 s35, s1, 0
	s_add_u32 s64, s4, 0xb8
	s_addc_u32 s65, s5, 0
	s_add_u32 s66, s4, 0x190
	s_addc_u32 s67, s5, 0
	s_mov_b64 s[4:5], 0
	s_branch .LBB10_3
.LBB10_2:                               ;   in Loop: Header=BB10_3 Depth=1
	s_or_b64 exec, exec, s[36:37]
	v_add_co_u32_e32 v0, vcc, s33, v0
	v_addc_co_u32_e32 v1, vcc, 0, v1, vcc
	v_cmp_le_i64_e32 vcc, s[10:11], v[0:1]
	s_or_b64 s[4:5], vcc, s[4:5]
	s_andn2_b64 exec, exec, s[4:5]
	s_cbranch_execz .LBB10_43
.LBB10_3:                               ; =>This Loop Header: Depth=1
                                        ;     Child Loop BB10_17 Depth 2
                                        ;     Child Loop BB10_22 Depth 2
	v_or_b32_e32 v3, s7, v1
	v_cmp_ne_u64_e32 vcc, 0, v[2:3]
                                        ; implicit-def: $vgpr6_vgpr7
	s_and_saveexec_b64 s[0:1], vcc
	s_xor_b64 s[2:3], exec, s[0:1]
	s_cbranch_execz .LBB10_5
; %bb.4:                                ;   in Loop: Header=BB10_3 Depth=1
	s_ashr_i32 s36, s7, 31
	s_add_u32 s0, s6, s36
	s_mov_b32 s37, s36
	s_addc_u32 s1, s7, s36
	s_xor_b64 s[38:39], s[0:1], s[36:37]
	v_cvt_f32_u32_e32 v3, s38
	v_cvt_f32_u32_e32 v4, s39
	s_sub_u32 s37, 0, s38
	s_subb_u32 s40, 0, s39
	v_ashrrev_i32_e32 v7, 31, v1
	v_mac_f32_e32 v3, 0x4f800000, v4
	v_rcp_f32_e32 v3, v3
	v_mul_f32_e32 v3, 0x5f7ffffc, v3
	v_mul_f32_e32 v4, 0x2f800000, v3
	v_trunc_f32_e32 v4, v4
	v_mac_f32_e32 v3, 0xcf800000, v4
	v_cvt_u32_f32_e32 v4, v4
	v_cvt_u32_f32_e32 v3, v3
	v_readfirstlane_b32 s41, v4
	v_readfirstlane_b32 s0, v3
	s_mul_i32 s1, s37, s41
	s_mul_hi_u32 s43, s37, s0
	s_mul_i32 s42, s40, s0
	s_add_i32 s1, s43, s1
	s_add_i32 s1, s1, s42
	s_mul_i32 s44, s37, s0
	s_mul_i32 s43, s0, s1
	s_mul_hi_u32 s45, s0, s44
	s_mul_hi_u32 s42, s0, s1
	s_add_u32 s43, s45, s43
	s_addc_u32 s42, 0, s42
	s_mul_hi_u32 s46, s41, s44
	s_mul_i32 s44, s41, s44
	s_add_u32 s43, s43, s44
	s_mul_hi_u32 s45, s41, s1
	s_addc_u32 s42, s42, s46
	s_addc_u32 s43, s45, 0
	s_mul_i32 s1, s41, s1
	s_add_u32 s1, s42, s1
	s_addc_u32 s42, 0, s43
	s_add_u32 s43, s0, s1
	s_cselect_b64 s[0:1], -1, 0
	s_cmp_lg_u64 s[0:1], 0
	s_addc_u32 s41, s41, s42
	s_mul_i32 s0, s37, s41
	s_mul_hi_u32 s1, s37, s43
	s_add_i32 s0, s1, s0
	s_mul_i32 s40, s40, s43
	s_add_i32 s0, s0, s40
	s_mul_i32 s37, s37, s43
	s_mul_hi_u32 s40, s41, s37
	s_mul_i32 s42, s41, s37
	s_mul_i32 s45, s43, s0
	s_mul_hi_u32 s37, s43, s37
	s_mul_hi_u32 s44, s43, s0
	s_add_u32 s37, s37, s45
	s_addc_u32 s44, 0, s44
	s_add_u32 s37, s37, s42
	s_mul_hi_u32 s1, s41, s0
	s_addc_u32 s37, s44, s40
	s_addc_u32 s1, s1, 0
	s_mul_i32 s0, s41, s0
	s_add_u32 s0, s37, s0
	s_addc_u32 s37, 0, s1
	s_add_u32 s40, s43, s0
	s_cselect_b64 s[0:1], -1, 0
	s_cmp_lg_u64 s[0:1], 0
	v_add_co_u32_e32 v3, vcc, v0, v7
	s_addc_u32 s37, s41, s37
	v_xor_b32_e32 v8, v3, v7
	v_mad_u64_u32 v[3:4], s[0:1], v8, s37, 0
	v_mul_hi_u32 v6, v8, s40
	v_addc_co_u32_e32 v5, vcc, v1, v7, vcc
	v_xor_b32_e32 v9, v5, v7
	v_add_co_u32_e32 v10, vcc, v6, v3
	v_addc_co_u32_e32 v11, vcc, 0, v4, vcc
	v_mad_u64_u32 v[3:4], s[0:1], v9, s40, 0
	v_mad_u64_u32 v[5:6], s[0:1], v9, s37, 0
	v_add_co_u32_e32 v3, vcc, v10, v3
	v_addc_co_u32_e32 v3, vcc, v11, v4, vcc
	v_addc_co_u32_e32 v4, vcc, 0, v6, vcc
	v_add_co_u32_e32 v5, vcc, v3, v5
	v_addc_co_u32_e32 v6, vcc, 0, v4, vcc
	v_mul_lo_u32 v10, s39, v5
	v_mul_lo_u32 v11, s38, v6
	v_mad_u64_u32 v[3:4], s[0:1], s38, v5, 0
	v_add3_u32 v4, v4, v11, v10
	v_sub_u32_e32 v10, v9, v4
	v_mov_b32_e32 v11, s39
	v_sub_co_u32_e32 v3, vcc, v8, v3
	v_subb_co_u32_e64 v8, s[0:1], v10, v11, vcc
	v_subrev_co_u32_e64 v10, s[0:1], s38, v3
	v_subbrev_co_u32_e64 v8, s[0:1], 0, v8, s[0:1]
	v_cmp_le_u32_e64 s[0:1], s39, v8
	v_cndmask_b32_e64 v11, 0, -1, s[0:1]
	v_cmp_le_u32_e64 s[0:1], s38, v10
	v_cndmask_b32_e64 v10, 0, -1, s[0:1]
	v_cmp_eq_u32_e64 s[0:1], s39, v8
	v_cndmask_b32_e64 v8, v11, v10, s[0:1]
	v_add_co_u32_e64 v10, s[0:1], 2, v5
	v_subb_co_u32_e32 v4, vcc, v9, v4, vcc
	v_addc_co_u32_e64 v11, s[0:1], 0, v6, s[0:1]
	v_cmp_le_u32_e32 vcc, s39, v4
	v_add_co_u32_e64 v12, s[0:1], 1, v5
	v_cndmask_b32_e64 v9, 0, -1, vcc
	v_cmp_le_u32_e32 vcc, s38, v3
	v_addc_co_u32_e64 v13, s[0:1], 0, v6, s[0:1]
	v_cndmask_b32_e64 v3, 0, -1, vcc
	v_cmp_eq_u32_e32 vcc, s39, v4
	v_cmp_ne_u32_e64 s[0:1], 0, v8
	v_cndmask_b32_e32 v3, v9, v3, vcc
	v_cmp_ne_u32_e32 vcc, 0, v3
	v_cndmask_b32_e64 v4, v12, v10, s[0:1]
	v_cndmask_b32_e64 v8, v13, v11, s[0:1]
	v_cndmask_b32_e32 v4, v5, v4, vcc
	v_xor_b32_e32 v5, s36, v7
	v_cndmask_b32_e32 v3, v6, v8, vcc
	v_xor_b32_e32 v4, v4, v5
	v_xor_b32_e32 v3, v3, v5
	v_sub_co_u32_e32 v6, vcc, v4, v5
	v_subb_co_u32_e32 v7, vcc, v3, v5, vcc
.LBB10_5:                               ;   in Loop: Header=BB10_3 Depth=1
	s_andn2_saveexec_b64 s[0:1], s[2:3]
	s_cbranch_execz .LBB10_7
; %bb.6:                                ;   in Loop: Header=BB10_3 Depth=1
	v_cvt_f32_u32_e32 v3, s6
	s_sub_i32 s2, 0, s6
	v_mov_b32_e32 v7, v2
	v_rcp_iflag_f32_e32 v3, v3
	v_mul_f32_e32 v3, 0x4f7ffffe, v3
	v_cvt_u32_f32_e32 v3, v3
	v_mul_lo_u32 v4, s2, v3
	v_mul_hi_u32 v4, v3, v4
	v_add_u32_e32 v3, v3, v4
	v_mul_hi_u32 v3, v0, v3
	v_mul_lo_u32 v4, v3, s6
	v_add_u32_e32 v5, 1, v3
	v_sub_u32_e32 v4, v0, v4
	v_subrev_u32_e32 v6, s6, v4
	v_cmp_le_u32_e32 vcc, s6, v4
	v_cndmask_b32_e32 v4, v4, v6, vcc
	v_cndmask_b32_e32 v3, v3, v5, vcc
	v_add_u32_e32 v5, 1, v3
	v_cmp_le_u32_e32 vcc, s6, v4
	v_cndmask_b32_e32 v6, v3, v5, vcc
.LBB10_7:                               ;   in Loop: Header=BB10_3 Depth=1
	s_or_b64 exec, exec, s[0:1]
	s_waitcnt lgkmcnt(0)
	v_or_b32_e32 v3, s17, v7
	v_cmp_ne_u64_e32 vcc, 0, v[2:3]
                                        ; implicit-def: $vgpr10_vgpr11
	s_and_saveexec_b64 s[0:1], vcc
	s_xor_b64 s[2:3], exec, s[0:1]
	s_cbranch_execz .LBB10_9
; %bb.8:                                ;   in Loop: Header=BB10_3 Depth=1
	s_ashr_i32 s36, s17, 31
	s_add_u32 s0, s16, s36
	s_mov_b32 s37, s36
	s_addc_u32 s1, s17, s36
	s_xor_b64 s[38:39], s[0:1], s[36:37]
	v_cvt_f32_u32_e32 v3, s38
	v_cvt_f32_u32_e32 v4, s39
	s_sub_u32 s37, 0, s38
	s_subb_u32 s40, 0, s39
	v_ashrrev_i32_e32 v5, 31, v7
	v_mac_f32_e32 v3, 0x4f800000, v4
	v_rcp_f32_e32 v3, v3
	v_mul_f32_e32 v3, 0x5f7ffffc, v3
	v_mul_f32_e32 v4, 0x2f800000, v3
	v_trunc_f32_e32 v4, v4
	v_mac_f32_e32 v3, 0xcf800000, v4
	v_cvt_u32_f32_e32 v4, v4
	v_cvt_u32_f32_e32 v3, v3
	v_readfirstlane_b32 s41, v4
	v_readfirstlane_b32 s0, v3
	s_mul_i32 s1, s37, s41
	s_mul_hi_u32 s43, s37, s0
	s_mul_i32 s42, s40, s0
	s_add_i32 s1, s43, s1
	s_add_i32 s1, s1, s42
	s_mul_i32 s44, s37, s0
	s_mul_i32 s43, s0, s1
	s_mul_hi_u32 s45, s0, s44
	s_mul_hi_u32 s42, s0, s1
	s_add_u32 s43, s45, s43
	s_addc_u32 s42, 0, s42
	s_mul_hi_u32 s46, s41, s44
	s_mul_i32 s44, s41, s44
	s_add_u32 s43, s43, s44
	s_mul_hi_u32 s45, s41, s1
	s_addc_u32 s42, s42, s46
	s_addc_u32 s43, s45, 0
	s_mul_i32 s1, s41, s1
	s_add_u32 s1, s42, s1
	s_addc_u32 s42, 0, s43
	s_add_u32 s43, s0, s1
	s_cselect_b64 s[0:1], -1, 0
	s_cmp_lg_u64 s[0:1], 0
	s_addc_u32 s41, s41, s42
	s_mul_i32 s0, s37, s41
	s_mul_hi_u32 s1, s37, s43
	s_add_i32 s0, s1, s0
	s_mul_i32 s40, s40, s43
	s_add_i32 s0, s0, s40
	s_mul_i32 s37, s37, s43
	s_mul_hi_u32 s40, s41, s37
	s_mul_i32 s42, s41, s37
	s_mul_i32 s45, s43, s0
	s_mul_hi_u32 s37, s43, s37
	s_mul_hi_u32 s44, s43, s0
	s_add_u32 s37, s37, s45
	s_addc_u32 s44, 0, s44
	s_add_u32 s37, s37, s42
	s_mul_hi_u32 s1, s41, s0
	s_addc_u32 s37, s44, s40
	s_addc_u32 s1, s1, 0
	s_mul_i32 s0, s41, s0
	s_add_u32 s0, s37, s0
	s_addc_u32 s37, 0, s1
	s_add_u32 s40, s43, s0
	s_cselect_b64 s[0:1], -1, 0
	s_cmp_lg_u64 s[0:1], 0
	v_add_co_u32_e32 v3, vcc, v6, v5
	s_addc_u32 s37, s41, s37
	v_xor_b32_e32 v10, v3, v5
	v_mad_u64_u32 v[3:4], s[0:1], v10, s37, 0
	v_mul_hi_u32 v9, v10, s40
	v_addc_co_u32_e32 v8, vcc, v7, v5, vcc
	v_xor_b32_e32 v11, v8, v5
	v_add_co_u32_e32 v12, vcc, v9, v3
	v_addc_co_u32_e32 v13, vcc, 0, v4, vcc
	v_mad_u64_u32 v[3:4], s[0:1], v11, s40, 0
	v_mad_u64_u32 v[8:9], s[0:1], v11, s37, 0
	v_add_co_u32_e32 v3, vcc, v12, v3
	v_addc_co_u32_e32 v3, vcc, v13, v4, vcc
	v_addc_co_u32_e32 v4, vcc, 0, v9, vcc
	v_add_co_u32_e32 v8, vcc, v3, v8
	v_addc_co_u32_e32 v9, vcc, 0, v4, vcc
	v_mul_lo_u32 v12, s39, v8
	v_mul_lo_u32 v13, s38, v9
	v_mad_u64_u32 v[3:4], s[0:1], s38, v8, 0
	v_xor_b32_e32 v5, s36, v5
	v_add3_u32 v4, v4, v13, v12
	v_sub_u32_e32 v12, v11, v4
	v_mov_b32_e32 v13, s39
	v_sub_co_u32_e32 v3, vcc, v10, v3
	v_subb_co_u32_e64 v10, s[0:1], v12, v13, vcc
	v_subrev_co_u32_e64 v12, s[0:1], s38, v3
	v_subbrev_co_u32_e64 v10, s[0:1], 0, v10, s[0:1]
	v_cmp_le_u32_e64 s[0:1], s39, v10
	v_cndmask_b32_e64 v13, 0, -1, s[0:1]
	v_cmp_le_u32_e64 s[0:1], s38, v12
	v_cndmask_b32_e64 v12, 0, -1, s[0:1]
	v_cmp_eq_u32_e64 s[0:1], s39, v10
	v_cndmask_b32_e64 v10, v13, v12, s[0:1]
	v_add_co_u32_e64 v12, s[0:1], 2, v8
	v_subb_co_u32_e32 v4, vcc, v11, v4, vcc
	v_addc_co_u32_e64 v13, s[0:1], 0, v9, s[0:1]
	v_cmp_le_u32_e32 vcc, s39, v4
	v_add_co_u32_e64 v14, s[0:1], 1, v8
	v_cndmask_b32_e64 v11, 0, -1, vcc
	v_cmp_le_u32_e32 vcc, s38, v3
	v_addc_co_u32_e64 v15, s[0:1], 0, v9, s[0:1]
	v_cndmask_b32_e64 v3, 0, -1, vcc
	v_cmp_eq_u32_e32 vcc, s39, v4
	v_cmp_ne_u32_e64 s[0:1], 0, v10
	v_cndmask_b32_e32 v3, v11, v3, vcc
	v_cmp_ne_u32_e32 vcc, 0, v3
	v_cndmask_b32_e64 v4, v14, v12, s[0:1]
	v_cndmask_b32_e64 v10, v15, v13, s[0:1]
	v_cndmask_b32_e32 v4, v8, v4, vcc
	v_cndmask_b32_e32 v3, v9, v10, vcc
	v_xor_b32_e32 v4, v4, v5
	v_xor_b32_e32 v3, v3, v5
	v_sub_co_u32_e32 v10, vcc, v4, v5
	v_subb_co_u32_e32 v11, vcc, v3, v5, vcc
.LBB10_9:                               ;   in Loop: Header=BB10_3 Depth=1
	s_andn2_saveexec_b64 s[0:1], s[2:3]
	s_cbranch_execz .LBB10_11
; %bb.10:                               ;   in Loop: Header=BB10_3 Depth=1
	v_cvt_f32_u32_e32 v3, s16
	s_sub_i32 s2, 0, s16
	v_mov_b32_e32 v11, v2
	v_rcp_iflag_f32_e32 v3, v3
	v_mul_f32_e32 v3, 0x4f7ffffe, v3
	v_cvt_u32_f32_e32 v3, v3
	v_mul_lo_u32 v4, s2, v3
	v_mul_hi_u32 v4, v3, v4
	v_add_u32_e32 v3, v3, v4
	v_mul_hi_u32 v3, v6, v3
	v_mul_lo_u32 v4, v3, s16
	v_add_u32_e32 v5, 1, v3
	v_sub_u32_e32 v4, v6, v4
	v_subrev_u32_e32 v8, s16, v4
	v_cmp_le_u32_e32 vcc, s16, v4
	v_cndmask_b32_e32 v4, v4, v8, vcc
	v_cndmask_b32_e32 v3, v3, v5, vcc
	v_add_u32_e32 v5, 1, v3
	v_cmp_le_u32_e32 vcc, s16, v4
	v_cndmask_b32_e32 v10, v3, v5, vcc
.LBB10_11:                              ;   in Loop: Header=BB10_3 Depth=1
	s_or_b64 exec, exec, s[0:1]
	v_mul_lo_u32 v5, v7, s6
	v_mul_lo_u32 v8, v6, s7
	v_mad_u64_u32 v[3:4], s[0:1], v6, s6, 0
	v_mul_lo_u32 v12, v11, s16
	v_mul_lo_u32 v13, v10, s17
	v_add3_u32 v5, v4, v8, v5
	v_mad_u64_u32 v[8:9], s[0:1], v10, s16, 0
	v_sub_co_u32_e32 v4, vcc, v0, v3
	v_subb_co_u32_e32 v5, vcc, v1, v5, vcc
	v_add3_u32 v3, v9, v13, v12
	v_sub_co_u32_e32 v20, vcc, v6, v8
	v_subb_co_u32_e32 v21, vcc, v7, v3, vcc
	v_sub_co_u32_e32 v6, vcc, v4, v20
	v_subb_co_u32_e32 v7, vcc, v5, v21, vcc
	v_add_co_u32_e32 v8, vcc, 2, v6
	v_addc_co_u32_e32 v9, vcc, 0, v7, vcc
	v_cmp_lt_i64_e32 vcc, s[8:9], v[8:9]
	s_and_saveexec_b64 s[36:37], vcc
	s_cbranch_execz .LBB10_2
; %bb.12:                               ;   in Loop: Header=BB10_3 Depth=1
	s_load_dwordx4 s[0:3], s[18:19], 0xc0
	s_andn2_b64 vcc, exec, s[14:15]
	s_waitcnt lgkmcnt(0)
	v_mul_lo_u32 v3, s3, v4
	v_mul_lo_u32 v12, s2, v5
	v_mad_u64_u32 v[8:9], s[38:39], s2, v4, 0
	v_mul_lo_u32 v13, s0, v21
	v_add3_u32 v9, v9, v12, v3
	v_mad_u64_u32 v[8:9], s[38:39], s0, v20, v[8:9]
	v_mul_lo_u32 v3, s1, v20
	v_add3_u32 v9, v3, v9, v13
	s_cbranch_vccnz .LBB10_38
; %bb.13:                               ;   in Loop: Header=BB10_3 Depth=1
	s_andn2_b64 vcc, exec, s[26:27]
	s_mov_b64 s[38:39], s[24:25]
	s_mov_b64 s[40:41], s[34:35]
	;; [unrolled: 1-line block ×4, first 2 shown]
	s_cbranch_vccz .LBB10_17
.LBB10_14:                              ;   in Loop: Header=BB10_3 Depth=1
	s_andn2_b64 vcc, exec, s[28:29]
	s_cbranch_vccnz .LBB10_38
; %bb.15:                               ;   in Loop: Header=BB10_3 Depth=1
	s_lshl_b64 s[0:1], s[42:43], 3
	s_add_u32 s38, s64, s0
	s_addc_u32 s39, s65, s1
	s_add_u32 s40, s66, s0
	s_addc_u32 s41, s67, s1
	;; [unrolled: 2-line block ×3, first 2 shown]
	s_branch .LBB10_22
.LBB10_16:                              ;   in Loop: Header=BB10_17 Depth=2
	s_or_b64 exec, exec, s[0:1]
	v_mul_lo_u32 v3, v13, s46
	v_mul_lo_u32 v16, v12, s47
	v_mad_u64_u32 v[14:15], s[0:1], v12, s46, 0
	s_load_dwordx2 s[0:1], s[44:45], 0x0
	s_add_u32 s42, s42, -1
	v_add3_u32 v3, v15, v16, v3
	v_sub_co_u32_e32 v10, vcc, v10, v14
	s_addc_u32 s43, s43, -1
	v_subb_co_u32_e32 v3, vcc, v11, v3, vcc
	s_add_u32 s44, s44, -8
	s_waitcnt lgkmcnt(0)
	v_mul_lo_u32 v3, s0, v3
	v_mul_lo_u32 v11, s1, v10
	v_mad_u64_u32 v[8:9], s[0:1], s0, v10, v[8:9]
	s_addc_u32 s45, s45, -1
	s_add_u32 s40, s40, -8
	s_addc_u32 s41, s41, -1
	s_add_u32 s38, s38, -1
	s_addc_u32 s39, s39, -1
	v_add3_u32 v9, v11, v9, v3
	v_mov_b32_e32 v10, v12
	s_cmp_lg_u64 s[38:39], 0
	v_mov_b32_e32 v11, v13
	s_cbranch_scc0 .LBB10_14
.LBB10_17:                              ;   Parent Loop BB10_3 Depth=1
                                        ; =>  This Inner Loop Header: Depth=2
	s_load_dwordx2 s[46:47], s[40:41], 0x0
                                        ; implicit-def: $vgpr12_vgpr13
	s_waitcnt lgkmcnt(0)
	v_or_b32_e32 v3, s47, v11
	v_cmp_ne_u64_e32 vcc, 0, v[2:3]
	s_and_saveexec_b64 s[0:1], vcc
	s_xor_b64 s[48:49], exec, s[0:1]
	s_cbranch_execz .LBB10_19
; %bb.18:                               ;   in Loop: Header=BB10_17 Depth=2
	s_ashr_i32 s50, s47, 31
	s_add_u32 s0, s46, s50
	s_mov_b32 s51, s50
	s_addc_u32 s1, s47, s50
	s_xor_b64 s[52:53], s[0:1], s[50:51]
	v_cvt_f32_u32_e32 v3, s52
	v_cvt_f32_u32_e32 v12, s53
	s_sub_u32 s51, 0, s52
	s_subb_u32 s54, 0, s53
	v_mac_f32_e32 v3, 0x4f800000, v12
	v_rcp_f32_e32 v3, v3
	v_mul_f32_e32 v3, 0x5f7ffffc, v3
	v_mul_f32_e32 v12, 0x2f800000, v3
	v_trunc_f32_e32 v12, v12
	v_mac_f32_e32 v3, 0xcf800000, v12
	v_cvt_u32_f32_e32 v12, v12
	v_cvt_u32_f32_e32 v3, v3
	v_readfirstlane_b32 s55, v12
	v_readfirstlane_b32 s0, v3
	s_mul_i32 s1, s51, s55
	s_mul_hi_u32 s57, s51, s0
	s_mul_i32 s56, s54, s0
	s_add_i32 s1, s57, s1
	s_add_i32 s1, s1, s56
	s_mul_i32 s58, s51, s0
	s_mul_i32 s57, s0, s1
	s_mul_hi_u32 s59, s0, s58
	s_mul_hi_u32 s56, s0, s1
	s_add_u32 s57, s59, s57
	s_addc_u32 s56, 0, s56
	s_mul_hi_u32 s60, s55, s58
	s_mul_i32 s58, s55, s58
	s_add_u32 s57, s57, s58
	s_mul_hi_u32 s59, s55, s1
	s_addc_u32 s56, s56, s60
	s_addc_u32 s57, s59, 0
	s_mul_i32 s1, s55, s1
	s_add_u32 s1, s56, s1
	s_addc_u32 s56, 0, s57
	s_add_u32 s57, s0, s1
	s_cselect_b64 s[0:1], -1, 0
	s_cmp_lg_u64 s[0:1], 0
	s_addc_u32 s55, s55, s56
	s_mul_i32 s0, s51, s55
	s_mul_hi_u32 s1, s51, s57
	s_add_i32 s0, s1, s0
	s_mul_i32 s54, s54, s57
	s_add_i32 s0, s0, s54
	s_mul_i32 s51, s51, s57
	s_mul_hi_u32 s54, s55, s51
	s_mul_i32 s56, s55, s51
	s_mul_i32 s59, s57, s0
	s_mul_hi_u32 s51, s57, s51
	s_mul_hi_u32 s58, s57, s0
	s_add_u32 s51, s51, s59
	s_addc_u32 s58, 0, s58
	s_add_u32 s51, s51, s56
	s_mul_hi_u32 s1, s55, s0
	s_addc_u32 s51, s58, s54
	s_addc_u32 s1, s1, 0
	s_mul_i32 s0, s55, s0
	s_add_u32 s0, s51, s0
	s_addc_u32 s51, 0, s1
	s_add_u32 s54, s57, s0
	s_cselect_b64 s[0:1], -1, 0
	v_ashrrev_i32_e32 v3, 31, v11
	s_cmp_lg_u64 s[0:1], 0
	v_add_co_u32_e32 v12, vcc, v10, v3
	s_addc_u32 s51, s55, s51
	v_xor_b32_e32 v16, v12, v3
	v_mad_u64_u32 v[12:13], s[0:1], v16, s51, 0
	v_mul_hi_u32 v15, v16, s54
	v_addc_co_u32_e32 v14, vcc, v11, v3, vcc
	v_xor_b32_e32 v17, v14, v3
	v_add_co_u32_e32 v18, vcc, v15, v12
	v_addc_co_u32_e32 v19, vcc, 0, v13, vcc
	v_mad_u64_u32 v[12:13], s[0:1], v17, s54, 0
	v_mad_u64_u32 v[14:15], s[0:1], v17, s51, 0
	v_add_co_u32_e32 v12, vcc, v18, v12
	v_addc_co_u32_e32 v12, vcc, v19, v13, vcc
	v_addc_co_u32_e32 v13, vcc, 0, v15, vcc
	v_add_co_u32_e32 v14, vcc, v12, v14
	v_addc_co_u32_e32 v15, vcc, 0, v13, vcc
	v_mul_lo_u32 v18, s53, v14
	v_mul_lo_u32 v19, s52, v15
	v_mad_u64_u32 v[12:13], s[0:1], s52, v14, 0
	v_xor_b32_e32 v3, s50, v3
	v_add3_u32 v13, v13, v19, v18
	v_sub_u32_e32 v18, v17, v13
	v_mov_b32_e32 v19, s53
	v_sub_co_u32_e32 v12, vcc, v16, v12
	v_subb_co_u32_e64 v16, s[0:1], v18, v19, vcc
	v_subrev_co_u32_e64 v18, s[0:1], s52, v12
	v_subbrev_co_u32_e64 v16, s[0:1], 0, v16, s[0:1]
	v_cmp_le_u32_e64 s[0:1], s53, v16
	v_cndmask_b32_e64 v19, 0, -1, s[0:1]
	v_cmp_le_u32_e64 s[0:1], s52, v18
	v_cndmask_b32_e64 v18, 0, -1, s[0:1]
	v_cmp_eq_u32_e64 s[0:1], s53, v16
	v_cndmask_b32_e64 v16, v19, v18, s[0:1]
	v_add_co_u32_e64 v18, s[0:1], 2, v14
	v_subb_co_u32_e32 v13, vcc, v17, v13, vcc
	v_addc_co_u32_e64 v19, s[0:1], 0, v15, s[0:1]
	v_cmp_le_u32_e32 vcc, s53, v13
	v_add_co_u32_e64 v22, s[0:1], 1, v14
	v_cndmask_b32_e64 v17, 0, -1, vcc
	v_cmp_le_u32_e32 vcc, s52, v12
	v_addc_co_u32_e64 v23, s[0:1], 0, v15, s[0:1]
	v_cndmask_b32_e64 v12, 0, -1, vcc
	v_cmp_eq_u32_e32 vcc, s53, v13
	v_cmp_ne_u32_e64 s[0:1], 0, v16
	v_cndmask_b32_e32 v12, v17, v12, vcc
	v_cndmask_b32_e64 v16, v23, v19, s[0:1]
	v_cmp_ne_u32_e32 vcc, 0, v12
	v_cndmask_b32_e64 v13, v22, v18, s[0:1]
	v_cndmask_b32_e32 v12, v15, v16, vcc
	v_cndmask_b32_e32 v13, v14, v13, vcc
	v_xor_b32_e32 v14, v12, v3
	v_xor_b32_e32 v12, v13, v3
	v_sub_co_u32_e32 v12, vcc, v12, v3
	v_subb_co_u32_e32 v13, vcc, v14, v3, vcc
.LBB10_19:                              ;   in Loop: Header=BB10_17 Depth=2
	s_andn2_saveexec_b64 s[0:1], s[48:49]
	s_cbranch_execz .LBB10_16
; %bb.20:                               ;   in Loop: Header=BB10_17 Depth=2
	v_cvt_f32_u32_e32 v3, s46
	s_sub_i32 s48, 0, s46
	v_rcp_iflag_f32_e32 v3, v3
	v_mul_f32_e32 v3, 0x4f7ffffe, v3
	v_cvt_u32_f32_e32 v3, v3
	v_mul_lo_u32 v12, s48, v3
	v_mul_hi_u32 v12, v3, v12
	v_add_u32_e32 v3, v3, v12
	v_mul_hi_u32 v3, v10, v3
	v_mul_lo_u32 v12, v3, s46
	v_add_u32_e32 v13, 1, v3
	v_sub_u32_e32 v12, v10, v12
	v_subrev_u32_e32 v14, s46, v12
	v_cmp_le_u32_e32 vcc, s46, v12
	v_cndmask_b32_e32 v12, v12, v14, vcc
	v_cndmask_b32_e32 v3, v3, v13, vcc
	v_add_u32_e32 v13, 1, v3
	v_cmp_le_u32_e32 vcc, s46, v12
	v_cndmask_b32_e32 v12, v3, v13, vcc
	v_mov_b32_e32 v13, v2
	s_branch .LBB10_16
.LBB10_21:                              ;   in Loop: Header=BB10_22 Depth=2
	s_or_b64 exec, exec, s[0:1]
	v_mul_lo_u32 v3, v13, s44
	v_mul_lo_u32 v24, v12, s45
	v_mad_u64_u32 v[22:23], s[0:1], v12, s44, 0
	v_add3_u32 v3, v23, v24, v3
	v_sub_co_u32_e32 v10, vcc, v10, v22
	v_subb_co_u32_e32 v3, vcc, v11, v3, vcc
	v_mul_lo_u32 v3, s48, v3
	v_mul_lo_u32 v22, s49, v10
	v_mad_u64_u32 v[8:9], s[0:1], s48, v10, v[8:9]
	v_mul_lo_u32 v23, v15, s46
	v_mul_lo_u32 v24, v14, s47
	v_mad_u64_u32 v[10:11], s[0:1], v14, s46, 0
	v_add3_u32 v9, v22, v9, v3
	v_mul_lo_u32 v22, v16, s51
	v_add3_u32 v3, v11, v24, v23
	v_sub_co_u32_e32 v10, vcc, v12, v10
	v_subb_co_u32_e32 v3, vcc, v13, v3, vcc
	v_mad_u64_u32 v[8:9], s[0:1], s52, v10, v[8:9]
	v_mul_lo_u32 v3, s52, v3
	v_mul_lo_u32 v12, s53, v10
	;; [unrolled: 1-line block ×3, first 2 shown]
	v_mad_u64_u32 v[10:11], s[0:1], v16, s50, 0
	v_add3_u32 v9, v12, v9, v3
	v_add3_u32 v3, v11, v22, v13
	v_sub_co_u32_e32 v10, vcc, v14, v10
	v_subb_co_u32_e32 v3, vcc, v15, v3, vcc
	v_mad_u64_u32 v[8:9], s[0:1], s56, v10, v[8:9]
	v_mul_lo_u32 v3, s56, v3
	v_mul_lo_u32 v12, s57, v10
	;; [unrolled: 1-line block ×4, first 2 shown]
	v_mad_u64_u32 v[10:11], s[0:1], v18, s54, 0
	s_load_dwordx2 s[0:1], s[38:39], 0x0
	v_add3_u32 v9, v12, v9, v3
	v_add3_u32 v3, v11, v14, v13
	v_sub_co_u32_e32 v10, vcc, v16, v10
	v_subb_co_u32_e32 v3, vcc, v17, v3, vcc
	s_add_u32 s38, s38, 0xffffffe0
	s_waitcnt lgkmcnt(0)
	v_mad_u64_u32 v[8:9], s[44:45], s0, v10, v[8:9]
	v_mul_lo_u32 v3, s0, v3
	v_mul_lo_u32 v10, s1, v10
	s_addc_u32 s39, s39, -1
	s_add_u32 s40, s40, 0xffffffe0
	s_addc_u32 s41, s41, -1
	s_add_u32 s42, s42, -4
	v_add3_u32 v9, v10, v9, v3
	s_addc_u32 s43, s43, -1
	v_mov_b32_e32 v10, v18
	s_cmp_eq_u64 s[42:43], 0
	v_mov_b32_e32 v11, v19
	s_cbranch_scc1 .LBB10_38
.LBB10_22:                              ;   Parent Loop BB10_3 Depth=1
                                        ; =>  This Inner Loop Header: Depth=2
	s_load_dwordx2 s[44:45], s[40:41], 0x18
                                        ; implicit-def: $vgpr12_vgpr13
	s_waitcnt lgkmcnt(0)
	v_or_b32_e32 v3, s45, v11
	v_cmp_ne_u64_e32 vcc, 0, v[2:3]
	s_and_saveexec_b64 s[0:1], vcc
	s_xor_b64 s[46:47], exec, s[0:1]
	s_cbranch_execz .LBB10_24
; %bb.23:                               ;   in Loop: Header=BB10_22 Depth=2
	s_ashr_i32 s48, s45, 31
	s_add_u32 s0, s44, s48
	s_mov_b32 s49, s48
	s_addc_u32 s1, s45, s48
	s_xor_b64 s[50:51], s[0:1], s[48:49]
	v_cvt_f32_u32_e32 v3, s50
	v_cvt_f32_u32_e32 v12, s51
	s_sub_u32 s49, 0, s50
	s_subb_u32 s52, 0, s51
	v_mac_f32_e32 v3, 0x4f800000, v12
	v_rcp_f32_e32 v3, v3
	v_mul_f32_e32 v3, 0x5f7ffffc, v3
	v_mul_f32_e32 v12, 0x2f800000, v3
	v_trunc_f32_e32 v12, v12
	v_mac_f32_e32 v3, 0xcf800000, v12
	v_cvt_u32_f32_e32 v12, v12
	v_cvt_u32_f32_e32 v3, v3
	v_readfirstlane_b32 s53, v12
	v_readfirstlane_b32 s0, v3
	s_mul_i32 s1, s49, s53
	s_mul_hi_u32 s55, s49, s0
	s_mul_i32 s54, s52, s0
	s_add_i32 s1, s55, s1
	s_add_i32 s1, s1, s54
	s_mul_i32 s56, s49, s0
	s_mul_i32 s55, s0, s1
	s_mul_hi_u32 s57, s0, s56
	s_mul_hi_u32 s54, s0, s1
	s_add_u32 s55, s57, s55
	s_addc_u32 s54, 0, s54
	s_mul_hi_u32 s58, s53, s56
	s_mul_i32 s56, s53, s56
	s_add_u32 s55, s55, s56
	s_mul_hi_u32 s57, s53, s1
	s_addc_u32 s54, s54, s58
	s_addc_u32 s55, s57, 0
	s_mul_i32 s1, s53, s1
	s_add_u32 s1, s54, s1
	s_addc_u32 s54, 0, s55
	s_add_u32 s55, s0, s1
	s_cselect_b64 s[0:1], -1, 0
	s_cmp_lg_u64 s[0:1], 0
	s_addc_u32 s53, s53, s54
	s_mul_i32 s0, s49, s53
	s_mul_hi_u32 s1, s49, s55
	s_add_i32 s0, s1, s0
	s_mul_i32 s52, s52, s55
	s_add_i32 s0, s0, s52
	s_mul_i32 s49, s49, s55
	s_mul_hi_u32 s52, s53, s49
	s_mul_i32 s54, s53, s49
	s_mul_i32 s57, s55, s0
	s_mul_hi_u32 s49, s55, s49
	s_mul_hi_u32 s56, s55, s0
	s_add_u32 s49, s49, s57
	s_addc_u32 s56, 0, s56
	s_add_u32 s49, s49, s54
	s_mul_hi_u32 s1, s53, s0
	s_addc_u32 s49, s56, s52
	s_addc_u32 s1, s1, 0
	s_mul_i32 s0, s53, s0
	s_add_u32 s0, s49, s0
	s_addc_u32 s49, 0, s1
	s_add_u32 s52, s55, s0
	s_cselect_b64 s[0:1], -1, 0
	v_ashrrev_i32_e32 v3, 31, v11
	s_cmp_lg_u64 s[0:1], 0
	v_add_co_u32_e32 v12, vcc, v10, v3
	s_addc_u32 s49, s53, s49
	v_xor_b32_e32 v16, v12, v3
	v_mad_u64_u32 v[12:13], s[0:1], v16, s49, 0
	v_mul_hi_u32 v15, v16, s52
	v_addc_co_u32_e32 v14, vcc, v11, v3, vcc
	v_xor_b32_e32 v17, v14, v3
	v_add_co_u32_e32 v18, vcc, v15, v12
	v_addc_co_u32_e32 v19, vcc, 0, v13, vcc
	v_mad_u64_u32 v[12:13], s[0:1], v17, s52, 0
	v_mad_u64_u32 v[14:15], s[0:1], v17, s49, 0
	v_add_co_u32_e32 v12, vcc, v18, v12
	v_addc_co_u32_e32 v12, vcc, v19, v13, vcc
	v_addc_co_u32_e32 v13, vcc, 0, v15, vcc
	v_add_co_u32_e32 v14, vcc, v12, v14
	v_addc_co_u32_e32 v15, vcc, 0, v13, vcc
	v_mul_lo_u32 v18, s51, v14
	v_mul_lo_u32 v19, s50, v15
	v_mad_u64_u32 v[12:13], s[0:1], s50, v14, 0
	v_xor_b32_e32 v3, s48, v3
	v_add3_u32 v13, v13, v19, v18
	v_sub_u32_e32 v18, v17, v13
	v_mov_b32_e32 v19, s51
	v_sub_co_u32_e32 v12, vcc, v16, v12
	v_subb_co_u32_e64 v16, s[0:1], v18, v19, vcc
	v_subrev_co_u32_e64 v18, s[0:1], s50, v12
	v_subbrev_co_u32_e64 v16, s[0:1], 0, v16, s[0:1]
	v_cmp_le_u32_e64 s[0:1], s51, v16
	v_cndmask_b32_e64 v19, 0, -1, s[0:1]
	v_cmp_le_u32_e64 s[0:1], s50, v18
	v_cndmask_b32_e64 v18, 0, -1, s[0:1]
	v_cmp_eq_u32_e64 s[0:1], s51, v16
	v_cndmask_b32_e64 v16, v19, v18, s[0:1]
	v_add_co_u32_e64 v18, s[0:1], 2, v14
	v_subb_co_u32_e32 v13, vcc, v17, v13, vcc
	v_addc_co_u32_e64 v19, s[0:1], 0, v15, s[0:1]
	v_cmp_le_u32_e32 vcc, s51, v13
	v_add_co_u32_e64 v22, s[0:1], 1, v14
	v_cndmask_b32_e64 v17, 0, -1, vcc
	v_cmp_le_u32_e32 vcc, s50, v12
	v_addc_co_u32_e64 v23, s[0:1], 0, v15, s[0:1]
	v_cndmask_b32_e64 v12, 0, -1, vcc
	v_cmp_eq_u32_e32 vcc, s51, v13
	v_cmp_ne_u32_e64 s[0:1], 0, v16
	v_cndmask_b32_e32 v12, v17, v12, vcc
	v_cndmask_b32_e64 v16, v23, v19, s[0:1]
	v_cmp_ne_u32_e32 vcc, 0, v12
	v_cndmask_b32_e64 v13, v22, v18, s[0:1]
	v_cndmask_b32_e32 v12, v15, v16, vcc
	v_cndmask_b32_e32 v13, v14, v13, vcc
	v_xor_b32_e32 v14, v12, v3
	v_xor_b32_e32 v12, v13, v3
	v_sub_co_u32_e32 v12, vcc, v12, v3
	v_subb_co_u32_e32 v13, vcc, v14, v3, vcc
.LBB10_24:                              ;   in Loop: Header=BB10_22 Depth=2
	s_andn2_saveexec_b64 s[0:1], s[46:47]
	s_cbranch_execz .LBB10_26
; %bb.25:                               ;   in Loop: Header=BB10_22 Depth=2
	v_cvt_f32_u32_e32 v3, s44
	s_sub_i32 s46, 0, s44
	v_rcp_iflag_f32_e32 v3, v3
	v_mul_f32_e32 v3, 0x4f7ffffe, v3
	v_cvt_u32_f32_e32 v3, v3
	v_mul_lo_u32 v12, s46, v3
	v_mul_hi_u32 v12, v3, v12
	v_add_u32_e32 v3, v3, v12
	v_mul_hi_u32 v3, v10, v3
	v_mul_lo_u32 v12, v3, s44
	v_add_u32_e32 v13, 1, v3
	v_sub_u32_e32 v12, v10, v12
	v_subrev_u32_e32 v14, s44, v12
	v_cmp_le_u32_e32 vcc, s44, v12
	v_cndmask_b32_e32 v12, v12, v14, vcc
	v_cndmask_b32_e32 v3, v3, v13, vcc
	v_add_u32_e32 v13, 1, v3
	v_cmp_le_u32_e32 vcc, s44, v12
	v_cndmask_b32_e32 v12, v3, v13, vcc
	v_mov_b32_e32 v13, v2
.LBB10_26:                              ;   in Loop: Header=BB10_22 Depth=2
	s_or_b64 exec, exec, s[0:1]
	s_load_dwordx2 s[46:47], s[40:41], 0x10
	s_load_dwordx2 s[48:49], s[38:39], 0x18
                                        ; implicit-def: $vgpr14_vgpr15
	s_waitcnt lgkmcnt(0)
	v_or_b32_e32 v3, s47, v13
	v_cmp_ne_u64_e32 vcc, 0, v[2:3]
	s_and_saveexec_b64 s[0:1], vcc
	s_xor_b64 s[50:51], exec, s[0:1]
	s_cbranch_execz .LBB10_28
; %bb.27:                               ;   in Loop: Header=BB10_22 Depth=2
	s_ashr_i32 s52, s47, 31
	s_add_u32 s0, s46, s52
	s_mov_b32 s53, s52
	s_addc_u32 s1, s47, s52
	s_xor_b64 s[54:55], s[0:1], s[52:53]
	v_cvt_f32_u32_e32 v3, s54
	v_cvt_f32_u32_e32 v14, s55
	s_sub_u32 s53, 0, s54
	s_subb_u32 s56, 0, s55
	v_mac_f32_e32 v3, 0x4f800000, v14
	v_rcp_f32_e32 v3, v3
	v_mul_f32_e32 v3, 0x5f7ffffc, v3
	v_mul_f32_e32 v14, 0x2f800000, v3
	v_trunc_f32_e32 v14, v14
	v_mac_f32_e32 v3, 0xcf800000, v14
	v_cvt_u32_f32_e32 v14, v14
	v_cvt_u32_f32_e32 v3, v3
	v_readfirstlane_b32 s57, v14
	v_readfirstlane_b32 s0, v3
	s_mul_i32 s1, s53, s57
	s_mul_hi_u32 s59, s53, s0
	s_mul_i32 s58, s56, s0
	s_add_i32 s1, s59, s1
	s_add_i32 s1, s1, s58
	s_mul_i32 s60, s53, s0
	s_mul_i32 s59, s0, s1
	s_mul_hi_u32 s61, s0, s60
	s_mul_hi_u32 s58, s0, s1
	s_add_u32 s59, s61, s59
	s_addc_u32 s58, 0, s58
	s_mul_hi_u32 s62, s57, s60
	s_mul_i32 s60, s57, s60
	s_add_u32 s59, s59, s60
	s_mul_hi_u32 s61, s57, s1
	s_addc_u32 s58, s58, s62
	s_addc_u32 s59, s61, 0
	s_mul_i32 s1, s57, s1
	s_add_u32 s1, s58, s1
	s_addc_u32 s58, 0, s59
	s_add_u32 s59, s0, s1
	s_cselect_b64 s[0:1], -1, 0
	s_cmp_lg_u64 s[0:1], 0
	s_addc_u32 s57, s57, s58
	s_mul_i32 s0, s53, s57
	s_mul_hi_u32 s1, s53, s59
	s_add_i32 s0, s1, s0
	s_mul_i32 s56, s56, s59
	s_add_i32 s0, s0, s56
	s_mul_i32 s53, s53, s59
	s_mul_hi_u32 s56, s57, s53
	s_mul_i32 s58, s57, s53
	s_mul_i32 s61, s59, s0
	s_mul_hi_u32 s53, s59, s53
	s_mul_hi_u32 s60, s59, s0
	s_add_u32 s53, s53, s61
	s_addc_u32 s60, 0, s60
	s_add_u32 s53, s53, s58
	s_mul_hi_u32 s1, s57, s0
	s_addc_u32 s53, s60, s56
	s_addc_u32 s1, s1, 0
	s_mul_i32 s0, s57, s0
	s_add_u32 s0, s53, s0
	s_addc_u32 s53, 0, s1
	s_add_u32 s56, s59, s0
	s_cselect_b64 s[0:1], -1, 0
	v_ashrrev_i32_e32 v3, 31, v13
	s_cmp_lg_u64 s[0:1], 0
	v_add_co_u32_e32 v14, vcc, v12, v3
	s_addc_u32 s53, s57, s53
	v_xor_b32_e32 v18, v14, v3
	v_mad_u64_u32 v[14:15], s[0:1], v18, s53, 0
	v_mul_hi_u32 v17, v18, s56
	v_addc_co_u32_e32 v16, vcc, v13, v3, vcc
	v_xor_b32_e32 v19, v16, v3
	v_add_co_u32_e32 v22, vcc, v17, v14
	v_addc_co_u32_e32 v23, vcc, 0, v15, vcc
	v_mad_u64_u32 v[14:15], s[0:1], v19, s56, 0
	v_mad_u64_u32 v[16:17], s[0:1], v19, s53, 0
	v_add_co_u32_e32 v14, vcc, v22, v14
	v_addc_co_u32_e32 v14, vcc, v23, v15, vcc
	v_addc_co_u32_e32 v15, vcc, 0, v17, vcc
	v_add_co_u32_e32 v16, vcc, v14, v16
	v_addc_co_u32_e32 v17, vcc, 0, v15, vcc
	v_mul_lo_u32 v22, s55, v16
	v_mul_lo_u32 v23, s54, v17
	v_mad_u64_u32 v[14:15], s[0:1], s54, v16, 0
	v_xor_b32_e32 v3, s52, v3
	v_add3_u32 v15, v15, v23, v22
	v_sub_u32_e32 v22, v19, v15
	v_mov_b32_e32 v23, s55
	v_sub_co_u32_e32 v14, vcc, v18, v14
	v_subb_co_u32_e64 v18, s[0:1], v22, v23, vcc
	v_subrev_co_u32_e64 v22, s[0:1], s54, v14
	v_subbrev_co_u32_e64 v18, s[0:1], 0, v18, s[0:1]
	v_cmp_le_u32_e64 s[0:1], s55, v18
	v_cndmask_b32_e64 v23, 0, -1, s[0:1]
	v_cmp_le_u32_e64 s[0:1], s54, v22
	v_cndmask_b32_e64 v22, 0, -1, s[0:1]
	v_cmp_eq_u32_e64 s[0:1], s55, v18
	v_cndmask_b32_e64 v18, v23, v22, s[0:1]
	v_add_co_u32_e64 v22, s[0:1], 2, v16
	v_subb_co_u32_e32 v15, vcc, v19, v15, vcc
	v_addc_co_u32_e64 v23, s[0:1], 0, v17, s[0:1]
	v_cmp_le_u32_e32 vcc, s55, v15
	v_add_co_u32_e64 v24, s[0:1], 1, v16
	v_cndmask_b32_e64 v19, 0, -1, vcc
	v_cmp_le_u32_e32 vcc, s54, v14
	v_addc_co_u32_e64 v25, s[0:1], 0, v17, s[0:1]
	v_cndmask_b32_e64 v14, 0, -1, vcc
	v_cmp_eq_u32_e32 vcc, s55, v15
	v_cmp_ne_u32_e64 s[0:1], 0, v18
	v_cndmask_b32_e32 v14, v19, v14, vcc
	v_cndmask_b32_e64 v18, v25, v23, s[0:1]
	v_cmp_ne_u32_e32 vcc, 0, v14
	v_cndmask_b32_e64 v15, v24, v22, s[0:1]
	v_cndmask_b32_e32 v14, v17, v18, vcc
	v_cndmask_b32_e32 v15, v16, v15, vcc
	v_xor_b32_e32 v16, v14, v3
	v_xor_b32_e32 v14, v15, v3
	v_sub_co_u32_e32 v14, vcc, v14, v3
	v_subb_co_u32_e32 v15, vcc, v16, v3, vcc
.LBB10_28:                              ;   in Loop: Header=BB10_22 Depth=2
	s_andn2_saveexec_b64 s[0:1], s[50:51]
	s_cbranch_execz .LBB10_30
; %bb.29:                               ;   in Loop: Header=BB10_22 Depth=2
	v_cvt_f32_u32_e32 v3, s46
	s_sub_i32 s50, 0, s46
	v_rcp_iflag_f32_e32 v3, v3
	v_mul_f32_e32 v3, 0x4f7ffffe, v3
	v_cvt_u32_f32_e32 v3, v3
	v_mul_lo_u32 v14, s50, v3
	v_mul_hi_u32 v14, v3, v14
	v_add_u32_e32 v3, v3, v14
	v_mul_hi_u32 v3, v12, v3
	v_mul_lo_u32 v14, v3, s46
	v_add_u32_e32 v15, 1, v3
	v_sub_u32_e32 v14, v12, v14
	v_subrev_u32_e32 v16, s46, v14
	v_cmp_le_u32_e32 vcc, s46, v14
	v_cndmask_b32_e32 v14, v14, v16, vcc
	v_cndmask_b32_e32 v3, v3, v15, vcc
	v_add_u32_e32 v15, 1, v3
	v_cmp_le_u32_e32 vcc, s46, v14
	v_cndmask_b32_e32 v14, v3, v15, vcc
	v_mov_b32_e32 v15, v2
.LBB10_30:                              ;   in Loop: Header=BB10_22 Depth=2
	s_or_b64 exec, exec, s[0:1]
	s_load_dwordx2 s[50:51], s[40:41], 0x8
	s_load_dwordx2 s[52:53], s[38:39], 0x10
                                        ; implicit-def: $vgpr16_vgpr17
	s_waitcnt lgkmcnt(0)
	v_or_b32_e32 v3, s51, v15
	v_cmp_ne_u64_e32 vcc, 0, v[2:3]
	s_and_saveexec_b64 s[0:1], vcc
	s_xor_b64 s[54:55], exec, s[0:1]
	s_cbranch_execz .LBB10_32
; %bb.31:                               ;   in Loop: Header=BB10_22 Depth=2
	s_ashr_i32 s56, s51, 31
	s_add_u32 s0, s50, s56
	s_mov_b32 s57, s56
	s_addc_u32 s1, s51, s56
	s_xor_b64 s[58:59], s[0:1], s[56:57]
	v_cvt_f32_u32_e32 v3, s58
	v_cvt_f32_u32_e32 v16, s59
	s_sub_u32 s57, 0, s58
	s_subb_u32 s60, 0, s59
	v_mac_f32_e32 v3, 0x4f800000, v16
	v_rcp_f32_e32 v3, v3
	v_mul_f32_e32 v3, 0x5f7ffffc, v3
	v_mul_f32_e32 v16, 0x2f800000, v3
	v_trunc_f32_e32 v16, v16
	v_mac_f32_e32 v3, 0xcf800000, v16
	v_cvt_u32_f32_e32 v16, v16
	v_cvt_u32_f32_e32 v3, v3
	v_readfirstlane_b32 s61, v16
	v_readfirstlane_b32 s0, v3
	s_mul_i32 s1, s57, s61
	s_mul_hi_u32 s63, s57, s0
	s_mul_i32 s62, s60, s0
	s_add_i32 s1, s63, s1
	s_add_i32 s1, s1, s62
	s_mul_i32 s68, s57, s0
	s_mul_i32 s63, s0, s1
	s_mul_hi_u32 s69, s0, s68
	s_mul_hi_u32 s62, s0, s1
	s_add_u32 s63, s69, s63
	s_addc_u32 s62, 0, s62
	s_mul_hi_u32 s70, s61, s68
	s_mul_i32 s68, s61, s68
	s_add_u32 s63, s63, s68
	s_mul_hi_u32 s69, s61, s1
	s_addc_u32 s62, s62, s70
	s_addc_u32 s63, s69, 0
	s_mul_i32 s1, s61, s1
	s_add_u32 s1, s62, s1
	s_addc_u32 s62, 0, s63
	s_add_u32 s63, s0, s1
	s_cselect_b64 s[0:1], -1, 0
	s_cmp_lg_u64 s[0:1], 0
	s_addc_u32 s61, s61, s62
	s_mul_i32 s0, s57, s61
	s_mul_hi_u32 s1, s57, s63
	s_add_i32 s0, s1, s0
	s_mul_i32 s60, s60, s63
	s_add_i32 s0, s0, s60
	s_mul_i32 s57, s57, s63
	s_mul_hi_u32 s60, s61, s57
	s_mul_i32 s62, s61, s57
	s_mul_i32 s69, s63, s0
	s_mul_hi_u32 s57, s63, s57
	s_mul_hi_u32 s68, s63, s0
	s_add_u32 s57, s57, s69
	s_addc_u32 s68, 0, s68
	s_add_u32 s57, s57, s62
	s_mul_hi_u32 s1, s61, s0
	s_addc_u32 s57, s68, s60
	s_addc_u32 s1, s1, 0
	s_mul_i32 s0, s61, s0
	s_add_u32 s0, s57, s0
	s_addc_u32 s57, 0, s1
	s_add_u32 s60, s63, s0
	s_cselect_b64 s[0:1], -1, 0
	v_ashrrev_i32_e32 v3, 31, v15
	s_cmp_lg_u64 s[0:1], 0
	v_add_co_u32_e32 v16, vcc, v14, v3
	s_addc_u32 s57, s61, s57
	v_xor_b32_e32 v22, v16, v3
	v_mad_u64_u32 v[16:17], s[0:1], v22, s57, 0
	v_mul_hi_u32 v19, v22, s60
	v_addc_co_u32_e32 v18, vcc, v15, v3, vcc
	v_xor_b32_e32 v23, v18, v3
	v_add_co_u32_e32 v24, vcc, v19, v16
	v_addc_co_u32_e32 v25, vcc, 0, v17, vcc
	v_mad_u64_u32 v[16:17], s[0:1], v23, s60, 0
	v_mad_u64_u32 v[18:19], s[0:1], v23, s57, 0
	v_add_co_u32_e32 v16, vcc, v24, v16
	v_addc_co_u32_e32 v16, vcc, v25, v17, vcc
	v_addc_co_u32_e32 v17, vcc, 0, v19, vcc
	v_add_co_u32_e32 v18, vcc, v16, v18
	v_addc_co_u32_e32 v19, vcc, 0, v17, vcc
	v_mul_lo_u32 v24, s59, v18
	v_mul_lo_u32 v25, s58, v19
	v_mad_u64_u32 v[16:17], s[0:1], s58, v18, 0
	v_xor_b32_e32 v3, s56, v3
	v_add3_u32 v17, v17, v25, v24
	v_sub_u32_e32 v24, v23, v17
	v_mov_b32_e32 v25, s59
	v_sub_co_u32_e32 v16, vcc, v22, v16
	v_subb_co_u32_e64 v22, s[0:1], v24, v25, vcc
	v_subrev_co_u32_e64 v24, s[0:1], s58, v16
	v_subbrev_co_u32_e64 v22, s[0:1], 0, v22, s[0:1]
	v_cmp_le_u32_e64 s[0:1], s59, v22
	v_cndmask_b32_e64 v25, 0, -1, s[0:1]
	v_cmp_le_u32_e64 s[0:1], s58, v24
	v_cndmask_b32_e64 v24, 0, -1, s[0:1]
	v_cmp_eq_u32_e64 s[0:1], s59, v22
	v_cndmask_b32_e64 v22, v25, v24, s[0:1]
	v_add_co_u32_e64 v24, s[0:1], 2, v18
	v_subb_co_u32_e32 v17, vcc, v23, v17, vcc
	v_addc_co_u32_e64 v25, s[0:1], 0, v19, s[0:1]
	v_cmp_le_u32_e32 vcc, s59, v17
	v_add_co_u32_e64 v26, s[0:1], 1, v18
	v_cndmask_b32_e64 v23, 0, -1, vcc
	v_cmp_le_u32_e32 vcc, s58, v16
	v_addc_co_u32_e64 v27, s[0:1], 0, v19, s[0:1]
	v_cndmask_b32_e64 v16, 0, -1, vcc
	v_cmp_eq_u32_e32 vcc, s59, v17
	v_cmp_ne_u32_e64 s[0:1], 0, v22
	v_cndmask_b32_e32 v16, v23, v16, vcc
	v_cndmask_b32_e64 v22, v27, v25, s[0:1]
	v_cmp_ne_u32_e32 vcc, 0, v16
	v_cndmask_b32_e64 v17, v26, v24, s[0:1]
	v_cndmask_b32_e32 v16, v19, v22, vcc
	v_cndmask_b32_e32 v17, v18, v17, vcc
	v_xor_b32_e32 v18, v16, v3
	v_xor_b32_e32 v16, v17, v3
	v_sub_co_u32_e32 v16, vcc, v16, v3
	v_subb_co_u32_e32 v17, vcc, v18, v3, vcc
.LBB10_32:                              ;   in Loop: Header=BB10_22 Depth=2
	s_andn2_saveexec_b64 s[0:1], s[54:55]
	s_cbranch_execz .LBB10_34
; %bb.33:                               ;   in Loop: Header=BB10_22 Depth=2
	v_cvt_f32_u32_e32 v3, s50
	s_sub_i32 s54, 0, s50
	v_rcp_iflag_f32_e32 v3, v3
	v_mul_f32_e32 v3, 0x4f7ffffe, v3
	v_cvt_u32_f32_e32 v3, v3
	v_mul_lo_u32 v16, s54, v3
	v_mul_hi_u32 v16, v3, v16
	v_add_u32_e32 v3, v3, v16
	v_mul_hi_u32 v3, v14, v3
	v_mul_lo_u32 v16, v3, s50
	v_add_u32_e32 v17, 1, v3
	v_sub_u32_e32 v16, v14, v16
	v_subrev_u32_e32 v18, s50, v16
	v_cmp_le_u32_e32 vcc, s50, v16
	v_cndmask_b32_e32 v16, v16, v18, vcc
	v_cndmask_b32_e32 v3, v3, v17, vcc
	v_add_u32_e32 v17, 1, v3
	v_cmp_le_u32_e32 vcc, s50, v16
	v_cndmask_b32_e32 v16, v3, v17, vcc
	v_mov_b32_e32 v17, v2
.LBB10_34:                              ;   in Loop: Header=BB10_22 Depth=2
	s_or_b64 exec, exec, s[0:1]
	s_load_dwordx2 s[54:55], s[40:41], 0x0
	s_load_dwordx2 s[56:57], s[38:39], 0x8
                                        ; implicit-def: $vgpr18_vgpr19
	s_waitcnt lgkmcnt(0)
	v_or_b32_e32 v3, s55, v17
	v_cmp_ne_u64_e32 vcc, 0, v[2:3]
	s_and_saveexec_b64 s[0:1], vcc
	s_xor_b64 s[58:59], exec, s[0:1]
	s_cbranch_execz .LBB10_36
; %bb.35:                               ;   in Loop: Header=BB10_22 Depth=2
	s_ashr_i32 s60, s55, 31
	s_add_u32 s0, s54, s60
	s_mov_b32 s61, s60
	s_addc_u32 s1, s55, s60
	s_xor_b64 s[62:63], s[0:1], s[60:61]
	v_cvt_f32_u32_e32 v3, s62
	v_cvt_f32_u32_e32 v18, s63
	s_sub_u32 s61, 0, s62
	s_subb_u32 s68, 0, s63
	v_mac_f32_e32 v3, 0x4f800000, v18
	v_rcp_f32_e32 v3, v3
	v_mul_f32_e32 v3, 0x5f7ffffc, v3
	v_mul_f32_e32 v18, 0x2f800000, v3
	v_trunc_f32_e32 v18, v18
	v_mac_f32_e32 v3, 0xcf800000, v18
	v_cvt_u32_f32_e32 v18, v18
	v_cvt_u32_f32_e32 v3, v3
	v_readfirstlane_b32 s69, v18
	v_readfirstlane_b32 s0, v3
	s_mul_i32 s1, s61, s69
	s_mul_hi_u32 s71, s61, s0
	s_mul_i32 s70, s68, s0
	s_add_i32 s1, s71, s1
	s_add_i32 s1, s1, s70
	s_mul_i32 s72, s61, s0
	s_mul_i32 s71, s0, s1
	s_mul_hi_u32 s73, s0, s72
	s_mul_hi_u32 s70, s0, s1
	s_add_u32 s71, s73, s71
	s_addc_u32 s70, 0, s70
	s_mul_hi_u32 s74, s69, s72
	s_mul_i32 s72, s69, s72
	s_add_u32 s71, s71, s72
	s_mul_hi_u32 s73, s69, s1
	s_addc_u32 s70, s70, s74
	s_addc_u32 s71, s73, 0
	s_mul_i32 s1, s69, s1
	s_add_u32 s1, s70, s1
	s_addc_u32 s70, 0, s71
	s_add_u32 s71, s0, s1
	s_cselect_b64 s[0:1], -1, 0
	s_cmp_lg_u64 s[0:1], 0
	s_addc_u32 s69, s69, s70
	s_mul_i32 s0, s61, s69
	s_mul_hi_u32 s1, s61, s71
	s_add_i32 s0, s1, s0
	s_mul_i32 s68, s68, s71
	s_add_i32 s0, s0, s68
	s_mul_i32 s61, s61, s71
	s_mul_hi_u32 s68, s69, s61
	s_mul_i32 s70, s69, s61
	s_mul_i32 s73, s71, s0
	s_mul_hi_u32 s61, s71, s61
	s_mul_hi_u32 s72, s71, s0
	s_add_u32 s61, s61, s73
	s_addc_u32 s72, 0, s72
	s_add_u32 s61, s61, s70
	s_mul_hi_u32 s1, s69, s0
	s_addc_u32 s61, s72, s68
	s_addc_u32 s1, s1, 0
	s_mul_i32 s0, s69, s0
	s_add_u32 s0, s61, s0
	s_addc_u32 s61, 0, s1
	s_add_u32 s68, s71, s0
	s_cselect_b64 s[0:1], -1, 0
	v_ashrrev_i32_e32 v3, 31, v17
	s_cmp_lg_u64 s[0:1], 0
	v_add_co_u32_e32 v18, vcc, v16, v3
	s_addc_u32 s61, s69, s61
	v_xor_b32_e32 v24, v18, v3
	v_mad_u64_u32 v[18:19], s[0:1], v24, s61, 0
	v_mul_hi_u32 v23, v24, s68
	v_addc_co_u32_e32 v22, vcc, v17, v3, vcc
	v_xor_b32_e32 v25, v22, v3
	v_add_co_u32_e32 v26, vcc, v23, v18
	v_addc_co_u32_e32 v27, vcc, 0, v19, vcc
	v_mad_u64_u32 v[18:19], s[0:1], v25, s68, 0
	v_mad_u64_u32 v[22:23], s[0:1], v25, s61, 0
	v_add_co_u32_e32 v18, vcc, v26, v18
	v_addc_co_u32_e32 v18, vcc, v27, v19, vcc
	v_addc_co_u32_e32 v19, vcc, 0, v23, vcc
	v_add_co_u32_e32 v22, vcc, v18, v22
	v_addc_co_u32_e32 v23, vcc, 0, v19, vcc
	v_mul_lo_u32 v26, s63, v22
	v_mul_lo_u32 v27, s62, v23
	v_mad_u64_u32 v[18:19], s[0:1], s62, v22, 0
	v_xor_b32_e32 v3, s60, v3
	v_add3_u32 v19, v19, v27, v26
	v_sub_u32_e32 v26, v25, v19
	v_mov_b32_e32 v27, s63
	v_sub_co_u32_e32 v18, vcc, v24, v18
	v_subb_co_u32_e64 v24, s[0:1], v26, v27, vcc
	v_subrev_co_u32_e64 v26, s[0:1], s62, v18
	v_subbrev_co_u32_e64 v24, s[0:1], 0, v24, s[0:1]
	v_cmp_le_u32_e64 s[0:1], s63, v24
	v_cndmask_b32_e64 v27, 0, -1, s[0:1]
	v_cmp_le_u32_e64 s[0:1], s62, v26
	v_cndmask_b32_e64 v26, 0, -1, s[0:1]
	v_cmp_eq_u32_e64 s[0:1], s63, v24
	v_cndmask_b32_e64 v24, v27, v26, s[0:1]
	v_add_co_u32_e64 v26, s[0:1], 2, v22
	v_subb_co_u32_e32 v19, vcc, v25, v19, vcc
	v_addc_co_u32_e64 v27, s[0:1], 0, v23, s[0:1]
	v_cmp_le_u32_e32 vcc, s63, v19
	v_add_co_u32_e64 v28, s[0:1], 1, v22
	v_cndmask_b32_e64 v25, 0, -1, vcc
	v_cmp_le_u32_e32 vcc, s62, v18
	v_addc_co_u32_e64 v29, s[0:1], 0, v23, s[0:1]
	v_cndmask_b32_e64 v18, 0, -1, vcc
	v_cmp_eq_u32_e32 vcc, s63, v19
	v_cmp_ne_u32_e64 s[0:1], 0, v24
	v_cndmask_b32_e32 v18, v25, v18, vcc
	v_cndmask_b32_e64 v24, v29, v27, s[0:1]
	v_cmp_ne_u32_e32 vcc, 0, v18
	v_cndmask_b32_e64 v19, v28, v26, s[0:1]
	v_cndmask_b32_e32 v18, v23, v24, vcc
	v_cndmask_b32_e32 v19, v22, v19, vcc
	v_xor_b32_e32 v22, v18, v3
	v_xor_b32_e32 v18, v19, v3
	v_sub_co_u32_e32 v18, vcc, v18, v3
	v_subb_co_u32_e32 v19, vcc, v22, v3, vcc
.LBB10_36:                              ;   in Loop: Header=BB10_22 Depth=2
	s_andn2_saveexec_b64 s[0:1], s[58:59]
	s_cbranch_execz .LBB10_21
; %bb.37:                               ;   in Loop: Header=BB10_22 Depth=2
	v_cvt_f32_u32_e32 v3, s54
	s_sub_i32 s58, 0, s54
	v_rcp_iflag_f32_e32 v3, v3
	v_mul_f32_e32 v3, 0x4f7ffffe, v3
	v_cvt_u32_f32_e32 v3, v3
	v_mul_lo_u32 v18, s58, v3
	v_mul_hi_u32 v18, v3, v18
	v_add_u32_e32 v3, v3, v18
	v_mul_hi_u32 v3, v16, v3
	v_mul_lo_u32 v18, v3, s54
	v_add_u32_e32 v19, 1, v3
	v_sub_u32_e32 v18, v16, v18
	v_subrev_u32_e32 v22, s54, v18
	v_cmp_le_u32_e32 vcc, s54, v18
	v_cndmask_b32_e32 v18, v18, v22, vcc
	v_cndmask_b32_e32 v3, v3, v19, vcc
	v_add_u32_e32 v19, 1, v3
	v_cmp_le_u32_e32 vcc, s54, v18
	v_cndmask_b32_e32 v18, v3, v19, vcc
	v_mov_b32_e32 v19, v2
	s_branch .LBB10_21
.LBB10_38:                              ;   in Loop: Header=BB10_3 Depth=1
	s_load_dwordx2 s[38:39], s[22:23], 0x0
	s_waitcnt lgkmcnt(0)
	v_cmp_gt_i64_e32 vcc, s[38:39], v[4:5]
	s_and_b64 exec, exec, vcc
	s_cbranch_execz .LBB10_2
; %bb.39:                               ;   in Loop: Header=BB10_3 Depth=1
	v_lshlrev_b64 v[8:9], 2, v[8:9]
	v_mov_b32_e32 v3, s13
	v_cmp_lt_i64_e32 vcc, s[8:9], v[6:7]
	v_add_co_u32_e64 v6, s[0:1], s12, v8
	v_addc_co_u32_e64 v7, s[0:1], v3, v9, s[0:1]
	s_and_saveexec_b64 s[0:1], vcc
	s_cbranch_execz .LBB10_41
; %bb.40:                               ;   in Loop: Header=BB10_3 Depth=1
	global_store_dword v[6:7], v2, off
.LBB10_41:                              ;   in Loop: Header=BB10_3 Depth=1
	s_or_b64 exec, exec, s[0:1]
	v_add_co_u32_e32 v3, vcc, 1, v4
	v_addc_co_u32_e32 v4, vcc, 0, v5, vcc
	v_cmp_gt_i64_e32 vcc, s[38:39], v[3:4]
	v_sub_co_u32_e64 v3, s[0:1], v3, v20
	v_subb_co_u32_e64 v4, s[0:1], v4, v21, s[0:1]
	v_cmp_lt_i64_e64 s[0:1], s[8:9], v[3:4]
	s_and_b64 s[0:1], vcc, s[0:1]
	s_and_b64 exec, exec, s[0:1]
	s_cbranch_execz .LBB10_2
; %bb.42:                               ;   in Loop: Header=BB10_3 Depth=1
	s_lshl_b64 s[0:1], s[2:3], 2
	v_mov_b32_e32 v4, s1
	v_add_co_u32_e32 v3, vcc, s0, v6
	v_addc_co_u32_e32 v4, vcc, v7, v4, vcc
	global_store_dword v[3:4], v2, off
	s_branch .LBB10_2
.LBB10_43:
	s_endpgm
	.section	.rodata,"a",@progbits
	.p2align	6, 0x0
	.amdhsa_kernel _ZN2at6native16triu_tril_kernelIilLb0ELi2ELb1EEEvNS_4cuda6detail10TensorInfoIT_T0_EENS4_IKS5_S6_EEllS6_
		.amdhsa_group_segment_fixed_size 0
		.amdhsa_private_segment_fixed_size 0
		.amdhsa_kernarg_size 1112
		.amdhsa_user_sgpr_count 6
		.amdhsa_user_sgpr_private_segment_buffer 1
		.amdhsa_user_sgpr_dispatch_ptr 0
		.amdhsa_user_sgpr_queue_ptr 0
		.amdhsa_user_sgpr_kernarg_segment_ptr 1
		.amdhsa_user_sgpr_dispatch_id 0
		.amdhsa_user_sgpr_flat_scratch_init 0
		.amdhsa_user_sgpr_private_segment_size 0
		.amdhsa_uses_dynamic_stack 0
		.amdhsa_system_sgpr_private_segment_wavefront_offset 0
		.amdhsa_system_sgpr_workgroup_id_x 1
		.amdhsa_system_sgpr_workgroup_id_y 0
		.amdhsa_system_sgpr_workgroup_id_z 0
		.amdhsa_system_sgpr_workgroup_info 0
		.amdhsa_system_vgpr_workitem_id 0
		.amdhsa_next_free_vgpr 30
		.amdhsa_next_free_sgpr 75
		.amdhsa_reserve_vcc 1
		.amdhsa_reserve_flat_scratch 0
		.amdhsa_float_round_mode_32 0
		.amdhsa_float_round_mode_16_64 0
		.amdhsa_float_denorm_mode_32 3
		.amdhsa_float_denorm_mode_16_64 3
		.amdhsa_dx10_clamp 1
		.amdhsa_ieee_mode 1
		.amdhsa_fp16_overflow 0
		.amdhsa_exception_fp_ieee_invalid_op 0
		.amdhsa_exception_fp_denorm_src 0
		.amdhsa_exception_fp_ieee_div_zero 0
		.amdhsa_exception_fp_ieee_overflow 0
		.amdhsa_exception_fp_ieee_underflow 0
		.amdhsa_exception_fp_ieee_inexact 0
		.amdhsa_exception_int_div_zero 0
	.end_amdhsa_kernel
	.section	.text._ZN2at6native16triu_tril_kernelIilLb0ELi2ELb1EEEvNS_4cuda6detail10TensorInfoIT_T0_EENS4_IKS5_S6_EEllS6_,"axG",@progbits,_ZN2at6native16triu_tril_kernelIilLb0ELi2ELb1EEEvNS_4cuda6detail10TensorInfoIT_T0_EENS4_IKS5_S6_EEllS6_,comdat
.Lfunc_end10:
	.size	_ZN2at6native16triu_tril_kernelIilLb0ELi2ELb1EEEvNS_4cuda6detail10TensorInfoIT_T0_EENS4_IKS5_S6_EEllS6_, .Lfunc_end10-_ZN2at6native16triu_tril_kernelIilLb0ELi2ELb1EEEvNS_4cuda6detail10TensorInfoIT_T0_EENS4_IKS5_S6_EEllS6_
                                        ; -- End function
	.set _ZN2at6native16triu_tril_kernelIilLb0ELi2ELb1EEEvNS_4cuda6detail10TensorInfoIT_T0_EENS4_IKS5_S6_EEllS6_.num_vgpr, 30
	.set _ZN2at6native16triu_tril_kernelIilLb0ELi2ELb1EEEvNS_4cuda6detail10TensorInfoIT_T0_EENS4_IKS5_S6_EEllS6_.num_agpr, 0
	.set _ZN2at6native16triu_tril_kernelIilLb0ELi2ELb1EEEvNS_4cuda6detail10TensorInfoIT_T0_EENS4_IKS5_S6_EEllS6_.numbered_sgpr, 75
	.set _ZN2at6native16triu_tril_kernelIilLb0ELi2ELb1EEEvNS_4cuda6detail10TensorInfoIT_T0_EENS4_IKS5_S6_EEllS6_.num_named_barrier, 0
	.set _ZN2at6native16triu_tril_kernelIilLb0ELi2ELb1EEEvNS_4cuda6detail10TensorInfoIT_T0_EENS4_IKS5_S6_EEllS6_.private_seg_size, 0
	.set _ZN2at6native16triu_tril_kernelIilLb0ELi2ELb1EEEvNS_4cuda6detail10TensorInfoIT_T0_EENS4_IKS5_S6_EEllS6_.uses_vcc, 1
	.set _ZN2at6native16triu_tril_kernelIilLb0ELi2ELb1EEEvNS_4cuda6detail10TensorInfoIT_T0_EENS4_IKS5_S6_EEllS6_.uses_flat_scratch, 0
	.set _ZN2at6native16triu_tril_kernelIilLb0ELi2ELb1EEEvNS_4cuda6detail10TensorInfoIT_T0_EENS4_IKS5_S6_EEllS6_.has_dyn_sized_stack, 0
	.set _ZN2at6native16triu_tril_kernelIilLb0ELi2ELb1EEEvNS_4cuda6detail10TensorInfoIT_T0_EENS4_IKS5_S6_EEllS6_.has_recursion, 0
	.set _ZN2at6native16triu_tril_kernelIilLb0ELi2ELb1EEEvNS_4cuda6detail10TensorInfoIT_T0_EENS4_IKS5_S6_EEllS6_.has_indirect_call, 0
	.section	.AMDGPU.csdata,"",@progbits
; Kernel info:
; codeLenInByte = 6472
; TotalNumSgprs: 79
; NumVgprs: 30
; ScratchSize: 0
; MemoryBound: 0
; FloatMode: 240
; IeeeMode: 1
; LDSByteSize: 0 bytes/workgroup (compile time only)
; SGPRBlocks: 9
; VGPRBlocks: 7
; NumSGPRsForWavesPerEU: 79
; NumVGPRsForWavesPerEU: 30
; Occupancy: 8
; WaveLimiterHint : 0
; COMPUTE_PGM_RSRC2:SCRATCH_EN: 0
; COMPUTE_PGM_RSRC2:USER_SGPR: 6
; COMPUTE_PGM_RSRC2:TRAP_HANDLER: 0
; COMPUTE_PGM_RSRC2:TGID_X_EN: 1
; COMPUTE_PGM_RSRC2:TGID_Y_EN: 0
; COMPUTE_PGM_RSRC2:TGID_Z_EN: 0
; COMPUTE_PGM_RSRC2:TIDIG_COMP_CNT: 0
	.section	.text._ZN2at6native16triu_tril_kernelIilLb0ELi2ELb0EEEvNS_4cuda6detail10TensorInfoIT_T0_EENS4_IKS5_S6_EEllS6_,"axG",@progbits,_ZN2at6native16triu_tril_kernelIilLb0ELi2ELb0EEEvNS_4cuda6detail10TensorInfoIT_T0_EENS4_IKS5_S6_EEllS6_,comdat
	.protected	_ZN2at6native16triu_tril_kernelIilLb0ELi2ELb0EEEvNS_4cuda6detail10TensorInfoIT_T0_EENS4_IKS5_S6_EEllS6_ ; -- Begin function _ZN2at6native16triu_tril_kernelIilLb0ELi2ELb0EEEvNS_4cuda6detail10TensorInfoIT_T0_EENS4_IKS5_S6_EEllS6_
	.globl	_ZN2at6native16triu_tril_kernelIilLb0ELi2ELb0EEEvNS_4cuda6detail10TensorInfoIT_T0_EENS4_IKS5_S6_EEllS6_
	.p2align	8
	.type	_ZN2at6native16triu_tril_kernelIilLb0ELi2ELb0EEEvNS_4cuda6detail10TensorInfoIT_T0_EENS4_IKS5_S6_EEllS6_,@function
_ZN2at6native16triu_tril_kernelIilLb0ELi2ELb0EEEvNS_4cuda6detail10TensorInfoIT_T0_EENS4_IKS5_S6_EEllS6_: ; @_ZN2at6native16triu_tril_kernelIilLb0ELi2ELb0EEEvNS_4cuda6detail10TensorInfoIT_T0_EENS4_IKS5_S6_EEllS6_
; %bb.0:
	s_load_dword s2, s[4:5], 0x364
	s_load_dwordx4 s[8:11], s[4:5], 0x340
	s_add_u32 s0, s4, 0x358
	v_mov_b32_e32 v2, 0
	s_addc_u32 s1, s5, 0
	s_waitcnt lgkmcnt(0)
	s_and_b32 s7, s2, 0xffff
	v_mov_b32_e32 v1, v2
	v_mov_b32_e32 v3, s6
	v_mad_u64_u32 v[0:1], s[2:3], s7, v3, v[0:1]
	v_lshlrev_b64 v[0:1], 1, v[0:1]
	v_cmp_gt_i64_e32 vcc, s[10:11], v[0:1]
	s_and_saveexec_b64 s[2:3], vcc
	s_cbranch_execz .LBB11_38
; %bb.1:
	s_load_dword s6, s[0:1], 0x0
	s_load_dword s24, s[4:5], 0x338
	s_add_u32 s33, s4, 0x1a0
	s_addc_u32 s62, s5, 0
	s_load_dwordx2 s[2:3], s[4:5], 0x1a0
	s_waitcnt lgkmcnt(0)
	s_mul_i32 s30, s6, s7
	s_ashr_i32 s25, s24, 31
	s_lshl_b64 s[0:1], s[24:25], 3
	s_add_u32 s20, s33, s0
	s_addc_u32 s21, s62, s1
	s_add_u32 s22, s20, -8
	s_addc_u32 s23, s21, -1
	s_add_u32 s0, s4, s0
	v_cmp_gt_i64_e64 s[6:7], s[24:25], 2
	s_addc_u32 s1, s5, s1
	s_add_i32 s24, s24, -3
	s_ashr_i32 s25, s24, 31
	s_lshl_b32 s63, s30, 1
	s_bitcmp0_b32 s24, 0
	s_load_dwordx4 s[12:15], s[22:23], 0x0
	s_load_dwordx4 s[16:19], s[20:21], 0xc0
	s_cselect_b64 s[30:31], -1, 0
	s_load_dwordx4 s[20:23], s[0:1], 0xc0
	s_lshl_b64 s[0:1], s[24:25], 3
	s_add_u32 s34, s33, s0
	s_addc_u32 s35, s62, s1
	s_add_u32 s36, s4, s0
	s_addc_u32 s37, s5, s1
	s_load_dwordx2 s[26:27], s[4:5], 0x350
	s_load_dwordx2 s[28:29], s[4:5], 0x0
	s_add_u32 s38, s24, -1
	s_addc_u32 s39, s25, -1
	s_cmp_lg_u32 s24, 0
	s_cselect_b64 s[40:41], -1, 0
	s_add_u32 s64, s4, 0xc8
	s_addc_u32 s65, s5, 0
	s_mov_b64 s[4:5], 0
	s_branch .LBB11_3
.LBB11_2:                               ;   in Loop: Header=BB11_3 Depth=1
	s_or_b64 exec, exec, s[0:1]
	v_add_co_u32_e32 v0, vcc, s63, v0
	v_addc_co_u32_e32 v1, vcc, 0, v1, vcc
	v_cmp_le_i64_e32 vcc, s[10:11], v[0:1]
	s_or_b64 s[4:5], vcc, s[4:5]
	s_andn2_b64 exec, exec, s[4:5]
	s_cbranch_execz .LBB11_38
.LBB11_3:                               ; =>This Loop Header: Depth=1
                                        ;     Child Loop BB11_21 Depth 2
	s_waitcnt lgkmcnt(0)
	v_or_b32_e32 v3, s27, v1
	v_cmp_ne_u64_e32 vcc, 0, v[2:3]
                                        ; implicit-def: $vgpr6_vgpr7
	s_and_saveexec_b64 s[0:1], vcc
	s_xor_b64 s[42:43], exec, s[0:1]
	s_cbranch_execz .LBB11_5
; %bb.4:                                ;   in Loop: Header=BB11_3 Depth=1
	s_ashr_i32 s44, s27, 31
	s_add_u32 s0, s26, s44
	s_mov_b32 s45, s44
	s_addc_u32 s1, s27, s44
	s_xor_b64 s[46:47], s[0:1], s[44:45]
	v_cvt_f32_u32_e32 v3, s46
	v_cvt_f32_u32_e32 v4, s47
	s_sub_u32 s45, 0, s46
	s_subb_u32 s48, 0, s47
	v_ashrrev_i32_e32 v7, 31, v1
	v_mac_f32_e32 v3, 0x4f800000, v4
	v_rcp_f32_e32 v3, v3
	v_mul_f32_e32 v3, 0x5f7ffffc, v3
	v_mul_f32_e32 v4, 0x2f800000, v3
	v_trunc_f32_e32 v4, v4
	v_mac_f32_e32 v3, 0xcf800000, v4
	v_cvt_u32_f32_e32 v4, v4
	v_cvt_u32_f32_e32 v3, v3
	v_readfirstlane_b32 s49, v4
	v_readfirstlane_b32 s0, v3
	s_mul_i32 s1, s45, s49
	s_mul_hi_u32 s51, s45, s0
	s_mul_i32 s50, s48, s0
	s_add_i32 s1, s51, s1
	s_add_i32 s1, s1, s50
	s_mul_i32 s52, s45, s0
	s_mul_i32 s51, s0, s1
	s_mul_hi_u32 s53, s0, s52
	s_mul_hi_u32 s50, s0, s1
	s_add_u32 s51, s53, s51
	s_addc_u32 s50, 0, s50
	s_mul_hi_u32 s54, s49, s52
	s_mul_i32 s52, s49, s52
	s_add_u32 s51, s51, s52
	s_mul_hi_u32 s53, s49, s1
	s_addc_u32 s50, s50, s54
	s_addc_u32 s51, s53, 0
	s_mul_i32 s1, s49, s1
	s_add_u32 s1, s50, s1
	s_addc_u32 s50, 0, s51
	s_add_u32 s51, s0, s1
	s_cselect_b64 s[0:1], -1, 0
	s_cmp_lg_u64 s[0:1], 0
	s_addc_u32 s49, s49, s50
	s_mul_i32 s0, s45, s49
	s_mul_hi_u32 s1, s45, s51
	s_add_i32 s0, s1, s0
	s_mul_i32 s48, s48, s51
	s_add_i32 s0, s0, s48
	s_mul_i32 s45, s45, s51
	s_mul_hi_u32 s48, s49, s45
	s_mul_i32 s50, s49, s45
	s_mul_i32 s53, s51, s0
	s_mul_hi_u32 s45, s51, s45
	s_mul_hi_u32 s52, s51, s0
	s_add_u32 s45, s45, s53
	s_addc_u32 s52, 0, s52
	s_add_u32 s45, s45, s50
	s_mul_hi_u32 s1, s49, s0
	s_addc_u32 s45, s52, s48
	s_addc_u32 s1, s1, 0
	s_mul_i32 s0, s49, s0
	s_add_u32 s0, s45, s0
	s_addc_u32 s45, 0, s1
	s_add_u32 s48, s51, s0
	s_cselect_b64 s[0:1], -1, 0
	s_cmp_lg_u64 s[0:1], 0
	v_add_co_u32_e32 v3, vcc, v0, v7
	s_addc_u32 s45, s49, s45
	v_xor_b32_e32 v8, v3, v7
	v_mad_u64_u32 v[3:4], s[0:1], v8, s45, 0
	v_mul_hi_u32 v6, v8, s48
	v_addc_co_u32_e32 v5, vcc, v1, v7, vcc
	v_xor_b32_e32 v9, v5, v7
	v_add_co_u32_e32 v10, vcc, v6, v3
	v_addc_co_u32_e32 v11, vcc, 0, v4, vcc
	v_mad_u64_u32 v[3:4], s[0:1], v9, s48, 0
	v_mad_u64_u32 v[5:6], s[0:1], v9, s45, 0
	v_add_co_u32_e32 v3, vcc, v10, v3
	v_addc_co_u32_e32 v3, vcc, v11, v4, vcc
	v_addc_co_u32_e32 v4, vcc, 0, v6, vcc
	v_add_co_u32_e32 v5, vcc, v3, v5
	v_addc_co_u32_e32 v6, vcc, 0, v4, vcc
	v_mul_lo_u32 v10, s47, v5
	v_mul_lo_u32 v11, s46, v6
	v_mad_u64_u32 v[3:4], s[0:1], s46, v5, 0
	v_add3_u32 v4, v4, v11, v10
	v_sub_u32_e32 v10, v9, v4
	v_mov_b32_e32 v11, s47
	v_sub_co_u32_e32 v3, vcc, v8, v3
	v_subb_co_u32_e64 v8, s[0:1], v10, v11, vcc
	v_subrev_co_u32_e64 v10, s[0:1], s46, v3
	v_subbrev_co_u32_e64 v8, s[0:1], 0, v8, s[0:1]
	v_cmp_le_u32_e64 s[0:1], s47, v8
	v_cndmask_b32_e64 v11, 0, -1, s[0:1]
	v_cmp_le_u32_e64 s[0:1], s46, v10
	v_cndmask_b32_e64 v10, 0, -1, s[0:1]
	v_cmp_eq_u32_e64 s[0:1], s47, v8
	v_cndmask_b32_e64 v8, v11, v10, s[0:1]
	v_add_co_u32_e64 v10, s[0:1], 2, v5
	v_subb_co_u32_e32 v4, vcc, v9, v4, vcc
	v_addc_co_u32_e64 v11, s[0:1], 0, v6, s[0:1]
	v_cmp_le_u32_e32 vcc, s47, v4
	v_add_co_u32_e64 v12, s[0:1], 1, v5
	v_cndmask_b32_e64 v9, 0, -1, vcc
	v_cmp_le_u32_e32 vcc, s46, v3
	v_addc_co_u32_e64 v13, s[0:1], 0, v6, s[0:1]
	v_cndmask_b32_e64 v3, 0, -1, vcc
	v_cmp_eq_u32_e32 vcc, s47, v4
	v_cmp_ne_u32_e64 s[0:1], 0, v8
	v_cndmask_b32_e32 v3, v9, v3, vcc
	v_cmp_ne_u32_e32 vcc, 0, v3
	v_cndmask_b32_e64 v4, v12, v10, s[0:1]
	v_cndmask_b32_e64 v8, v13, v11, s[0:1]
	v_cndmask_b32_e32 v4, v5, v4, vcc
	v_xor_b32_e32 v5, s44, v7
	v_cndmask_b32_e32 v3, v6, v8, vcc
	v_xor_b32_e32 v4, v4, v5
	v_xor_b32_e32 v3, v3, v5
	v_sub_co_u32_e32 v6, vcc, v4, v5
	v_subb_co_u32_e32 v7, vcc, v3, v5, vcc
.LBB11_5:                               ;   in Loop: Header=BB11_3 Depth=1
	s_andn2_saveexec_b64 s[0:1], s[42:43]
	s_cbranch_execz .LBB11_7
; %bb.6:                                ;   in Loop: Header=BB11_3 Depth=1
	v_cvt_f32_u32_e32 v3, s26
	s_sub_i32 s42, 0, s26
	v_mov_b32_e32 v7, v2
	v_rcp_iflag_f32_e32 v3, v3
	v_mul_f32_e32 v3, 0x4f7ffffe, v3
	v_cvt_u32_f32_e32 v3, v3
	v_mul_lo_u32 v4, s42, v3
	v_mul_hi_u32 v4, v3, v4
	v_add_u32_e32 v3, v3, v4
	v_mul_hi_u32 v3, v0, v3
	v_mul_lo_u32 v4, v3, s26
	v_add_u32_e32 v5, 1, v3
	v_sub_u32_e32 v4, v0, v4
	v_subrev_u32_e32 v6, s26, v4
	v_cmp_le_u32_e32 vcc, s26, v4
	v_cndmask_b32_e32 v4, v4, v6, vcc
	v_cndmask_b32_e32 v3, v3, v5, vcc
	v_add_u32_e32 v5, 1, v3
	v_cmp_le_u32_e32 vcc, s26, v4
	v_cndmask_b32_e32 v6, v3, v5, vcc
.LBB11_7:                               ;   in Loop: Header=BB11_3 Depth=1
	s_or_b64 exec, exec, s[0:1]
	v_or_b32_e32 v3, s13, v7
	v_cmp_ne_u64_e32 vcc, 0, v[2:3]
                                        ; implicit-def: $vgpr10_vgpr11
	s_and_saveexec_b64 s[0:1], vcc
	s_xor_b64 s[42:43], exec, s[0:1]
	s_cbranch_execz .LBB11_9
; %bb.8:                                ;   in Loop: Header=BB11_3 Depth=1
	s_ashr_i32 s44, s13, 31
	s_add_u32 s0, s12, s44
	s_mov_b32 s45, s44
	s_addc_u32 s1, s13, s44
	s_xor_b64 s[46:47], s[0:1], s[44:45]
	v_cvt_f32_u32_e32 v3, s46
	v_cvt_f32_u32_e32 v4, s47
	s_sub_u32 s45, 0, s46
	s_subb_u32 s48, 0, s47
	v_ashrrev_i32_e32 v5, 31, v7
	v_mac_f32_e32 v3, 0x4f800000, v4
	v_rcp_f32_e32 v3, v3
	v_mul_f32_e32 v3, 0x5f7ffffc, v3
	v_mul_f32_e32 v4, 0x2f800000, v3
	v_trunc_f32_e32 v4, v4
	v_mac_f32_e32 v3, 0xcf800000, v4
	v_cvt_u32_f32_e32 v4, v4
	v_cvt_u32_f32_e32 v3, v3
	v_readfirstlane_b32 s49, v4
	v_readfirstlane_b32 s0, v3
	s_mul_i32 s1, s45, s49
	s_mul_hi_u32 s51, s45, s0
	s_mul_i32 s50, s48, s0
	s_add_i32 s1, s51, s1
	s_add_i32 s1, s1, s50
	s_mul_i32 s52, s45, s0
	s_mul_i32 s51, s0, s1
	s_mul_hi_u32 s53, s0, s52
	s_mul_hi_u32 s50, s0, s1
	s_add_u32 s51, s53, s51
	s_addc_u32 s50, 0, s50
	s_mul_hi_u32 s54, s49, s52
	s_mul_i32 s52, s49, s52
	s_add_u32 s51, s51, s52
	s_mul_hi_u32 s53, s49, s1
	s_addc_u32 s50, s50, s54
	s_addc_u32 s51, s53, 0
	s_mul_i32 s1, s49, s1
	s_add_u32 s1, s50, s1
	s_addc_u32 s50, 0, s51
	s_add_u32 s51, s0, s1
	s_cselect_b64 s[0:1], -1, 0
	s_cmp_lg_u64 s[0:1], 0
	s_addc_u32 s49, s49, s50
	s_mul_i32 s0, s45, s49
	s_mul_hi_u32 s1, s45, s51
	s_add_i32 s0, s1, s0
	s_mul_i32 s48, s48, s51
	s_add_i32 s0, s0, s48
	s_mul_i32 s45, s45, s51
	s_mul_hi_u32 s48, s49, s45
	s_mul_i32 s50, s49, s45
	s_mul_i32 s53, s51, s0
	s_mul_hi_u32 s45, s51, s45
	s_mul_hi_u32 s52, s51, s0
	s_add_u32 s45, s45, s53
	s_addc_u32 s52, 0, s52
	s_add_u32 s45, s45, s50
	s_mul_hi_u32 s1, s49, s0
	s_addc_u32 s45, s52, s48
	s_addc_u32 s1, s1, 0
	s_mul_i32 s0, s49, s0
	s_add_u32 s0, s45, s0
	s_addc_u32 s45, 0, s1
	s_add_u32 s48, s51, s0
	s_cselect_b64 s[0:1], -1, 0
	s_cmp_lg_u64 s[0:1], 0
	v_add_co_u32_e32 v3, vcc, v6, v5
	s_addc_u32 s45, s49, s45
	v_xor_b32_e32 v10, v3, v5
	v_mad_u64_u32 v[3:4], s[0:1], v10, s45, 0
	v_mul_hi_u32 v9, v10, s48
	v_addc_co_u32_e32 v8, vcc, v7, v5, vcc
	v_xor_b32_e32 v11, v8, v5
	v_add_co_u32_e32 v12, vcc, v9, v3
	v_addc_co_u32_e32 v13, vcc, 0, v4, vcc
	v_mad_u64_u32 v[3:4], s[0:1], v11, s48, 0
	v_mad_u64_u32 v[8:9], s[0:1], v11, s45, 0
	v_add_co_u32_e32 v3, vcc, v12, v3
	v_addc_co_u32_e32 v3, vcc, v13, v4, vcc
	v_addc_co_u32_e32 v4, vcc, 0, v9, vcc
	v_add_co_u32_e32 v8, vcc, v3, v8
	v_addc_co_u32_e32 v9, vcc, 0, v4, vcc
	v_mul_lo_u32 v12, s47, v8
	v_mul_lo_u32 v13, s46, v9
	v_mad_u64_u32 v[3:4], s[0:1], s46, v8, 0
	v_xor_b32_e32 v5, s44, v5
	v_add3_u32 v4, v4, v13, v12
	v_sub_u32_e32 v12, v11, v4
	v_mov_b32_e32 v13, s47
	v_sub_co_u32_e32 v3, vcc, v10, v3
	v_subb_co_u32_e64 v10, s[0:1], v12, v13, vcc
	v_subrev_co_u32_e64 v12, s[0:1], s46, v3
	v_subbrev_co_u32_e64 v10, s[0:1], 0, v10, s[0:1]
	v_cmp_le_u32_e64 s[0:1], s47, v10
	v_cndmask_b32_e64 v13, 0, -1, s[0:1]
	v_cmp_le_u32_e64 s[0:1], s46, v12
	v_cndmask_b32_e64 v12, 0, -1, s[0:1]
	v_cmp_eq_u32_e64 s[0:1], s47, v10
	v_cndmask_b32_e64 v10, v13, v12, s[0:1]
	v_add_co_u32_e64 v12, s[0:1], 2, v8
	v_subb_co_u32_e32 v4, vcc, v11, v4, vcc
	v_addc_co_u32_e64 v13, s[0:1], 0, v9, s[0:1]
	v_cmp_le_u32_e32 vcc, s47, v4
	v_add_co_u32_e64 v14, s[0:1], 1, v8
	v_cndmask_b32_e64 v11, 0, -1, vcc
	v_cmp_le_u32_e32 vcc, s46, v3
	v_addc_co_u32_e64 v15, s[0:1], 0, v9, s[0:1]
	v_cndmask_b32_e64 v3, 0, -1, vcc
	v_cmp_eq_u32_e32 vcc, s47, v4
	v_cmp_ne_u32_e64 s[0:1], 0, v10
	v_cndmask_b32_e32 v3, v11, v3, vcc
	v_cmp_ne_u32_e32 vcc, 0, v3
	v_cndmask_b32_e64 v4, v14, v12, s[0:1]
	v_cndmask_b32_e64 v10, v15, v13, s[0:1]
	v_cndmask_b32_e32 v4, v8, v4, vcc
	v_cndmask_b32_e32 v3, v9, v10, vcc
	v_xor_b32_e32 v4, v4, v5
	v_xor_b32_e32 v3, v3, v5
	v_sub_co_u32_e32 v10, vcc, v4, v5
	v_subb_co_u32_e32 v11, vcc, v3, v5, vcc
.LBB11_9:                               ;   in Loop: Header=BB11_3 Depth=1
	s_andn2_saveexec_b64 s[0:1], s[42:43]
	s_cbranch_execz .LBB11_11
; %bb.10:                               ;   in Loop: Header=BB11_3 Depth=1
	v_cvt_f32_u32_e32 v3, s12
	s_sub_i32 s42, 0, s12
	v_mov_b32_e32 v11, v2
	v_rcp_iflag_f32_e32 v3, v3
	v_mul_f32_e32 v3, 0x4f7ffffe, v3
	v_cvt_u32_f32_e32 v3, v3
	v_mul_lo_u32 v4, s42, v3
	v_mul_hi_u32 v4, v3, v4
	v_add_u32_e32 v3, v3, v4
	v_mul_hi_u32 v3, v6, v3
	v_mul_lo_u32 v4, v3, s12
	v_add_u32_e32 v5, 1, v3
	v_sub_u32_e32 v4, v6, v4
	v_subrev_u32_e32 v8, s12, v4
	v_cmp_le_u32_e32 vcc, s12, v4
	v_cndmask_b32_e32 v4, v4, v8, vcc
	v_cndmask_b32_e32 v3, v3, v5, vcc
	v_add_u32_e32 v5, 1, v3
	v_cmp_le_u32_e32 vcc, s12, v4
	v_cndmask_b32_e32 v10, v3, v5, vcc
.LBB11_11:                              ;   in Loop: Header=BB11_3 Depth=1
	s_or_b64 exec, exec, s[0:1]
	v_mul_lo_u32 v5, v7, s26
	v_mul_lo_u32 v8, v6, s27
	v_mad_u64_u32 v[3:4], s[0:1], v6, s26, 0
	v_mul_lo_u32 v12, v11, s12
	v_mul_lo_u32 v13, v10, s13
	v_add3_u32 v5, v4, v8, v5
	v_mad_u64_u32 v[8:9], s[0:1], v10, s12, 0
	v_sub_co_u32_e32 v4, vcc, v0, v3
	v_subb_co_u32_e32 v5, vcc, v1, v5, vcc
	v_add3_u32 v3, v9, v13, v12
	v_mul_lo_u32 v9, s19, v4
	v_mul_lo_u32 v14, s18, v5
	v_mad_u64_u32 v[12:13], s[0:1], s18, v4, 0
	v_sub_co_u32_e32 v16, vcc, v6, v8
	v_subb_co_u32_e32 v17, vcc, v7, v3, vcc
	v_add3_u32 v13, v13, v14, v9
	v_mul_lo_u32 v3, s23, v4
	v_mul_lo_u32 v14, s22, v5
	v_mad_u64_u32 v[6:7], s[0:1], s22, v4, 0
	v_mad_u64_u32 v[8:9], s[0:1], s16, v16, v[12:13]
	v_mul_lo_u32 v12, s16, v17
	v_mul_lo_u32 v13, s17, v16
	v_add3_u32 v7, v7, v14, v3
	v_mad_u64_u32 v[6:7], s[0:1], s20, v16, v[6:7]
	v_add3_u32 v9, v13, v9, v12
	v_mul_lo_u32 v3, s20, v17
	v_mul_lo_u32 v12, s21, v16
	s_andn2_b64 vcc, exec, s[6:7]
	v_add3_u32 v7, v12, v7, v3
	s_cbranch_vccnz .LBB11_29
; %bb.12:                               ;   in Loop: Header=BB11_3 Depth=1
	s_andn2_b64 vcc, exec, s[30:31]
	s_cbranch_vccnz .LBB11_18
; %bb.13:                               ;   in Loop: Header=BB11_3 Depth=1
	s_load_dwordx2 s[42:43], s[34:35], 0x8
                                        ; implicit-def: $vgpr12_vgpr13
	s_waitcnt lgkmcnt(0)
	v_or_b32_e32 v3, s43, v11
	v_cmp_ne_u64_e32 vcc, 0, v[2:3]
	s_and_saveexec_b64 s[0:1], vcc
	s_xor_b64 s[44:45], exec, s[0:1]
	s_cbranch_execz .LBB11_15
; %bb.14:                               ;   in Loop: Header=BB11_3 Depth=1
	s_ashr_i32 s46, s43, 31
	s_add_u32 s0, s42, s46
	s_mov_b32 s47, s46
	s_addc_u32 s1, s43, s46
	s_xor_b64 s[48:49], s[0:1], s[46:47]
	v_cvt_f32_u32_e32 v3, s48
	v_cvt_f32_u32_e32 v12, s49
	s_sub_u32 s47, 0, s48
	s_subb_u32 s50, 0, s49
	v_mac_f32_e32 v3, 0x4f800000, v12
	v_rcp_f32_e32 v3, v3
	v_mul_f32_e32 v3, 0x5f7ffffc, v3
	v_mul_f32_e32 v12, 0x2f800000, v3
	v_trunc_f32_e32 v12, v12
	v_mac_f32_e32 v3, 0xcf800000, v12
	v_cvt_u32_f32_e32 v12, v12
	v_cvt_u32_f32_e32 v3, v3
	v_readfirstlane_b32 s51, v12
	v_readfirstlane_b32 s0, v3
	s_mul_i32 s1, s47, s51
	s_mul_hi_u32 s53, s47, s0
	s_mul_i32 s52, s50, s0
	s_add_i32 s1, s53, s1
	s_add_i32 s1, s1, s52
	s_mul_i32 s54, s47, s0
	s_mul_i32 s53, s0, s1
	s_mul_hi_u32 s55, s0, s54
	s_mul_hi_u32 s52, s0, s1
	s_add_u32 s53, s55, s53
	s_addc_u32 s52, 0, s52
	s_mul_hi_u32 s56, s51, s54
	s_mul_i32 s54, s51, s54
	s_add_u32 s53, s53, s54
	s_mul_hi_u32 s55, s51, s1
	s_addc_u32 s52, s52, s56
	s_addc_u32 s53, s55, 0
	s_mul_i32 s1, s51, s1
	s_add_u32 s1, s52, s1
	s_addc_u32 s52, 0, s53
	s_add_u32 s53, s0, s1
	s_cselect_b64 s[0:1], -1, 0
	s_cmp_lg_u64 s[0:1], 0
	s_addc_u32 s51, s51, s52
	s_mul_i32 s0, s47, s51
	s_mul_hi_u32 s1, s47, s53
	s_add_i32 s0, s1, s0
	s_mul_i32 s50, s50, s53
	s_add_i32 s0, s0, s50
	s_mul_i32 s47, s47, s53
	s_mul_hi_u32 s50, s51, s47
	s_mul_i32 s52, s51, s47
	s_mul_i32 s55, s53, s0
	s_mul_hi_u32 s47, s53, s47
	s_mul_hi_u32 s54, s53, s0
	s_add_u32 s47, s47, s55
	s_addc_u32 s54, 0, s54
	s_add_u32 s47, s47, s52
	s_mul_hi_u32 s1, s51, s0
	s_addc_u32 s47, s54, s50
	s_addc_u32 s1, s1, 0
	s_mul_i32 s0, s51, s0
	s_add_u32 s0, s47, s0
	s_addc_u32 s47, 0, s1
	s_add_u32 s50, s53, s0
	s_cselect_b64 s[0:1], -1, 0
	v_ashrrev_i32_e32 v3, 31, v11
	s_cmp_lg_u64 s[0:1], 0
	v_add_co_u32_e32 v12, vcc, v10, v3
	s_addc_u32 s47, s51, s47
	v_xor_b32_e32 v18, v12, v3
	v_mad_u64_u32 v[12:13], s[0:1], v18, s47, 0
	v_mul_hi_u32 v15, v18, s50
	v_addc_co_u32_e32 v14, vcc, v11, v3, vcc
	v_xor_b32_e32 v19, v14, v3
	v_add_co_u32_e32 v20, vcc, v15, v12
	v_addc_co_u32_e32 v21, vcc, 0, v13, vcc
	v_mad_u64_u32 v[12:13], s[0:1], v19, s50, 0
	v_mad_u64_u32 v[14:15], s[0:1], v19, s47, 0
	v_add_co_u32_e32 v12, vcc, v20, v12
	v_addc_co_u32_e32 v12, vcc, v21, v13, vcc
	v_addc_co_u32_e32 v13, vcc, 0, v15, vcc
	v_add_co_u32_e32 v14, vcc, v12, v14
	v_addc_co_u32_e32 v15, vcc, 0, v13, vcc
	v_mul_lo_u32 v20, s49, v14
	v_mul_lo_u32 v21, s48, v15
	v_mad_u64_u32 v[12:13], s[0:1], s48, v14, 0
	v_xor_b32_e32 v3, s46, v3
	v_add3_u32 v13, v13, v21, v20
	v_sub_u32_e32 v20, v19, v13
	v_mov_b32_e32 v21, s49
	v_sub_co_u32_e32 v12, vcc, v18, v12
	v_subb_co_u32_e64 v18, s[0:1], v20, v21, vcc
	v_subrev_co_u32_e64 v20, s[0:1], s48, v12
	v_subbrev_co_u32_e64 v18, s[0:1], 0, v18, s[0:1]
	v_cmp_le_u32_e64 s[0:1], s49, v18
	v_cndmask_b32_e64 v21, 0, -1, s[0:1]
	v_cmp_le_u32_e64 s[0:1], s48, v20
	v_cndmask_b32_e64 v20, 0, -1, s[0:1]
	v_cmp_eq_u32_e64 s[0:1], s49, v18
	v_cndmask_b32_e64 v18, v21, v20, s[0:1]
	v_add_co_u32_e64 v20, s[0:1], 2, v14
	v_subb_co_u32_e32 v13, vcc, v19, v13, vcc
	v_addc_co_u32_e64 v21, s[0:1], 0, v15, s[0:1]
	v_cmp_le_u32_e32 vcc, s49, v13
	v_add_co_u32_e64 v22, s[0:1], 1, v14
	v_cndmask_b32_e64 v19, 0, -1, vcc
	v_cmp_le_u32_e32 vcc, s48, v12
	v_addc_co_u32_e64 v23, s[0:1], 0, v15, s[0:1]
	v_cndmask_b32_e64 v12, 0, -1, vcc
	v_cmp_eq_u32_e32 vcc, s49, v13
	v_cmp_ne_u32_e64 s[0:1], 0, v18
	v_cndmask_b32_e32 v12, v19, v12, vcc
	v_cndmask_b32_e64 v18, v23, v21, s[0:1]
	v_cmp_ne_u32_e32 vcc, 0, v12
	v_cndmask_b32_e64 v13, v22, v20, s[0:1]
	v_cndmask_b32_e32 v12, v15, v18, vcc
	v_cndmask_b32_e32 v13, v14, v13, vcc
	v_xor_b32_e32 v14, v12, v3
	v_xor_b32_e32 v12, v13, v3
	v_sub_co_u32_e32 v12, vcc, v12, v3
	v_subb_co_u32_e32 v13, vcc, v14, v3, vcc
.LBB11_15:                              ;   in Loop: Header=BB11_3 Depth=1
	s_andn2_saveexec_b64 s[0:1], s[44:45]
	s_cbranch_execz .LBB11_17
; %bb.16:                               ;   in Loop: Header=BB11_3 Depth=1
	v_cvt_f32_u32_e32 v3, s42
	s_sub_i32 s44, 0, s42
	v_rcp_iflag_f32_e32 v3, v3
	v_mul_f32_e32 v3, 0x4f7ffffe, v3
	v_cvt_u32_f32_e32 v3, v3
	v_mul_lo_u32 v12, s44, v3
	v_mul_hi_u32 v12, v3, v12
	v_add_u32_e32 v3, v3, v12
	v_mul_hi_u32 v3, v10, v3
	v_mul_lo_u32 v12, v3, s42
	v_add_u32_e32 v13, 1, v3
	v_sub_u32_e32 v12, v10, v12
	v_subrev_u32_e32 v14, s42, v12
	v_cmp_le_u32_e32 vcc, s42, v12
	v_cndmask_b32_e32 v12, v12, v14, vcc
	v_cndmask_b32_e32 v3, v3, v13, vcc
	v_add_u32_e32 v13, 1, v3
	v_cmp_le_u32_e32 vcc, s42, v12
	v_cndmask_b32_e32 v12, v3, v13, vcc
	v_mov_b32_e32 v13, v2
.LBB11_17:                              ;   in Loop: Header=BB11_3 Depth=1
	s_or_b64 exec, exec, s[0:1]
	v_mul_lo_u32 v3, v13, s42
	v_mul_lo_u32 v18, v12, s43
	v_mad_u64_u32 v[14:15], s[0:1], v12, s42, 0
	s_load_dwordx2 s[0:1], s[34:35], 0xd0
	s_load_dwordx2 s[42:43], s[36:37], 0xd0
	v_add3_u32 v3, v15, v18, v3
	v_sub_co_u32_e32 v10, vcc, v10, v14
	v_subb_co_u32_e32 v3, vcc, v11, v3, vcc
	s_waitcnt lgkmcnt(0)
	v_mul_lo_u32 v11, s0, v3
	v_mul_lo_u32 v14, s1, v10
	v_mad_u64_u32 v[8:9], s[0:1], s0, v10, v[8:9]
	v_mul_lo_u32 v3, s42, v3
	v_mul_lo_u32 v15, s43, v10
	v_mad_u64_u32 v[6:7], s[0:1], s42, v10, v[6:7]
	v_add3_u32 v9, v14, v9, v11
	v_mov_b32_e32 v10, v12
	v_add3_u32 v7, v15, v7, v3
	v_mov_b32_e32 v11, v13
	s_mov_b64 s[0:1], s[38:39]
	s_andn2_b64 vcc, exec, s[40:41]
	s_cbranch_vccz .LBB11_19
	s_branch .LBB11_29
.LBB11_18:                              ;   in Loop: Header=BB11_3 Depth=1
	s_mov_b64 s[0:1], s[24:25]
	s_andn2_b64 vcc, exec, s[40:41]
	s_cbranch_vccnz .LBB11_29
.LBB11_19:                              ;   in Loop: Header=BB11_3 Depth=1
	s_lshl_b64 s[44:45], s[0:1], 3
	s_add_u32 s42, s64, s44
	s_addc_u32 s43, s65, s45
	s_add_u32 s44, s33, s44
	s_addc_u32 s45, s62, s45
	;; [unrolled: 2-line block ×3, first 2 shown]
	s_branch .LBB11_21
.LBB11_20:                              ;   in Loop: Header=BB11_21 Depth=2
	s_or_b64 exec, exec, s[0:1]
	v_mul_lo_u32 v3, v13, s48
	v_mul_lo_u32 v20, v12, s49
	v_mad_u64_u32 v[18:19], s[0:1], v12, s48, 0
	v_mul_lo_u32 v21, v15, s50
	v_mul_lo_u32 v22, v14, s51
	v_add3_u32 v3, v19, v20, v3
	v_sub_co_u32_e32 v10, vcc, v10, v18
	v_subb_co_u32_e32 v3, vcc, v11, v3, vcc
	v_mul_lo_u32 v18, s54, v3
	v_mul_lo_u32 v19, s55, v10
	v_mad_u64_u32 v[8:9], s[0:1], s54, v10, v[8:9]
	v_mul_lo_u32 v3, s52, v3
	v_mul_lo_u32 v20, s53, v10
	v_mad_u64_u32 v[6:7], s[0:1], s52, v10, v[6:7]
	v_mad_u64_u32 v[10:11], s[0:1], v14, s50, 0
	s_load_dwordx2 s[0:1], s[44:45], 0xc8
	s_load_dwordx2 s[48:49], s[42:43], 0x0
	v_add3_u32 v7, v20, v7, v3
	v_add3_u32 v3, v11, v22, v21
	v_sub_co_u32_e32 v10, vcc, v12, v10
	v_add3_u32 v9, v19, v9, v18
	v_subb_co_u32_e32 v3, vcc, v13, v3, vcc
	s_add_u32 s42, s42, -16
	s_waitcnt lgkmcnt(0)
	v_mad_u64_u32 v[8:9], s[50:51], s0, v10, v[8:9]
	v_mul_lo_u32 v11, s0, v3
	v_mul_lo_u32 v12, s1, v10
	v_mad_u64_u32 v[6:7], s[0:1], s48, v10, v[6:7]
	v_mul_lo_u32 v3, s48, v3
	v_mul_lo_u32 v10, s49, v10
	s_addc_u32 s43, s43, -1
	s_add_u32 s44, s44, -16
	s_addc_u32 s45, s45, -1
	s_add_u32 s46, s46, -2
	v_add3_u32 v9, v12, v9, v11
	v_add3_u32 v7, v10, v7, v3
	s_addc_u32 s47, s47, -1
	v_mov_b32_e32 v10, v14
	s_cmp_eq_u64 s[46:47], 0
	v_mov_b32_e32 v11, v15
	s_cbranch_scc1 .LBB11_29
.LBB11_21:                              ;   Parent Loop BB11_3 Depth=1
                                        ; =>  This Inner Loop Header: Depth=2
	s_load_dwordx2 s[48:49], s[44:45], 0x8
                                        ; implicit-def: $vgpr12_vgpr13
	s_waitcnt lgkmcnt(0)
	v_or_b32_e32 v3, s49, v11
	v_cmp_ne_u64_e32 vcc, 0, v[2:3]
	s_and_saveexec_b64 s[0:1], vcc
	s_xor_b64 s[50:51], exec, s[0:1]
	s_cbranch_execz .LBB11_23
; %bb.22:                               ;   in Loop: Header=BB11_21 Depth=2
	s_ashr_i32 s52, s49, 31
	s_add_u32 s0, s48, s52
	s_mov_b32 s53, s52
	s_addc_u32 s1, s49, s52
	s_xor_b64 s[54:55], s[0:1], s[52:53]
	v_cvt_f32_u32_e32 v3, s54
	v_cvt_f32_u32_e32 v12, s55
	s_sub_u32 s53, 0, s54
	s_subb_u32 s56, 0, s55
	v_mac_f32_e32 v3, 0x4f800000, v12
	v_rcp_f32_e32 v3, v3
	v_mul_f32_e32 v3, 0x5f7ffffc, v3
	v_mul_f32_e32 v12, 0x2f800000, v3
	v_trunc_f32_e32 v12, v12
	v_mac_f32_e32 v3, 0xcf800000, v12
	v_cvt_u32_f32_e32 v12, v12
	v_cvt_u32_f32_e32 v3, v3
	v_readfirstlane_b32 s57, v12
	v_readfirstlane_b32 s0, v3
	s_mul_i32 s1, s53, s57
	s_mul_hi_u32 s59, s53, s0
	s_mul_i32 s58, s56, s0
	s_add_i32 s1, s59, s1
	s_add_i32 s1, s1, s58
	s_mul_i32 s60, s53, s0
	s_mul_i32 s59, s0, s1
	s_mul_hi_u32 s61, s0, s60
	s_mul_hi_u32 s58, s0, s1
	s_add_u32 s59, s61, s59
	s_addc_u32 s58, 0, s58
	s_mul_hi_u32 s66, s57, s60
	s_mul_i32 s60, s57, s60
	s_add_u32 s59, s59, s60
	s_mul_hi_u32 s61, s57, s1
	s_addc_u32 s58, s58, s66
	s_addc_u32 s59, s61, 0
	s_mul_i32 s1, s57, s1
	s_add_u32 s1, s58, s1
	s_addc_u32 s58, 0, s59
	s_add_u32 s59, s0, s1
	s_cselect_b64 s[0:1], -1, 0
	s_cmp_lg_u64 s[0:1], 0
	s_addc_u32 s57, s57, s58
	s_mul_i32 s0, s53, s57
	s_mul_hi_u32 s1, s53, s59
	s_add_i32 s0, s1, s0
	s_mul_i32 s56, s56, s59
	s_add_i32 s0, s0, s56
	s_mul_i32 s53, s53, s59
	s_mul_hi_u32 s56, s57, s53
	s_mul_i32 s58, s57, s53
	s_mul_i32 s61, s59, s0
	s_mul_hi_u32 s53, s59, s53
	s_mul_hi_u32 s60, s59, s0
	s_add_u32 s53, s53, s61
	s_addc_u32 s60, 0, s60
	s_add_u32 s53, s53, s58
	s_mul_hi_u32 s1, s57, s0
	s_addc_u32 s53, s60, s56
	s_addc_u32 s1, s1, 0
	s_mul_i32 s0, s57, s0
	s_add_u32 s0, s53, s0
	s_addc_u32 s53, 0, s1
	s_add_u32 s56, s59, s0
	s_cselect_b64 s[0:1], -1, 0
	v_ashrrev_i32_e32 v3, 31, v11
	s_cmp_lg_u64 s[0:1], 0
	v_add_co_u32_e32 v12, vcc, v10, v3
	s_addc_u32 s53, s57, s53
	v_xor_b32_e32 v18, v12, v3
	v_mad_u64_u32 v[12:13], s[0:1], v18, s53, 0
	v_mul_hi_u32 v15, v18, s56
	v_addc_co_u32_e32 v14, vcc, v11, v3, vcc
	v_xor_b32_e32 v19, v14, v3
	v_add_co_u32_e32 v20, vcc, v15, v12
	v_addc_co_u32_e32 v21, vcc, 0, v13, vcc
	v_mad_u64_u32 v[12:13], s[0:1], v19, s56, 0
	v_mad_u64_u32 v[14:15], s[0:1], v19, s53, 0
	v_add_co_u32_e32 v12, vcc, v20, v12
	v_addc_co_u32_e32 v12, vcc, v21, v13, vcc
	v_addc_co_u32_e32 v13, vcc, 0, v15, vcc
	v_add_co_u32_e32 v14, vcc, v12, v14
	v_addc_co_u32_e32 v15, vcc, 0, v13, vcc
	v_mul_lo_u32 v20, s55, v14
	v_mul_lo_u32 v21, s54, v15
	v_mad_u64_u32 v[12:13], s[0:1], s54, v14, 0
	v_xor_b32_e32 v3, s52, v3
	v_add3_u32 v13, v13, v21, v20
	v_sub_u32_e32 v20, v19, v13
	v_mov_b32_e32 v21, s55
	v_sub_co_u32_e32 v12, vcc, v18, v12
	v_subb_co_u32_e64 v18, s[0:1], v20, v21, vcc
	v_subrev_co_u32_e64 v20, s[0:1], s54, v12
	v_subbrev_co_u32_e64 v18, s[0:1], 0, v18, s[0:1]
	v_cmp_le_u32_e64 s[0:1], s55, v18
	v_cndmask_b32_e64 v21, 0, -1, s[0:1]
	v_cmp_le_u32_e64 s[0:1], s54, v20
	v_cndmask_b32_e64 v20, 0, -1, s[0:1]
	v_cmp_eq_u32_e64 s[0:1], s55, v18
	v_cndmask_b32_e64 v18, v21, v20, s[0:1]
	v_add_co_u32_e64 v20, s[0:1], 2, v14
	v_subb_co_u32_e32 v13, vcc, v19, v13, vcc
	v_addc_co_u32_e64 v21, s[0:1], 0, v15, s[0:1]
	v_cmp_le_u32_e32 vcc, s55, v13
	v_add_co_u32_e64 v22, s[0:1], 1, v14
	v_cndmask_b32_e64 v19, 0, -1, vcc
	v_cmp_le_u32_e32 vcc, s54, v12
	v_addc_co_u32_e64 v23, s[0:1], 0, v15, s[0:1]
	v_cndmask_b32_e64 v12, 0, -1, vcc
	v_cmp_eq_u32_e32 vcc, s55, v13
	v_cmp_ne_u32_e64 s[0:1], 0, v18
	v_cndmask_b32_e32 v12, v19, v12, vcc
	v_cndmask_b32_e64 v18, v23, v21, s[0:1]
	v_cmp_ne_u32_e32 vcc, 0, v12
	v_cndmask_b32_e64 v13, v22, v20, s[0:1]
	v_cndmask_b32_e32 v12, v15, v18, vcc
	v_cndmask_b32_e32 v13, v14, v13, vcc
	v_xor_b32_e32 v14, v12, v3
	v_xor_b32_e32 v12, v13, v3
	v_sub_co_u32_e32 v12, vcc, v12, v3
	v_subb_co_u32_e32 v13, vcc, v14, v3, vcc
.LBB11_23:                              ;   in Loop: Header=BB11_21 Depth=2
	s_andn2_saveexec_b64 s[0:1], s[50:51]
	s_cbranch_execz .LBB11_25
; %bb.24:                               ;   in Loop: Header=BB11_21 Depth=2
	v_cvt_f32_u32_e32 v3, s48
	s_sub_i32 s50, 0, s48
	v_rcp_iflag_f32_e32 v3, v3
	v_mul_f32_e32 v3, 0x4f7ffffe, v3
	v_cvt_u32_f32_e32 v3, v3
	v_mul_lo_u32 v12, s50, v3
	v_mul_hi_u32 v12, v3, v12
	v_add_u32_e32 v3, v3, v12
	v_mul_hi_u32 v3, v10, v3
	v_mul_lo_u32 v12, v3, s48
	v_add_u32_e32 v13, 1, v3
	v_sub_u32_e32 v12, v10, v12
	v_subrev_u32_e32 v14, s48, v12
	v_cmp_le_u32_e32 vcc, s48, v12
	v_cndmask_b32_e32 v12, v12, v14, vcc
	v_cndmask_b32_e32 v3, v3, v13, vcc
	v_add_u32_e32 v13, 1, v3
	v_cmp_le_u32_e32 vcc, s48, v12
	v_cndmask_b32_e32 v12, v3, v13, vcc
	v_mov_b32_e32 v13, v2
.LBB11_25:                              ;   in Loop: Header=BB11_21 Depth=2
	s_or_b64 exec, exec, s[0:1]
	s_load_dwordx2 s[50:51], s[44:45], 0x0
	s_load_dwordx2 s[54:55], s[44:45], 0xd0
	;; [unrolled: 1-line block ×3, first 2 shown]
                                        ; implicit-def: $vgpr14_vgpr15
	s_waitcnt lgkmcnt(0)
	v_or_b32_e32 v3, s51, v13
	v_cmp_ne_u64_e32 vcc, 0, v[2:3]
	s_and_saveexec_b64 s[0:1], vcc
	s_xor_b64 s[56:57], exec, s[0:1]
	s_cbranch_execz .LBB11_27
; %bb.26:                               ;   in Loop: Header=BB11_21 Depth=2
	s_ashr_i32 s58, s51, 31
	s_add_u32 s0, s50, s58
	s_mov_b32 s59, s58
	s_addc_u32 s1, s51, s58
	s_xor_b64 s[60:61], s[0:1], s[58:59]
	v_cvt_f32_u32_e32 v3, s60
	v_cvt_f32_u32_e32 v14, s61
	s_sub_u32 s59, 0, s60
	s_subb_u32 s66, 0, s61
	v_mac_f32_e32 v3, 0x4f800000, v14
	v_rcp_f32_e32 v3, v3
	v_mul_f32_e32 v3, 0x5f7ffffc, v3
	v_mul_f32_e32 v14, 0x2f800000, v3
	v_trunc_f32_e32 v14, v14
	v_mac_f32_e32 v3, 0xcf800000, v14
	v_cvt_u32_f32_e32 v14, v14
	v_cvt_u32_f32_e32 v3, v3
	v_readfirstlane_b32 s67, v14
	v_readfirstlane_b32 s0, v3
	s_mul_i32 s1, s59, s67
	s_mul_hi_u32 s69, s59, s0
	s_mul_i32 s68, s66, s0
	s_add_i32 s1, s69, s1
	s_add_i32 s1, s1, s68
	s_mul_i32 s70, s59, s0
	s_mul_i32 s69, s0, s1
	s_mul_hi_u32 s71, s0, s70
	s_mul_hi_u32 s68, s0, s1
	s_add_u32 s69, s71, s69
	s_addc_u32 s68, 0, s68
	s_mul_hi_u32 s72, s67, s70
	s_mul_i32 s70, s67, s70
	s_add_u32 s69, s69, s70
	s_mul_hi_u32 s71, s67, s1
	s_addc_u32 s68, s68, s72
	s_addc_u32 s69, s71, 0
	s_mul_i32 s1, s67, s1
	s_add_u32 s1, s68, s1
	s_addc_u32 s68, 0, s69
	s_add_u32 s69, s0, s1
	s_cselect_b64 s[0:1], -1, 0
	s_cmp_lg_u64 s[0:1], 0
	s_addc_u32 s67, s67, s68
	s_mul_i32 s0, s59, s67
	s_mul_hi_u32 s1, s59, s69
	s_add_i32 s0, s1, s0
	s_mul_i32 s66, s66, s69
	s_add_i32 s0, s0, s66
	s_mul_i32 s59, s59, s69
	s_mul_hi_u32 s66, s67, s59
	s_mul_i32 s68, s67, s59
	s_mul_i32 s71, s69, s0
	s_mul_hi_u32 s59, s69, s59
	s_mul_hi_u32 s70, s69, s0
	s_add_u32 s59, s59, s71
	s_addc_u32 s70, 0, s70
	s_add_u32 s59, s59, s68
	s_mul_hi_u32 s1, s67, s0
	s_addc_u32 s59, s70, s66
	s_addc_u32 s1, s1, 0
	s_mul_i32 s0, s67, s0
	s_add_u32 s0, s59, s0
	s_addc_u32 s59, 0, s1
	s_add_u32 s66, s69, s0
	s_cselect_b64 s[0:1], -1, 0
	v_ashrrev_i32_e32 v3, 31, v13
	s_cmp_lg_u64 s[0:1], 0
	v_add_co_u32_e32 v14, vcc, v12, v3
	s_addc_u32 s59, s67, s59
	v_xor_b32_e32 v20, v14, v3
	v_mad_u64_u32 v[14:15], s[0:1], v20, s59, 0
	v_mul_hi_u32 v19, v20, s66
	v_addc_co_u32_e32 v18, vcc, v13, v3, vcc
	v_xor_b32_e32 v21, v18, v3
	v_add_co_u32_e32 v22, vcc, v19, v14
	v_addc_co_u32_e32 v23, vcc, 0, v15, vcc
	v_mad_u64_u32 v[14:15], s[0:1], v21, s66, 0
	v_mad_u64_u32 v[18:19], s[0:1], v21, s59, 0
	v_add_co_u32_e32 v14, vcc, v22, v14
	v_addc_co_u32_e32 v14, vcc, v23, v15, vcc
	v_addc_co_u32_e32 v15, vcc, 0, v19, vcc
	v_add_co_u32_e32 v18, vcc, v14, v18
	v_addc_co_u32_e32 v19, vcc, 0, v15, vcc
	v_mul_lo_u32 v22, s61, v18
	v_mul_lo_u32 v23, s60, v19
	v_mad_u64_u32 v[14:15], s[0:1], s60, v18, 0
	v_xor_b32_e32 v3, s58, v3
	v_add3_u32 v15, v15, v23, v22
	v_sub_u32_e32 v22, v21, v15
	v_mov_b32_e32 v23, s61
	v_sub_co_u32_e32 v14, vcc, v20, v14
	v_subb_co_u32_e64 v20, s[0:1], v22, v23, vcc
	v_subrev_co_u32_e64 v22, s[0:1], s60, v14
	v_subbrev_co_u32_e64 v20, s[0:1], 0, v20, s[0:1]
	v_cmp_le_u32_e64 s[0:1], s61, v20
	v_cndmask_b32_e64 v23, 0, -1, s[0:1]
	v_cmp_le_u32_e64 s[0:1], s60, v22
	v_cndmask_b32_e64 v22, 0, -1, s[0:1]
	v_cmp_eq_u32_e64 s[0:1], s61, v20
	v_cndmask_b32_e64 v20, v23, v22, s[0:1]
	v_add_co_u32_e64 v22, s[0:1], 2, v18
	v_subb_co_u32_e32 v15, vcc, v21, v15, vcc
	v_addc_co_u32_e64 v23, s[0:1], 0, v19, s[0:1]
	v_cmp_le_u32_e32 vcc, s61, v15
	v_add_co_u32_e64 v24, s[0:1], 1, v18
	v_cndmask_b32_e64 v21, 0, -1, vcc
	v_cmp_le_u32_e32 vcc, s60, v14
	v_addc_co_u32_e64 v25, s[0:1], 0, v19, s[0:1]
	v_cndmask_b32_e64 v14, 0, -1, vcc
	v_cmp_eq_u32_e32 vcc, s61, v15
	v_cmp_ne_u32_e64 s[0:1], 0, v20
	v_cndmask_b32_e32 v14, v21, v14, vcc
	v_cndmask_b32_e64 v20, v25, v23, s[0:1]
	v_cmp_ne_u32_e32 vcc, 0, v14
	v_cndmask_b32_e64 v15, v24, v22, s[0:1]
	v_cndmask_b32_e32 v14, v19, v20, vcc
	v_cndmask_b32_e32 v15, v18, v15, vcc
	v_xor_b32_e32 v18, v14, v3
	v_xor_b32_e32 v14, v15, v3
	v_sub_co_u32_e32 v14, vcc, v14, v3
	v_subb_co_u32_e32 v15, vcc, v18, v3, vcc
.LBB11_27:                              ;   in Loop: Header=BB11_21 Depth=2
	s_andn2_saveexec_b64 s[0:1], s[56:57]
	s_cbranch_execz .LBB11_20
; %bb.28:                               ;   in Loop: Header=BB11_21 Depth=2
	v_cvt_f32_u32_e32 v3, s50
	s_sub_i32 s56, 0, s50
	v_rcp_iflag_f32_e32 v3, v3
	v_mul_f32_e32 v3, 0x4f7ffffe, v3
	v_cvt_u32_f32_e32 v3, v3
	v_mul_lo_u32 v14, s56, v3
	v_mul_hi_u32 v14, v3, v14
	v_add_u32_e32 v3, v3, v14
	v_mul_hi_u32 v3, v12, v3
	v_mul_lo_u32 v14, v3, s50
	v_add_u32_e32 v15, 1, v3
	v_sub_u32_e32 v14, v12, v14
	v_subrev_u32_e32 v18, s50, v14
	v_cmp_le_u32_e32 vcc, s50, v14
	v_cndmask_b32_e32 v14, v14, v18, vcc
	v_cndmask_b32_e32 v3, v3, v15, vcc
	v_add_u32_e32 v15, 1, v3
	v_cmp_le_u32_e32 vcc, s50, v14
	v_cndmask_b32_e32 v14, v3, v15, vcc
	v_mov_b32_e32 v15, v2
	s_branch .LBB11_20
.LBB11_29:                              ;   in Loop: Header=BB11_3 Depth=1
	v_sub_co_u32_e32 v10, vcc, v4, v16
	v_subb_co_u32_e32 v11, vcc, v5, v17, vcc
	v_cmp_ge_i64_e32 vcc, s[8:9], v[10:11]
	v_mov_b32_e32 v12, 0
	v_mov_b32_e32 v3, 0
	s_and_saveexec_b64 s[0:1], vcc
	s_cbranch_execz .LBB11_35
; %bb.30:                               ;   in Loop: Header=BB11_3 Depth=1
	v_cmp_gt_i64_e32 vcc, s[14:15], v[4:5]
	v_mov_b32_e32 v3, 0
	v_mov_b32_e32 v12, 0
	s_and_saveexec_b64 s[42:43], vcc
	s_cbranch_execz .LBB11_34
; %bb.31:                               ;   in Loop: Header=BB11_3 Depth=1
	v_lshlrev_b64 v[8:9], 2, v[8:9]
	v_mov_b32_e32 v3, s3
	v_add_co_u32_e32 v8, vcc, s2, v8
	v_addc_co_u32_e32 v9, vcc, v3, v9, vcc
	global_load_dword v3, v[8:9], off
	v_add_co_u32_e32 v12, vcc, 1, v4
	v_addc_co_u32_e32 v13, vcc, 0, v5, vcc
	v_cmp_gt_i64_e32 vcc, s[14:15], v[12:13]
	v_mov_b32_e32 v12, 0
	s_and_saveexec_b64 s[44:45], vcc
	s_xor_b64 s[44:45], exec, s[44:45]
	s_cbranch_execz .LBB11_33
; %bb.32:                               ;   in Loop: Header=BB11_3 Depth=1
	s_lshl_b64 s[46:47], s[18:19], 2
	v_mov_b32_e32 v12, s47
	v_add_co_u32_e32 v8, vcc, s46, v8
	v_addc_co_u32_e32 v9, vcc, v9, v12, vcc
	global_load_dword v12, v[8:9], off
.LBB11_33:                              ;   in Loop: Header=BB11_3 Depth=1
	s_or_b64 exec, exec, s[44:45]
.LBB11_34:                              ;   in Loop: Header=BB11_3 Depth=1
	s_or_b64 exec, exec, s[42:43]
	v_add_co_u32_e32 v8, vcc, 1, v10
	v_addc_co_u32_e32 v9, vcc, 0, v11, vcc
	v_cmp_ge_i64_e32 vcc, s[8:9], v[8:9]
	s_waitcnt vmcnt(0)
	v_cndmask_b32_e32 v12, 0, v12, vcc
.LBB11_35:                              ;   in Loop: Header=BB11_3 Depth=1
	s_or_b64 exec, exec, s[0:1]
	v_cmp_gt_i64_e32 vcc, s[14:15], v[4:5]
	s_and_saveexec_b64 s[0:1], vcc
	s_cbranch_execz .LBB11_2
; %bb.36:                               ;   in Loop: Header=BB11_3 Depth=1
	v_lshlrev_b64 v[6:7], 2, v[6:7]
	v_mov_b32_e32 v8, s29
	v_add_co_u32_e32 v6, vcc, s28, v6
	v_addc_co_u32_e32 v7, vcc, v8, v7, vcc
	v_add_co_u32_e32 v4, vcc, 1, v4
	v_addc_co_u32_e32 v5, vcc, 0, v5, vcc
	v_cmp_gt_i64_e32 vcc, s[14:15], v[4:5]
	global_store_dword v[6:7], v3, off
	s_and_saveexec_b64 s[42:43], vcc
	s_xor_b64 s[42:43], exec, s[42:43]
	s_cbranch_execz .LBB11_2
; %bb.37:                               ;   in Loop: Header=BB11_3 Depth=1
	s_lshl_b64 s[42:43], s[22:23], 2
	v_mov_b32_e32 v4, s43
	v_add_co_u32_e32 v3, vcc, s42, v6
	v_addc_co_u32_e32 v4, vcc, v7, v4, vcc
	global_store_dword v[3:4], v12, off
	s_branch .LBB11_2
.LBB11_38:
	s_endpgm
	.section	.rodata,"a",@progbits
	.p2align	6, 0x0
	.amdhsa_kernel _ZN2at6native16triu_tril_kernelIilLb0ELi2ELb0EEEvNS_4cuda6detail10TensorInfoIT_T0_EENS4_IKS5_S6_EEllS6_
		.amdhsa_group_segment_fixed_size 0
		.amdhsa_private_segment_fixed_size 0
		.amdhsa_kernarg_size 1112
		.amdhsa_user_sgpr_count 6
		.amdhsa_user_sgpr_private_segment_buffer 1
		.amdhsa_user_sgpr_dispatch_ptr 0
		.amdhsa_user_sgpr_queue_ptr 0
		.amdhsa_user_sgpr_kernarg_segment_ptr 1
		.amdhsa_user_sgpr_dispatch_id 0
		.amdhsa_user_sgpr_flat_scratch_init 0
		.amdhsa_user_sgpr_private_segment_size 0
		.amdhsa_uses_dynamic_stack 0
		.amdhsa_system_sgpr_private_segment_wavefront_offset 0
		.amdhsa_system_sgpr_workgroup_id_x 1
		.amdhsa_system_sgpr_workgroup_id_y 0
		.amdhsa_system_sgpr_workgroup_id_z 0
		.amdhsa_system_sgpr_workgroup_info 0
		.amdhsa_system_vgpr_workitem_id 0
		.amdhsa_next_free_vgpr 26
		.amdhsa_next_free_sgpr 73
		.amdhsa_reserve_vcc 1
		.amdhsa_reserve_flat_scratch 0
		.amdhsa_float_round_mode_32 0
		.amdhsa_float_round_mode_16_64 0
		.amdhsa_float_denorm_mode_32 3
		.amdhsa_float_denorm_mode_16_64 3
		.amdhsa_dx10_clamp 1
		.amdhsa_ieee_mode 1
		.amdhsa_fp16_overflow 0
		.amdhsa_exception_fp_ieee_invalid_op 0
		.amdhsa_exception_fp_denorm_src 0
		.amdhsa_exception_fp_ieee_div_zero 0
		.amdhsa_exception_fp_ieee_overflow 0
		.amdhsa_exception_fp_ieee_underflow 0
		.amdhsa_exception_fp_ieee_inexact 0
		.amdhsa_exception_int_div_zero 0
	.end_amdhsa_kernel
	.section	.text._ZN2at6native16triu_tril_kernelIilLb0ELi2ELb0EEEvNS_4cuda6detail10TensorInfoIT_T0_EENS4_IKS5_S6_EEllS6_,"axG",@progbits,_ZN2at6native16triu_tril_kernelIilLb0ELi2ELb0EEEvNS_4cuda6detail10TensorInfoIT_T0_EENS4_IKS5_S6_EEllS6_,comdat
.Lfunc_end11:
	.size	_ZN2at6native16triu_tril_kernelIilLb0ELi2ELb0EEEvNS_4cuda6detail10TensorInfoIT_T0_EENS4_IKS5_S6_EEllS6_, .Lfunc_end11-_ZN2at6native16triu_tril_kernelIilLb0ELi2ELb0EEEvNS_4cuda6detail10TensorInfoIT_T0_EENS4_IKS5_S6_EEllS6_
                                        ; -- End function
	.set _ZN2at6native16triu_tril_kernelIilLb0ELi2ELb0EEEvNS_4cuda6detail10TensorInfoIT_T0_EENS4_IKS5_S6_EEllS6_.num_vgpr, 26
	.set _ZN2at6native16triu_tril_kernelIilLb0ELi2ELb0EEEvNS_4cuda6detail10TensorInfoIT_T0_EENS4_IKS5_S6_EEllS6_.num_agpr, 0
	.set _ZN2at6native16triu_tril_kernelIilLb0ELi2ELb0EEEvNS_4cuda6detail10TensorInfoIT_T0_EENS4_IKS5_S6_EEllS6_.numbered_sgpr, 73
	.set _ZN2at6native16triu_tril_kernelIilLb0ELi2ELb0EEEvNS_4cuda6detail10TensorInfoIT_T0_EENS4_IKS5_S6_EEllS6_.num_named_barrier, 0
	.set _ZN2at6native16triu_tril_kernelIilLb0ELi2ELb0EEEvNS_4cuda6detail10TensorInfoIT_T0_EENS4_IKS5_S6_EEllS6_.private_seg_size, 0
	.set _ZN2at6native16triu_tril_kernelIilLb0ELi2ELb0EEEvNS_4cuda6detail10TensorInfoIT_T0_EENS4_IKS5_S6_EEllS6_.uses_vcc, 1
	.set _ZN2at6native16triu_tril_kernelIilLb0ELi2ELb0EEEvNS_4cuda6detail10TensorInfoIT_T0_EENS4_IKS5_S6_EEllS6_.uses_flat_scratch, 0
	.set _ZN2at6native16triu_tril_kernelIilLb0ELi2ELb0EEEvNS_4cuda6detail10TensorInfoIT_T0_EENS4_IKS5_S6_EEllS6_.has_dyn_sized_stack, 0
	.set _ZN2at6native16triu_tril_kernelIilLb0ELi2ELb0EEEvNS_4cuda6detail10TensorInfoIT_T0_EENS4_IKS5_S6_EEllS6_.has_recursion, 0
	.set _ZN2at6native16triu_tril_kernelIilLb0ELi2ELb0EEEvNS_4cuda6detail10TensorInfoIT_T0_EENS4_IKS5_S6_EEllS6_.has_indirect_call, 0
	.section	.AMDGPU.csdata,"",@progbits
; Kernel info:
; codeLenInByte = 4988
; TotalNumSgprs: 77
; NumVgprs: 26
; ScratchSize: 0
; MemoryBound: 0
; FloatMode: 240
; IeeeMode: 1
; LDSByteSize: 0 bytes/workgroup (compile time only)
; SGPRBlocks: 9
; VGPRBlocks: 6
; NumSGPRsForWavesPerEU: 77
; NumVGPRsForWavesPerEU: 26
; Occupancy: 9
; WaveLimiterHint : 0
; COMPUTE_PGM_RSRC2:SCRATCH_EN: 0
; COMPUTE_PGM_RSRC2:USER_SGPR: 6
; COMPUTE_PGM_RSRC2:TRAP_HANDLER: 0
; COMPUTE_PGM_RSRC2:TGID_X_EN: 1
; COMPUTE_PGM_RSRC2:TGID_Y_EN: 0
; COMPUTE_PGM_RSRC2:TGID_Z_EN: 0
; COMPUTE_PGM_RSRC2:TIDIG_COMP_CNT: 0
	.section	.text._ZN2at6native16triu_tril_kernelIliLb0ELi2ELb1EEEvNS_4cuda6detail10TensorInfoIT_T0_EENS4_IKS5_S6_EEllS6_,"axG",@progbits,_ZN2at6native16triu_tril_kernelIliLb0ELi2ELb1EEEvNS_4cuda6detail10TensorInfoIT_T0_EENS4_IKS5_S6_EEllS6_,comdat
	.protected	_ZN2at6native16triu_tril_kernelIliLb0ELi2ELb1EEEvNS_4cuda6detail10TensorInfoIT_T0_EENS4_IKS5_S6_EEllS6_ ; -- Begin function _ZN2at6native16triu_tril_kernelIliLb0ELi2ELb1EEEvNS_4cuda6detail10TensorInfoIT_T0_EENS4_IKS5_S6_EEllS6_
	.globl	_ZN2at6native16triu_tril_kernelIliLb0ELi2ELb1EEEvNS_4cuda6detail10TensorInfoIT_T0_EENS4_IKS5_S6_EEllS6_
	.p2align	8
	.type	_ZN2at6native16triu_tril_kernelIliLb0ELi2ELb1EEEvNS_4cuda6detail10TensorInfoIT_T0_EENS4_IKS5_S6_EEllS6_,@function
_ZN2at6native16triu_tril_kernelIliLb0ELi2ELb1EEEvNS_4cuda6detail10TensorInfoIT_T0_EENS4_IKS5_S6_EEllS6_: ; @_ZN2at6native16triu_tril_kernelIliLb0ELi2ELb1EEEvNS_4cuda6detail10TensorInfoIT_T0_EENS4_IKS5_S6_EEllS6_
; %bb.0:
	s_load_dword s2, s[4:5], 0x1d4
	s_load_dwordx4 s[8:11], s[4:5], 0x1b0
	s_add_u32 s0, s4, 0x1c8
	v_mov_b32_e32 v2, 0
	s_addc_u32 s1, s5, 0
	s_waitcnt lgkmcnt(0)
	s_and_b32 s7, s2, 0xffff
	v_mov_b32_e32 v1, v2
	v_mov_b32_e32 v3, s6
	v_mad_u64_u32 v[0:1], s[2:3], s7, v3, v[0:1]
	v_lshlrev_b64 v[0:1], 1, v[0:1]
	v_cmp_gt_i64_e32 vcc, s[10:11], v[0:1]
	s_and_saveexec_b64 s[2:3], vcc
	s_cbranch_execz .LBB12_63
; %bb.1:
	s_load_dword s33, s[4:5], 0x1c0
	s_load_dword s16, s[4:5], 0x1a8
	s_add_u32 s42, s4, 0xd8
	s_addc_u32 s43, s5, 0
	s_load_dword s6, s[0:1], 0x0
	s_waitcnt lgkmcnt(0)
	s_ashr_i32 s44, s33, 31
	s_ashr_i32 s17, s16, 31
	s_lshl_b64 s[0:1], s[16:17], 2
	s_add_u32 s2, s42, s0
	s_addc_u32 s3, s43, s1
	s_load_dword s45, s[2:3], 0x0
	s_load_dwordx2 s[12:13], s[4:5], 0x0
	s_mul_i32 s18, s6, s7
	v_cmp_gt_i64_e64 s[6:7], s[16:17], 2
	s_mov_b32 s17, 0
	s_waitcnt lgkmcnt(0)
	s_ashr_i32 s46, s45, 31
	s_add_u32 s14, s4, s0
	s_addc_u32 s15, s5, s1
	s_add_i32 s0, s16, 6
	s_add_i32 s47, s16, -3
	s_lshl_b32 s48, s18, 1
	s_and_b32 s49, s0, 7
	s_and_b32 s0, s16, 7
	s_cmp_lg_u32 s0, 2
	s_cselect_b64 s[18:19], -1, 0
	s_cmp_gt_u32 s47, 6
	s_cselect_b64 s[20:21], -1, 0
	s_mov_b64 s[22:23], 0
	s_ashr_i32 s24, s44, 31
	s_branch .LBB12_3
.LBB12_2:                               ;   in Loop: Header=BB12_3 Depth=1
	s_or_b64 exec, exec, s[26:27]
	v_add_co_u32_e32 v0, vcc, s48, v0
	v_addc_co_u32_e32 v1, vcc, 0, v1, vcc
	v_cmp_le_i64_e32 vcc, s[10:11], v[0:1]
	s_or_b64 s[22:23], vcc, s[22:23]
	s_andn2_b64 exec, exec, s[22:23]
	s_cbranch_execz .LBB12_63
.LBB12_3:                               ; =>This Loop Header: Depth=1
                                        ;     Child Loop BB12_14 Depth 2
                                        ;     Child Loop BB12_23 Depth 2
	v_or_b32_e32 v3, s44, v1
	v_cmp_ne_u64_e32 vcc, 0, v[2:3]
                                        ; implicit-def: $vgpr4_vgpr5
	s_and_saveexec_b64 s[0:1], vcc
	s_xor_b64 s[26:27], exec, s[0:1]
	s_cbranch_execz .LBB12_5
; %bb.4:                                ;   in Loop: Header=BB12_3 Depth=1
	s_add_u32 s0, s33, s24
	s_mov_b32 s25, s24
	s_addc_u32 s1, s44, s24
	s_xor_b64 s[28:29], s[0:1], s[24:25]
	v_cvt_f32_u32_e32 v3, s28
	v_cvt_f32_u32_e32 v4, s29
	s_sub_u32 s16, 0, s28
	s_subb_u32 s25, 0, s29
	v_ashrrev_i32_e32 v7, 31, v1
	v_mac_f32_e32 v3, 0x4f800000, v4
	v_rcp_f32_e32 v3, v3
	v_mul_f32_e32 v3, 0x5f7ffffc, v3
	v_mul_f32_e32 v4, 0x2f800000, v3
	v_trunc_f32_e32 v4, v4
	v_mac_f32_e32 v3, 0xcf800000, v4
	v_cvt_u32_f32_e32 v4, v4
	v_cvt_u32_f32_e32 v3, v3
	v_readfirstlane_b32 s30, v4
	v_readfirstlane_b32 s0, v3
	s_mul_i32 s1, s16, s30
	s_mul_hi_u32 s34, s16, s0
	s_mul_i32 s31, s25, s0
	s_add_i32 s1, s34, s1
	s_add_i32 s1, s1, s31
	s_mul_i32 s35, s16, s0
	s_mul_i32 s34, s0, s1
	s_mul_hi_u32 s36, s0, s35
	s_mul_hi_u32 s31, s0, s1
	s_add_u32 s34, s36, s34
	s_addc_u32 s31, 0, s31
	s_mul_hi_u32 s37, s30, s35
	s_mul_i32 s35, s30, s35
	s_add_u32 s34, s34, s35
	s_mul_hi_u32 s36, s30, s1
	s_addc_u32 s31, s31, s37
	s_addc_u32 s34, s36, 0
	s_mul_i32 s1, s30, s1
	s_add_u32 s1, s31, s1
	s_addc_u32 s31, 0, s34
	s_add_u32 s34, s0, s1
	s_cselect_b64 s[0:1], -1, 0
	s_cmp_lg_u64 s[0:1], 0
	s_addc_u32 s30, s30, s31
	s_mul_i32 s0, s16, s30
	s_mul_hi_u32 s1, s16, s34
	s_add_i32 s0, s1, s0
	s_mul_i32 s25, s25, s34
	s_add_i32 s0, s0, s25
	s_mul_i32 s16, s16, s34
	s_mul_hi_u32 s25, s30, s16
	s_mul_i32 s31, s30, s16
	s_mul_i32 s36, s34, s0
	s_mul_hi_u32 s16, s34, s16
	s_mul_hi_u32 s35, s34, s0
	s_add_u32 s16, s16, s36
	s_addc_u32 s35, 0, s35
	s_add_u32 s16, s16, s31
	s_mul_hi_u32 s1, s30, s0
	s_addc_u32 s16, s35, s25
	s_addc_u32 s1, s1, 0
	s_mul_i32 s0, s30, s0
	s_add_u32 s0, s16, s0
	s_addc_u32 s16, 0, s1
	s_add_u32 s25, s34, s0
	s_cselect_b64 s[0:1], -1, 0
	s_cmp_lg_u64 s[0:1], 0
	v_add_co_u32_e32 v3, vcc, v0, v7
	s_addc_u32 s16, s30, s16
	v_xor_b32_e32 v8, v3, v7
	v_mad_u64_u32 v[3:4], s[0:1], v8, s16, 0
	v_mul_hi_u32 v6, v8, s25
	v_addc_co_u32_e32 v5, vcc, v1, v7, vcc
	v_xor_b32_e32 v9, v5, v7
	v_add_co_u32_e32 v10, vcc, v6, v3
	v_addc_co_u32_e32 v11, vcc, 0, v4, vcc
	v_mad_u64_u32 v[3:4], s[0:1], v9, s25, 0
	v_mad_u64_u32 v[5:6], s[0:1], v9, s16, 0
	v_add_co_u32_e32 v3, vcc, v10, v3
	v_addc_co_u32_e32 v3, vcc, v11, v4, vcc
	v_addc_co_u32_e32 v4, vcc, 0, v6, vcc
	v_add_co_u32_e32 v5, vcc, v3, v5
	v_addc_co_u32_e32 v6, vcc, 0, v4, vcc
	v_mul_lo_u32 v10, s29, v5
	v_mul_lo_u32 v11, s28, v6
	v_mad_u64_u32 v[3:4], s[0:1], s28, v5, 0
	v_add3_u32 v4, v4, v11, v10
	v_sub_u32_e32 v10, v9, v4
	v_mov_b32_e32 v11, s29
	v_sub_co_u32_e32 v3, vcc, v8, v3
	v_subb_co_u32_e64 v8, s[0:1], v10, v11, vcc
	v_subrev_co_u32_e64 v10, s[0:1], s28, v3
	v_subbrev_co_u32_e64 v8, s[0:1], 0, v8, s[0:1]
	v_cmp_le_u32_e64 s[0:1], s29, v8
	v_cndmask_b32_e64 v11, 0, -1, s[0:1]
	v_cmp_le_u32_e64 s[0:1], s28, v10
	v_cndmask_b32_e64 v10, 0, -1, s[0:1]
	v_cmp_eq_u32_e64 s[0:1], s29, v8
	v_cndmask_b32_e64 v8, v11, v10, s[0:1]
	v_add_co_u32_e64 v10, s[0:1], 2, v5
	v_subb_co_u32_e32 v4, vcc, v9, v4, vcc
	v_addc_co_u32_e64 v11, s[0:1], 0, v6, s[0:1]
	v_cmp_le_u32_e32 vcc, s29, v4
	v_add_co_u32_e64 v12, s[0:1], 1, v5
	v_cndmask_b32_e64 v9, 0, -1, vcc
	v_cmp_le_u32_e32 vcc, s28, v3
	v_addc_co_u32_e64 v13, s[0:1], 0, v6, s[0:1]
	v_cndmask_b32_e64 v3, 0, -1, vcc
	v_cmp_eq_u32_e32 vcc, s29, v4
	v_cmp_ne_u32_e64 s[0:1], 0, v8
	v_cndmask_b32_e32 v3, v9, v3, vcc
	v_cmp_ne_u32_e32 vcc, 0, v3
	v_cndmask_b32_e64 v4, v12, v10, s[0:1]
	v_cndmask_b32_e64 v8, v13, v11, s[0:1]
	v_cndmask_b32_e32 v4, v5, v4, vcc
	v_xor_b32_e32 v5, s24, v7
	v_cndmask_b32_e32 v3, v6, v8, vcc
	v_xor_b32_e32 v4, v4, v5
	v_xor_b32_e32 v3, v3, v5
	v_sub_co_u32_e32 v4, vcc, v4, v5
	v_subb_co_u32_e32 v5, vcc, v3, v5, vcc
.LBB12_5:                               ;   in Loop: Header=BB12_3 Depth=1
	s_andn2_saveexec_b64 s[0:1], s[26:27]
	s_cbranch_execz .LBB12_7
; %bb.6:                                ;   in Loop: Header=BB12_3 Depth=1
	v_cvt_f32_u32_e32 v3, s33
	s_sub_i32 s16, 0, s33
	v_rcp_iflag_f32_e32 v3, v3
	v_mul_f32_e32 v3, 0x4f7ffffe, v3
	v_cvt_u32_f32_e32 v3, v3
	v_mul_lo_u32 v4, s16, v3
	v_mul_hi_u32 v4, v3, v4
	v_add_u32_e32 v3, v3, v4
	v_mul_hi_u32 v3, v0, v3
	v_mul_lo_u32 v4, v3, s33
	v_add_u32_e32 v5, 1, v3
	v_sub_u32_e32 v4, v0, v4
	v_subrev_u32_e32 v6, s33, v4
	v_cmp_le_u32_e32 vcc, s33, v4
	v_cndmask_b32_e32 v4, v4, v6, vcc
	v_cndmask_b32_e32 v3, v3, v5, vcc
	v_add_u32_e32 v5, 1, v3
	v_cmp_le_u32_e32 vcc, s33, v4
	v_cndmask_b32_e32 v4, v3, v5, vcc
	v_mov_b32_e32 v5, v2
.LBB12_7:                               ;   in Loop: Header=BB12_3 Depth=1
	s_or_b64 exec, exec, s[0:1]
	v_or_b32_e32 v3, s46, v5
	v_cmp_ne_u64_e32 vcc, 0, v[2:3]
                                        ; implicit-def: $vgpr8_vgpr9
	s_and_saveexec_b64 s[0:1], vcc
	s_xor_b64 s[26:27], exec, s[0:1]
	s_cbranch_execz .LBB12_9
; %bb.8:                                ;   in Loop: Header=BB12_3 Depth=1
	s_ashr_i32 s28, s46, 31
	s_add_u32 s0, s45, s28
	s_mov_b32 s29, s28
	s_addc_u32 s1, s46, s28
	s_xor_b64 s[30:31], s[0:1], s[28:29]
	v_cvt_f32_u32_e32 v3, s30
	v_cvt_f32_u32_e32 v6, s31
	s_sub_u32 s16, 0, s30
	s_subb_u32 s25, 0, s31
	v_mac_f32_e32 v3, 0x4f800000, v6
	v_rcp_f32_e32 v3, v3
	v_mul_f32_e32 v3, 0x5f7ffffc, v3
	v_mul_f32_e32 v6, 0x2f800000, v3
	v_trunc_f32_e32 v6, v6
	v_mac_f32_e32 v3, 0xcf800000, v6
	v_cvt_u32_f32_e32 v6, v6
	v_cvt_u32_f32_e32 v3, v3
	v_readfirstlane_b32 s29, v6
	v_readfirstlane_b32 s0, v3
	s_mul_i32 s1, s16, s29
	s_mul_hi_u32 s35, s16, s0
	s_mul_i32 s34, s25, s0
	s_add_i32 s1, s35, s1
	s_add_i32 s1, s1, s34
	s_mul_i32 s36, s16, s0
	s_mul_i32 s35, s0, s1
	s_mul_hi_u32 s37, s0, s36
	s_mul_hi_u32 s34, s0, s1
	s_add_u32 s35, s37, s35
	s_addc_u32 s34, 0, s34
	s_mul_hi_u32 s38, s29, s36
	s_mul_i32 s36, s29, s36
	s_add_u32 s35, s35, s36
	s_mul_hi_u32 s37, s29, s1
	s_addc_u32 s34, s34, s38
	s_addc_u32 s35, s37, 0
	s_mul_i32 s1, s29, s1
	s_add_u32 s1, s34, s1
	s_addc_u32 s34, 0, s35
	s_add_u32 s35, s0, s1
	s_cselect_b64 s[0:1], -1, 0
	s_cmp_lg_u64 s[0:1], 0
	s_addc_u32 s29, s29, s34
	s_mul_i32 s0, s16, s29
	s_mul_hi_u32 s1, s16, s35
	s_add_i32 s0, s1, s0
	s_mul_i32 s25, s25, s35
	s_add_i32 s0, s0, s25
	s_mul_i32 s16, s16, s35
	s_mul_hi_u32 s25, s29, s16
	s_mul_i32 s34, s29, s16
	s_mul_i32 s37, s35, s0
	s_mul_hi_u32 s16, s35, s16
	s_mul_hi_u32 s36, s35, s0
	s_add_u32 s16, s16, s37
	s_addc_u32 s36, 0, s36
	s_add_u32 s16, s16, s34
	s_mul_hi_u32 s1, s29, s0
	s_addc_u32 s16, s36, s25
	s_addc_u32 s1, s1, 0
	s_mul_i32 s0, s29, s0
	s_add_u32 s0, s16, s0
	s_addc_u32 s16, 0, s1
	s_add_u32 s25, s35, s0
	s_cselect_b64 s[0:1], -1, 0
	v_ashrrev_i32_e32 v3, 31, v5
	s_cmp_lg_u64 s[0:1], 0
	v_add_co_u32_e32 v6, vcc, v4, v3
	s_addc_u32 s16, s29, s16
	v_xor_b32_e32 v9, v6, v3
	v_addc_co_u32_e32 v7, vcc, v5, v3, vcc
	v_mad_u64_u32 v[5:6], s[0:1], v9, s16, 0
	v_mul_hi_u32 v8, v9, s25
	v_xor_b32_e32 v10, v7, v3
	v_xor_b32_e32 v3, s28, v3
	v_add_co_u32_e32 v11, vcc, v8, v5
	v_addc_co_u32_e32 v12, vcc, 0, v6, vcc
	v_mad_u64_u32 v[5:6], s[0:1], v10, s25, 0
	v_mad_u64_u32 v[7:8], s[0:1], v10, s16, 0
	v_add_co_u32_e32 v5, vcc, v11, v5
	v_addc_co_u32_e32 v5, vcc, v12, v6, vcc
	v_addc_co_u32_e32 v6, vcc, 0, v8, vcc
	v_add_co_u32_e32 v7, vcc, v5, v7
	v_addc_co_u32_e32 v8, vcc, 0, v6, vcc
	v_mul_lo_u32 v11, s31, v7
	v_mul_lo_u32 v12, s30, v8
	v_mad_u64_u32 v[5:6], s[0:1], s30, v7, 0
	v_add3_u32 v6, v6, v12, v11
	v_sub_u32_e32 v11, v10, v6
	v_mov_b32_e32 v12, s31
	v_sub_co_u32_e32 v5, vcc, v9, v5
	v_subb_co_u32_e64 v9, s[0:1], v11, v12, vcc
	v_subrev_co_u32_e64 v11, s[0:1], s30, v5
	v_subbrev_co_u32_e64 v9, s[0:1], 0, v9, s[0:1]
	v_cmp_le_u32_e64 s[0:1], s31, v9
	v_cndmask_b32_e64 v12, 0, -1, s[0:1]
	v_cmp_le_u32_e64 s[0:1], s30, v11
	v_cndmask_b32_e64 v11, 0, -1, s[0:1]
	v_cmp_eq_u32_e64 s[0:1], s31, v9
	v_cndmask_b32_e64 v9, v12, v11, s[0:1]
	v_add_co_u32_e64 v11, s[0:1], 2, v7
	v_subb_co_u32_e32 v6, vcc, v10, v6, vcc
	v_addc_co_u32_e64 v12, s[0:1], 0, v8, s[0:1]
	v_cmp_le_u32_e32 vcc, s31, v6
	v_add_co_u32_e64 v13, s[0:1], 1, v7
	v_cndmask_b32_e64 v10, 0, -1, vcc
	v_cmp_le_u32_e32 vcc, s30, v5
	v_addc_co_u32_e64 v14, s[0:1], 0, v8, s[0:1]
	v_cndmask_b32_e64 v5, 0, -1, vcc
	v_cmp_eq_u32_e32 vcc, s31, v6
	v_cmp_ne_u32_e64 s[0:1], 0, v9
	v_cndmask_b32_e32 v5, v10, v5, vcc
	v_cmp_ne_u32_e32 vcc, 0, v5
	v_cndmask_b32_e64 v6, v13, v11, s[0:1]
	v_cndmask_b32_e64 v9, v14, v12, s[0:1]
	v_cndmask_b32_e32 v6, v7, v6, vcc
	v_cndmask_b32_e32 v5, v8, v9, vcc
	v_xor_b32_e32 v6, v6, v3
	v_xor_b32_e32 v5, v5, v3
	v_sub_co_u32_e32 v8, vcc, v6, v3
	v_subb_co_u32_e32 v9, vcc, v5, v3, vcc
.LBB12_9:                               ;   in Loop: Header=BB12_3 Depth=1
	s_andn2_saveexec_b64 s[0:1], s[26:27]
	s_cbranch_execz .LBB12_11
; %bb.10:                               ;   in Loop: Header=BB12_3 Depth=1
	v_cvt_f32_u32_e32 v3, s45
	s_sub_i32 s16, 0, s45
	v_mov_b32_e32 v9, v2
	v_rcp_iflag_f32_e32 v3, v3
	v_mul_f32_e32 v3, 0x4f7ffffe, v3
	v_cvt_u32_f32_e32 v3, v3
	v_mul_lo_u32 v5, s16, v3
	v_mul_hi_u32 v5, v3, v5
	v_add_u32_e32 v3, v3, v5
	v_mul_hi_u32 v3, v4, v3
	v_mul_lo_u32 v5, v3, s45
	v_add_u32_e32 v6, 1, v3
	v_sub_u32_e32 v5, v4, v5
	v_subrev_u32_e32 v7, s45, v5
	v_cmp_le_u32_e32 vcc, s45, v5
	v_cndmask_b32_e32 v5, v5, v7, vcc
	v_cndmask_b32_e32 v3, v3, v6, vcc
	v_add_u32_e32 v6, 1, v3
	v_cmp_le_u32_e32 vcc, s45, v5
	v_cndmask_b32_e32 v8, v3, v6, vcc
.LBB12_11:                              ;   in Loop: Header=BB12_3 Depth=1
	s_or_b64 exec, exec, s[0:1]
	v_mad_u64_u32 v[5:6], s[0:1], v4, s33, 0
	v_mad_u64_u32 v[6:7], s[0:1], v8, s45, 0
	v_sub_co_u32_e32 v27, vcc, v0, v5
	v_sub_co_u32_e32 v26, vcc, v4, v6
	v_sub_u32_e32 v4, v27, v26
	v_add_u32_e32 v5, 2, v4
	v_ashrrev_i32_e32 v6, 31, v5
	v_cmp_lt_i64_e32 vcc, s[8:9], v[5:6]
	s_and_saveexec_b64 s[26:27], vcc
	s_cbranch_execz .LBB12_2
; %bb.12:                               ;   in Loop: Header=BB12_3 Depth=1
	s_load_dwordx2 s[28:29], s[14:15], 0x64
	s_andn2_b64 vcc, exec, s[6:7]
	s_waitcnt lgkmcnt(0)
	v_mul_lo_u32 v3, s29, v27
	v_mad_u64_u32 v[6:7], s[0:1], s28, v26, v[3:4]
	s_cbranch_vccnz .LBB12_57
; %bb.13:                               ;   in Loop: Header=BB12_3 Depth=1
	s_andn2_b64 vcc, exec, s[18:19]
	s_mov_b32 s25, s49
	s_mov_b32 s16, s47
	;; [unrolled: 1-line block ×3, first 2 shown]
	s_cbranch_vccnz .LBB12_21
.LBB12_14:                              ;   Parent Loop BB12_3 Depth=1
                                        ; =>  This Inner Loop Header: Depth=2
	s_lshl_b64 s[30:31], s[16:17], 2
	s_add_u32 s0, s42, s30
	s_addc_u32 s1, s43, s31
	s_load_dword s28, s[0:1], 0x8
                                        ; implicit-def: $vgpr10_vgpr11
	s_waitcnt lgkmcnt(0)
	s_ashr_i32 s0, s28, 31
	v_or_b32_e32 v3, s0, v9
	v_cmp_ne_u64_e32 vcc, 0, v[2:3]
	s_and_saveexec_b64 s[34:35], vcc
	s_xor_b64 s[34:35], exec, s[34:35]
	s_cbranch_execz .LBB12_16
; %bb.15:                               ;   in Loop: Header=BB12_14 Depth=2
	s_ashr_i32 s36, s0, 31
	s_add_u32 s38, s28, s36
	s_mov_b32 s37, s36
	s_addc_u32 s39, s0, s36
	s_xor_b64 s[38:39], s[38:39], s[36:37]
	v_cvt_f32_u32_e32 v3, s38
	v_cvt_f32_u32_e32 v5, s39
	s_sub_u32 s37, 0, s38
	s_subb_u32 s40, 0, s39
	v_mac_f32_e32 v3, 0x4f800000, v5
	v_rcp_f32_e32 v3, v3
	v_mul_f32_e32 v3, 0x5f7ffffc, v3
	v_mul_f32_e32 v5, 0x2f800000, v3
	v_trunc_f32_e32 v5, v5
	v_mac_f32_e32 v3, 0xcf800000, v5
	v_cvt_u32_f32_e32 v5, v5
	v_cvt_u32_f32_e32 v3, v3
	v_readfirstlane_b32 s41, v5
	v_readfirstlane_b32 s0, v3
	s_mul_i32 s1, s37, s41
	s_mul_hi_u32 s51, s37, s0
	s_mul_i32 s50, s40, s0
	s_add_i32 s1, s51, s1
	s_add_i32 s1, s1, s50
	s_mul_i32 s52, s37, s0
	s_mul_i32 s51, s0, s1
	s_mul_hi_u32 s53, s0, s52
	s_mul_hi_u32 s50, s0, s1
	s_add_u32 s51, s53, s51
	s_addc_u32 s50, 0, s50
	s_mul_hi_u32 s54, s41, s52
	s_mul_i32 s52, s41, s52
	s_add_u32 s51, s51, s52
	s_mul_hi_u32 s53, s41, s1
	s_addc_u32 s50, s50, s54
	s_addc_u32 s51, s53, 0
	s_mul_i32 s1, s41, s1
	s_add_u32 s1, s50, s1
	s_addc_u32 s50, 0, s51
	s_add_u32 s51, s0, s1
	s_cselect_b64 s[0:1], -1, 0
	s_cmp_lg_u64 s[0:1], 0
	s_addc_u32 s41, s41, s50
	s_mul_i32 s0, s37, s41
	s_mul_hi_u32 s1, s37, s51
	s_add_i32 s0, s1, s0
	s_mul_i32 s40, s40, s51
	s_add_i32 s0, s0, s40
	s_mul_i32 s37, s37, s51
	s_mul_hi_u32 s40, s41, s37
	s_mul_i32 s50, s41, s37
	s_mul_i32 s53, s51, s0
	s_mul_hi_u32 s37, s51, s37
	s_mul_hi_u32 s52, s51, s0
	s_add_u32 s37, s37, s53
	s_addc_u32 s52, 0, s52
	s_add_u32 s37, s37, s50
	s_mul_hi_u32 s1, s41, s0
	s_addc_u32 s37, s52, s40
	s_addc_u32 s1, s1, 0
	s_mul_i32 s0, s41, s0
	s_add_u32 s0, s37, s0
	s_addc_u32 s37, 0, s1
	s_add_u32 s40, s51, s0
	s_cselect_b64 s[0:1], -1, 0
	v_ashrrev_i32_e32 v3, 31, v9
	s_cmp_lg_u64 s[0:1], 0
	v_add_co_u32_e32 v5, vcc, v8, v3
	s_addc_u32 s37, s41, s37
	v_xor_b32_e32 v5, v5, v3
	v_addc_co_u32_e32 v7, vcc, v9, v3, vcc
	v_mad_u64_u32 v[9:10], s[0:1], v5, s37, 0
	v_mul_hi_u32 v11, v5, s40
	v_xor_b32_e32 v7, v7, v3
	v_xor_b32_e32 v3, s36, v3
	v_add_co_u32_e32 v13, vcc, v11, v9
	v_addc_co_u32_e32 v14, vcc, 0, v10, vcc
	v_mad_u64_u32 v[9:10], s[0:1], v7, s40, 0
	v_mad_u64_u32 v[11:12], s[0:1], v7, s37, 0
	v_add_co_u32_e32 v9, vcc, v13, v9
	v_addc_co_u32_e32 v9, vcc, v14, v10, vcc
	v_addc_co_u32_e32 v10, vcc, 0, v12, vcc
	v_add_co_u32_e32 v11, vcc, v9, v11
	v_addc_co_u32_e32 v12, vcc, 0, v10, vcc
	v_mul_lo_u32 v13, s39, v11
	v_mul_lo_u32 v14, s38, v12
	v_mad_u64_u32 v[9:10], s[0:1], s38, v11, 0
	v_add3_u32 v10, v10, v14, v13
	v_sub_u32_e32 v13, v7, v10
	v_mov_b32_e32 v14, s39
	v_sub_co_u32_e32 v5, vcc, v5, v9
	v_subb_co_u32_e64 v9, s[0:1], v13, v14, vcc
	v_subrev_co_u32_e64 v13, s[0:1], s38, v5
	v_subbrev_co_u32_e64 v9, s[0:1], 0, v9, s[0:1]
	v_cmp_le_u32_e64 s[0:1], s39, v9
	v_cndmask_b32_e64 v14, 0, -1, s[0:1]
	v_cmp_le_u32_e64 s[0:1], s38, v13
	v_cndmask_b32_e64 v13, 0, -1, s[0:1]
	v_cmp_eq_u32_e64 s[0:1], s39, v9
	v_cndmask_b32_e64 v9, v14, v13, s[0:1]
	v_add_co_u32_e64 v13, s[0:1], 2, v11
	v_subb_co_u32_e32 v7, vcc, v7, v10, vcc
	v_addc_co_u32_e64 v14, s[0:1], 0, v12, s[0:1]
	v_cmp_le_u32_e32 vcc, s39, v7
	v_add_co_u32_e64 v15, s[0:1], 1, v11
	v_cndmask_b32_e64 v10, 0, -1, vcc
	v_cmp_le_u32_e32 vcc, s38, v5
	v_addc_co_u32_e64 v16, s[0:1], 0, v12, s[0:1]
	v_cndmask_b32_e64 v5, 0, -1, vcc
	v_cmp_eq_u32_e32 vcc, s39, v7
	v_cmp_ne_u32_e64 s[0:1], 0, v9
	v_cndmask_b32_e32 v5, v10, v5, vcc
	v_cmp_ne_u32_e32 vcc, 0, v5
	v_cndmask_b32_e64 v7, v15, v13, s[0:1]
	v_cndmask_b32_e64 v9, v16, v14, s[0:1]
	v_cndmask_b32_e32 v7, v11, v7, vcc
	v_cndmask_b32_e32 v5, v12, v9, vcc
	v_xor_b32_e32 v7, v7, v3
	v_xor_b32_e32 v5, v5, v3
	v_sub_co_u32_e32 v10, vcc, v7, v3
	v_subb_co_u32_e32 v11, vcc, v5, v3, vcc
.LBB12_16:                              ;   in Loop: Header=BB12_14 Depth=2
	s_andn2_saveexec_b64 s[0:1], s[34:35]
	s_cbranch_execz .LBB12_18
; %bb.17:                               ;   in Loop: Header=BB12_14 Depth=2
	v_cvt_f32_u32_e32 v3, s28
	s_sub_i32 s34, 0, s28
	v_mov_b32_e32 v11, v2
	v_rcp_iflag_f32_e32 v3, v3
	v_mul_f32_e32 v3, 0x4f7ffffe, v3
	v_cvt_u32_f32_e32 v3, v3
	v_mul_lo_u32 v5, s34, v3
	v_mul_hi_u32 v5, v3, v5
	v_add_u32_e32 v3, v3, v5
	v_mul_hi_u32 v3, v8, v3
	v_mul_lo_u32 v5, v3, s28
	v_add_u32_e32 v7, 1, v3
	v_sub_u32_e32 v5, v8, v5
	v_subrev_u32_e32 v9, s28, v5
	v_cmp_le_u32_e32 vcc, s28, v5
	v_cndmask_b32_e32 v5, v5, v9, vcc
	v_cndmask_b32_e32 v3, v3, v7, vcc
	v_add_u32_e32 v7, 1, v3
	v_cmp_le_u32_e32 vcc, s28, v5
	v_cndmask_b32_e32 v10, v3, v7, vcc
.LBB12_18:                              ;   in Loop: Header=BB12_14 Depth=2
	s_or_b64 exec, exec, s[0:1]
	s_add_u32 s0, s4, s30
	s_addc_u32 s1, s5, s31
	v_mul_lo_u32 v3, v10, s28
	s_load_dword s0, s[0:1], 0x6c
	s_add_i32 s16, s16, -1
	s_add_i32 s25, s25, -1
	v_sub_u32_e32 v3, v8, v3
	s_cmp_lg_u32 s25, 0
	s_waitcnt lgkmcnt(0)
	v_mad_u64_u32 v[6:7], s[0:1], s0, v3, v[6:7]
	s_cbranch_scc0 .LBB12_20
; %bb.19:                               ;   in Loop: Header=BB12_14 Depth=2
	v_mov_b32_e32 v8, v10
	v_mov_b32_e32 v9, v11
	s_branch .LBB12_14
.LBB12_20:                              ;   in Loop: Header=BB12_3 Depth=1
	v_mov_b32_e32 v8, v10
	s_mov_b32 s0, s16
	v_mov_b32_e32 v9, v11
.LBB12_21:                              ;   in Loop: Header=BB12_3 Depth=1
	s_andn2_b64 vcc, exec, s[20:21]
	s_cbranch_vccnz .LBB12_57
; %bb.22:                               ;   in Loop: Header=BB12_3 Depth=1
	s_add_i32 s30, s0, -7
.LBB12_23:                              ;   Parent Loop BB12_3 Depth=1
                                        ; =>  This Inner Loop Header: Depth=2
	s_add_i32 s16, s30, 7
	s_lshl_b64 s[34:35], s[16:17], 2
	s_add_u32 s0, s42, s34
	s_addc_u32 s1, s43, s35
	s_load_dword s25, s[0:1], 0x8
                                        ; implicit-def: $vgpr10_vgpr11
	s_waitcnt lgkmcnt(0)
	s_ashr_i32 s0, s25, 31
	v_or_b32_e32 v3, s0, v9
	v_cmp_ne_u64_e32 vcc, 0, v[2:3]
	s_and_saveexec_b64 s[36:37], vcc
	s_xor_b64 s[36:37], exec, s[36:37]
	s_cbranch_execz .LBB12_25
; %bb.24:                               ;   in Loop: Header=BB12_23 Depth=2
	s_ashr_i32 s38, s0, 31
	s_add_u32 s40, s25, s38
	s_mov_b32 s39, s38
	s_addc_u32 s41, s0, s38
	s_xor_b64 s[40:41], s[40:41], s[38:39]
	v_cvt_f32_u32_e32 v3, s40
	v_cvt_f32_u32_e32 v5, s41
	s_sub_u32 s16, 0, s40
	s_subb_u32 s28, 0, s41
	v_mac_f32_e32 v3, 0x4f800000, v5
	v_rcp_f32_e32 v3, v3
	v_mul_f32_e32 v3, 0x5f7ffffc, v3
	v_mul_f32_e32 v5, 0x2f800000, v3
	v_trunc_f32_e32 v5, v5
	v_mac_f32_e32 v3, 0xcf800000, v5
	v_cvt_u32_f32_e32 v5, v5
	v_cvt_u32_f32_e32 v3, v3
	v_readfirstlane_b32 s31, v5
	v_readfirstlane_b32 s0, v3
	s_mul_i32 s1, s16, s31
	s_mul_hi_u32 s50, s16, s0
	s_mul_i32 s39, s28, s0
	s_add_i32 s1, s50, s1
	s_add_i32 s1, s1, s39
	s_mul_i32 s51, s16, s0
	s_mul_i32 s50, s0, s1
	s_mul_hi_u32 s52, s0, s51
	s_mul_hi_u32 s39, s0, s1
	s_add_u32 s50, s52, s50
	s_addc_u32 s39, 0, s39
	s_mul_hi_u32 s53, s31, s51
	s_mul_i32 s51, s31, s51
	s_add_u32 s50, s50, s51
	s_mul_hi_u32 s52, s31, s1
	s_addc_u32 s39, s39, s53
	s_addc_u32 s50, s52, 0
	s_mul_i32 s1, s31, s1
	s_add_u32 s1, s39, s1
	s_addc_u32 s39, 0, s50
	s_add_u32 s50, s0, s1
	s_cselect_b64 s[0:1], -1, 0
	s_cmp_lg_u64 s[0:1], 0
	s_addc_u32 s31, s31, s39
	s_mul_i32 s0, s16, s31
	s_mul_hi_u32 s1, s16, s50
	s_add_i32 s0, s1, s0
	s_mul_i32 s28, s28, s50
	s_add_i32 s0, s0, s28
	s_mul_i32 s16, s16, s50
	s_mul_hi_u32 s28, s31, s16
	s_mul_i32 s39, s31, s16
	s_mul_i32 s52, s50, s0
	s_mul_hi_u32 s16, s50, s16
	s_mul_hi_u32 s51, s50, s0
	s_add_u32 s16, s16, s52
	s_addc_u32 s51, 0, s51
	s_add_u32 s16, s16, s39
	s_mul_hi_u32 s1, s31, s0
	s_addc_u32 s16, s51, s28
	s_addc_u32 s1, s1, 0
	s_mul_i32 s0, s31, s0
	s_add_u32 s0, s16, s0
	s_addc_u32 s16, 0, s1
	s_add_u32 s28, s50, s0
	s_cselect_b64 s[0:1], -1, 0
	v_ashrrev_i32_e32 v3, 31, v9
	s_cmp_lg_u64 s[0:1], 0
	v_add_co_u32_e32 v5, vcc, v8, v3
	s_addc_u32 s16, s31, s16
	v_xor_b32_e32 v5, v5, v3
	v_addc_co_u32_e32 v7, vcc, v9, v3, vcc
	v_mad_u64_u32 v[9:10], s[0:1], v5, s16, 0
	v_mul_hi_u32 v11, v5, s28
	v_xor_b32_e32 v7, v7, v3
	v_xor_b32_e32 v3, s38, v3
	v_add_co_u32_e32 v13, vcc, v11, v9
	v_addc_co_u32_e32 v14, vcc, 0, v10, vcc
	v_mad_u64_u32 v[9:10], s[0:1], v7, s28, 0
	v_mad_u64_u32 v[11:12], s[0:1], v7, s16, 0
	v_add_co_u32_e32 v9, vcc, v13, v9
	v_addc_co_u32_e32 v9, vcc, v14, v10, vcc
	v_addc_co_u32_e32 v10, vcc, 0, v12, vcc
	v_add_co_u32_e32 v11, vcc, v9, v11
	v_addc_co_u32_e32 v12, vcc, 0, v10, vcc
	v_mul_lo_u32 v13, s41, v11
	v_mul_lo_u32 v14, s40, v12
	v_mad_u64_u32 v[9:10], s[0:1], s40, v11, 0
	v_add3_u32 v10, v10, v14, v13
	v_sub_u32_e32 v13, v7, v10
	v_mov_b32_e32 v14, s41
	v_sub_co_u32_e32 v5, vcc, v5, v9
	v_subb_co_u32_e64 v9, s[0:1], v13, v14, vcc
	v_subrev_co_u32_e64 v13, s[0:1], s40, v5
	v_subbrev_co_u32_e64 v9, s[0:1], 0, v9, s[0:1]
	v_cmp_le_u32_e64 s[0:1], s41, v9
	v_cndmask_b32_e64 v14, 0, -1, s[0:1]
	v_cmp_le_u32_e64 s[0:1], s40, v13
	v_cndmask_b32_e64 v13, 0, -1, s[0:1]
	v_cmp_eq_u32_e64 s[0:1], s41, v9
	v_cndmask_b32_e64 v9, v14, v13, s[0:1]
	v_add_co_u32_e64 v13, s[0:1], 2, v11
	v_subb_co_u32_e32 v7, vcc, v7, v10, vcc
	v_addc_co_u32_e64 v14, s[0:1], 0, v12, s[0:1]
	v_cmp_le_u32_e32 vcc, s41, v7
	v_add_co_u32_e64 v15, s[0:1], 1, v11
	v_cndmask_b32_e64 v10, 0, -1, vcc
	v_cmp_le_u32_e32 vcc, s40, v5
	v_addc_co_u32_e64 v16, s[0:1], 0, v12, s[0:1]
	v_cndmask_b32_e64 v5, 0, -1, vcc
	v_cmp_eq_u32_e32 vcc, s41, v7
	v_cmp_ne_u32_e64 s[0:1], 0, v9
	v_cndmask_b32_e32 v5, v10, v5, vcc
	v_cmp_ne_u32_e32 vcc, 0, v5
	v_cndmask_b32_e64 v7, v15, v13, s[0:1]
	v_cndmask_b32_e64 v9, v16, v14, s[0:1]
	v_cndmask_b32_e32 v7, v11, v7, vcc
	v_cndmask_b32_e32 v5, v12, v9, vcc
	v_xor_b32_e32 v7, v7, v3
	v_xor_b32_e32 v5, v5, v3
	v_sub_co_u32_e32 v10, vcc, v7, v3
	v_subb_co_u32_e32 v11, vcc, v5, v3, vcc
.LBB12_25:                              ;   in Loop: Header=BB12_23 Depth=2
	s_andn2_saveexec_b64 s[0:1], s[36:37]
	s_cbranch_execz .LBB12_27
; %bb.26:                               ;   in Loop: Header=BB12_23 Depth=2
	v_cvt_f32_u32_e32 v3, s25
	s_sub_i32 s16, 0, s25
	v_mov_b32_e32 v11, v2
	v_rcp_iflag_f32_e32 v3, v3
	v_mul_f32_e32 v3, 0x4f7ffffe, v3
	v_cvt_u32_f32_e32 v3, v3
	v_mul_lo_u32 v5, s16, v3
	v_mul_hi_u32 v5, v3, v5
	v_add_u32_e32 v3, v3, v5
	v_mul_hi_u32 v3, v8, v3
	v_mul_lo_u32 v5, v3, s25
	v_add_u32_e32 v7, 1, v3
	v_sub_u32_e32 v5, v8, v5
	v_subrev_u32_e32 v9, s25, v5
	v_cmp_le_u32_e32 vcc, s25, v5
	v_cndmask_b32_e32 v5, v5, v9, vcc
	v_cndmask_b32_e32 v3, v3, v7, vcc
	v_add_u32_e32 v7, 1, v3
	v_cmp_le_u32_e32 vcc, s25, v5
	v_cndmask_b32_e32 v10, v3, v7, vcc
.LBB12_27:                              ;   in Loop: Header=BB12_23 Depth=2
	s_or_b64 exec, exec, s[0:1]
	s_add_u32 s0, s4, s34
	s_addc_u32 s1, s5, s35
	s_add_i32 s16, s30, 6
	s_lshl_b64 s[34:35], s[16:17], 2
	s_add_u32 s36, s42, s34
	s_addc_u32 s37, s43, s35
	s_load_dword s50, s[36:37], 0x8
	s_load_dword s28, s[0:1], 0x6c
                                        ; implicit-def: $vgpr12_vgpr13
	s_waitcnt lgkmcnt(0)
	s_ashr_i32 s0, s50, 31
	v_or_b32_e32 v3, s0, v11
	v_cmp_ne_u64_e32 vcc, 0, v[2:3]
	s_and_saveexec_b64 s[36:37], vcc
	s_xor_b64 s[36:37], exec, s[36:37]
	s_cbranch_execz .LBB12_29
; %bb.28:                               ;   in Loop: Header=BB12_23 Depth=2
	s_ashr_i32 s38, s0, 31
	s_add_u32 s40, s50, s38
	s_mov_b32 s39, s38
	s_addc_u32 s41, s0, s38
	s_xor_b64 s[40:41], s[40:41], s[38:39]
	v_cvt_f32_u32_e32 v3, s40
	v_cvt_f32_u32_e32 v5, s41
	s_sub_u32 s16, 0, s40
	s_subb_u32 s31, 0, s41
	v_mac_f32_e32 v3, 0x4f800000, v5
	v_rcp_f32_e32 v3, v3
	v_mul_f32_e32 v3, 0x5f7ffffc, v3
	v_mul_f32_e32 v5, 0x2f800000, v3
	v_trunc_f32_e32 v5, v5
	v_mac_f32_e32 v3, 0xcf800000, v5
	v_cvt_u32_f32_e32 v5, v5
	v_cvt_u32_f32_e32 v3, v3
	v_readfirstlane_b32 s39, v5
	v_readfirstlane_b32 s0, v3
	s_mul_i32 s1, s16, s39
	s_mul_hi_u32 s52, s16, s0
	s_mul_i32 s51, s31, s0
	s_add_i32 s1, s52, s1
	s_add_i32 s1, s1, s51
	s_mul_i32 s53, s16, s0
	s_mul_i32 s52, s0, s1
	s_mul_hi_u32 s54, s0, s53
	s_mul_hi_u32 s51, s0, s1
	s_add_u32 s52, s54, s52
	s_addc_u32 s51, 0, s51
	s_mul_hi_u32 s55, s39, s53
	s_mul_i32 s53, s39, s53
	s_add_u32 s52, s52, s53
	s_mul_hi_u32 s54, s39, s1
	s_addc_u32 s51, s51, s55
	s_addc_u32 s52, s54, 0
	s_mul_i32 s1, s39, s1
	s_add_u32 s1, s51, s1
	s_addc_u32 s51, 0, s52
	s_add_u32 s52, s0, s1
	s_cselect_b64 s[0:1], -1, 0
	s_cmp_lg_u64 s[0:1], 0
	s_addc_u32 s39, s39, s51
	s_mul_i32 s0, s16, s39
	s_mul_hi_u32 s1, s16, s52
	s_add_i32 s0, s1, s0
	s_mul_i32 s31, s31, s52
	s_add_i32 s0, s0, s31
	s_mul_i32 s16, s16, s52
	s_mul_hi_u32 s31, s39, s16
	s_mul_i32 s51, s39, s16
	s_mul_i32 s54, s52, s0
	s_mul_hi_u32 s16, s52, s16
	s_mul_hi_u32 s53, s52, s0
	s_add_u32 s16, s16, s54
	s_addc_u32 s53, 0, s53
	s_add_u32 s16, s16, s51
	s_mul_hi_u32 s1, s39, s0
	s_addc_u32 s16, s53, s31
	s_addc_u32 s1, s1, 0
	s_mul_i32 s0, s39, s0
	s_add_u32 s0, s16, s0
	s_addc_u32 s16, 0, s1
	s_add_u32 s31, s52, s0
	s_cselect_b64 s[0:1], -1, 0
	v_ashrrev_i32_e32 v3, 31, v11
	s_cmp_lg_u64 s[0:1], 0
	v_add_co_u32_e32 v5, vcc, v10, v3
	s_addc_u32 s16, s39, s16
	v_xor_b32_e32 v5, v5, v3
	v_addc_co_u32_e32 v7, vcc, v11, v3, vcc
	v_mad_u64_u32 v[11:12], s[0:1], v5, s16, 0
	v_mul_hi_u32 v9, v5, s31
	v_xor_b32_e32 v7, v7, v3
	v_mad_u64_u32 v[13:14], s[0:1], v7, s16, 0
	v_add_co_u32_e32 v9, vcc, v9, v11
	v_addc_co_u32_e32 v15, vcc, 0, v12, vcc
	v_mad_u64_u32 v[11:12], s[0:1], v7, s31, 0
	v_xor_b32_e32 v3, s38, v3
	v_add_co_u32_e32 v9, vcc, v9, v11
	v_addc_co_u32_e32 v9, vcc, v15, v12, vcc
	v_addc_co_u32_e32 v11, vcc, 0, v14, vcc
	v_add_co_u32_e32 v9, vcc, v9, v13
	v_addc_co_u32_e32 v13, vcc, 0, v11, vcc
	v_mul_lo_u32 v14, s41, v9
	v_mul_lo_u32 v15, s40, v13
	v_mad_u64_u32 v[11:12], s[0:1], s40, v9, 0
	v_add3_u32 v12, v12, v15, v14
	v_sub_u32_e32 v14, v7, v12
	v_mov_b32_e32 v15, s41
	v_sub_co_u32_e32 v5, vcc, v5, v11
	v_subb_co_u32_e64 v11, s[0:1], v14, v15, vcc
	v_subrev_co_u32_e64 v14, s[0:1], s40, v5
	v_subbrev_co_u32_e64 v11, s[0:1], 0, v11, s[0:1]
	v_cmp_le_u32_e64 s[0:1], s41, v11
	v_cndmask_b32_e64 v15, 0, -1, s[0:1]
	v_cmp_le_u32_e64 s[0:1], s40, v14
	v_cndmask_b32_e64 v14, 0, -1, s[0:1]
	v_cmp_eq_u32_e64 s[0:1], s41, v11
	v_cndmask_b32_e64 v11, v15, v14, s[0:1]
	v_add_co_u32_e64 v14, s[0:1], 2, v9
	v_subb_co_u32_e32 v7, vcc, v7, v12, vcc
	v_addc_co_u32_e64 v15, s[0:1], 0, v13, s[0:1]
	v_cmp_le_u32_e32 vcc, s41, v7
	v_add_co_u32_e64 v16, s[0:1], 1, v9
	v_cndmask_b32_e64 v12, 0, -1, vcc
	v_cmp_le_u32_e32 vcc, s40, v5
	v_addc_co_u32_e64 v17, s[0:1], 0, v13, s[0:1]
	v_cndmask_b32_e64 v5, 0, -1, vcc
	v_cmp_eq_u32_e32 vcc, s41, v7
	v_cmp_ne_u32_e64 s[0:1], 0, v11
	v_cndmask_b32_e32 v5, v12, v5, vcc
	v_cmp_ne_u32_e32 vcc, 0, v5
	v_cndmask_b32_e64 v7, v16, v14, s[0:1]
	v_cndmask_b32_e64 v11, v17, v15, s[0:1]
	v_cndmask_b32_e32 v7, v9, v7, vcc
	v_cndmask_b32_e32 v5, v13, v11, vcc
	v_xor_b32_e32 v7, v7, v3
	v_xor_b32_e32 v5, v5, v3
	v_sub_co_u32_e32 v12, vcc, v7, v3
	v_subb_co_u32_e32 v13, vcc, v5, v3, vcc
.LBB12_29:                              ;   in Loop: Header=BB12_23 Depth=2
	s_andn2_saveexec_b64 s[0:1], s[36:37]
	s_cbranch_execz .LBB12_31
; %bb.30:                               ;   in Loop: Header=BB12_23 Depth=2
	v_cvt_f32_u32_e32 v3, s50
	s_sub_i32 s16, 0, s50
	v_mov_b32_e32 v13, v2
	v_rcp_iflag_f32_e32 v3, v3
	v_mul_f32_e32 v3, 0x4f7ffffe, v3
	v_cvt_u32_f32_e32 v3, v3
	v_mul_lo_u32 v5, s16, v3
	v_mul_hi_u32 v5, v3, v5
	v_add_u32_e32 v3, v3, v5
	v_mul_hi_u32 v3, v10, v3
	v_mul_lo_u32 v5, v3, s50
	v_add_u32_e32 v7, 1, v3
	v_sub_u32_e32 v5, v10, v5
	v_subrev_u32_e32 v9, s50, v5
	v_cmp_le_u32_e32 vcc, s50, v5
	v_cndmask_b32_e32 v5, v5, v9, vcc
	v_cndmask_b32_e32 v3, v3, v7, vcc
	v_add_u32_e32 v7, 1, v3
	v_cmp_le_u32_e32 vcc, s50, v5
	v_cndmask_b32_e32 v12, v3, v7, vcc
.LBB12_31:                              ;   in Loop: Header=BB12_23 Depth=2
	s_or_b64 exec, exec, s[0:1]
	s_add_u32 s0, s4, s34
	s_addc_u32 s1, s5, s35
	s_add_i32 s16, s30, 5
	s_lshl_b64 s[34:35], s[16:17], 2
	s_add_u32 s36, s42, s34
	s_addc_u32 s37, s43, s35
	s_load_dword s52, s[36:37], 0x8
	s_load_dword s51, s[0:1], 0x6c
                                        ; implicit-def: $vgpr14_vgpr15
	s_waitcnt lgkmcnt(0)
	s_ashr_i32 s0, s52, 31
	v_or_b32_e32 v3, s0, v13
	v_cmp_ne_u64_e32 vcc, 0, v[2:3]
	s_and_saveexec_b64 s[36:37], vcc
	s_xor_b64 s[36:37], exec, s[36:37]
	s_cbranch_execz .LBB12_33
; %bb.32:                               ;   in Loop: Header=BB12_23 Depth=2
	s_ashr_i32 s38, s0, 31
	s_add_u32 s40, s52, s38
	s_mov_b32 s39, s38
	s_addc_u32 s41, s0, s38
	s_xor_b64 s[40:41], s[40:41], s[38:39]
	v_cvt_f32_u32_e32 v3, s40
	v_cvt_f32_u32_e32 v5, s41
	s_sub_u32 s16, 0, s40
	s_subb_u32 s31, 0, s41
	v_mac_f32_e32 v3, 0x4f800000, v5
	v_rcp_f32_e32 v3, v3
	v_mul_f32_e32 v3, 0x5f7ffffc, v3
	v_mul_f32_e32 v5, 0x2f800000, v3
	v_trunc_f32_e32 v5, v5
	v_mac_f32_e32 v3, 0xcf800000, v5
	v_cvt_u32_f32_e32 v5, v5
	v_cvt_u32_f32_e32 v3, v3
	v_readfirstlane_b32 s39, v5
	v_readfirstlane_b32 s0, v3
	s_mul_i32 s1, s16, s39
	s_mul_hi_u32 s54, s16, s0
	s_mul_i32 s53, s31, s0
	s_add_i32 s1, s54, s1
	s_add_i32 s1, s1, s53
	s_mul_i32 s55, s16, s0
	s_mul_i32 s54, s0, s1
	s_mul_hi_u32 s56, s0, s55
	s_mul_hi_u32 s53, s0, s1
	s_add_u32 s54, s56, s54
	s_addc_u32 s53, 0, s53
	s_mul_hi_u32 s57, s39, s55
	s_mul_i32 s55, s39, s55
	s_add_u32 s54, s54, s55
	s_mul_hi_u32 s56, s39, s1
	s_addc_u32 s53, s53, s57
	s_addc_u32 s54, s56, 0
	s_mul_i32 s1, s39, s1
	s_add_u32 s1, s53, s1
	s_addc_u32 s53, 0, s54
	s_add_u32 s54, s0, s1
	s_cselect_b64 s[0:1], -1, 0
	s_cmp_lg_u64 s[0:1], 0
	s_addc_u32 s39, s39, s53
	s_mul_i32 s0, s16, s39
	s_mul_hi_u32 s1, s16, s54
	s_add_i32 s0, s1, s0
	s_mul_i32 s31, s31, s54
	s_add_i32 s0, s0, s31
	s_mul_i32 s16, s16, s54
	s_mul_hi_u32 s31, s39, s16
	s_mul_i32 s53, s39, s16
	s_mul_i32 s56, s54, s0
	s_mul_hi_u32 s16, s54, s16
	s_mul_hi_u32 s55, s54, s0
	s_add_u32 s16, s16, s56
	s_addc_u32 s55, 0, s55
	s_add_u32 s16, s16, s53
	s_mul_hi_u32 s1, s39, s0
	s_addc_u32 s16, s55, s31
	s_addc_u32 s1, s1, 0
	s_mul_i32 s0, s39, s0
	s_add_u32 s0, s16, s0
	s_addc_u32 s16, 0, s1
	s_add_u32 s31, s54, s0
	s_cselect_b64 s[0:1], -1, 0
	v_ashrrev_i32_e32 v3, 31, v13
	s_cmp_lg_u64 s[0:1], 0
	v_add_co_u32_e32 v5, vcc, v12, v3
	s_addc_u32 s16, s39, s16
	v_xor_b32_e32 v5, v5, v3
	v_addc_co_u32_e32 v7, vcc, v13, v3, vcc
	v_mad_u64_u32 v[13:14], s[0:1], v5, s16, 0
	v_mul_hi_u32 v9, v5, s31
	v_xor_b32_e32 v7, v7, v3
	v_mad_u64_u32 v[15:16], s[0:1], v7, s16, 0
	v_add_co_u32_e32 v9, vcc, v9, v13
	v_addc_co_u32_e32 v11, vcc, 0, v14, vcc
	v_mad_u64_u32 v[13:14], s[0:1], v7, s31, 0
	v_xor_b32_e32 v3, s38, v3
	v_add_co_u32_e32 v9, vcc, v9, v13
	v_addc_co_u32_e32 v9, vcc, v11, v14, vcc
	v_addc_co_u32_e32 v11, vcc, 0, v16, vcc
	v_add_co_u32_e32 v9, vcc, v9, v15
	v_addc_co_u32_e32 v11, vcc, 0, v11, vcc
	v_mul_lo_u32 v15, s41, v9
	v_mul_lo_u32 v16, s40, v11
	v_mad_u64_u32 v[13:14], s[0:1], s40, v9, 0
	v_add3_u32 v14, v14, v16, v15
	v_sub_u32_e32 v15, v7, v14
	v_mov_b32_e32 v16, s41
	v_sub_co_u32_e32 v5, vcc, v5, v13
	v_subb_co_u32_e64 v13, s[0:1], v15, v16, vcc
	v_subrev_co_u32_e64 v15, s[0:1], s40, v5
	v_subbrev_co_u32_e64 v13, s[0:1], 0, v13, s[0:1]
	v_cmp_le_u32_e64 s[0:1], s41, v13
	v_cndmask_b32_e64 v16, 0, -1, s[0:1]
	v_cmp_le_u32_e64 s[0:1], s40, v15
	v_cndmask_b32_e64 v15, 0, -1, s[0:1]
	v_cmp_eq_u32_e64 s[0:1], s41, v13
	v_cndmask_b32_e64 v13, v16, v15, s[0:1]
	v_add_co_u32_e64 v15, s[0:1], 2, v9
	v_subb_co_u32_e32 v7, vcc, v7, v14, vcc
	v_addc_co_u32_e64 v16, s[0:1], 0, v11, s[0:1]
	v_cmp_le_u32_e32 vcc, s41, v7
	v_add_co_u32_e64 v17, s[0:1], 1, v9
	v_cndmask_b32_e64 v14, 0, -1, vcc
	v_cmp_le_u32_e32 vcc, s40, v5
	v_addc_co_u32_e64 v18, s[0:1], 0, v11, s[0:1]
	v_cndmask_b32_e64 v5, 0, -1, vcc
	v_cmp_eq_u32_e32 vcc, s41, v7
	v_cmp_ne_u32_e64 s[0:1], 0, v13
	v_cndmask_b32_e32 v5, v14, v5, vcc
	v_cmp_ne_u32_e32 vcc, 0, v5
	v_cndmask_b32_e64 v7, v17, v15, s[0:1]
	v_cndmask_b32_e64 v13, v18, v16, s[0:1]
	v_cndmask_b32_e32 v7, v9, v7, vcc
	v_cndmask_b32_e32 v5, v11, v13, vcc
	v_xor_b32_e32 v7, v7, v3
	v_xor_b32_e32 v5, v5, v3
	v_sub_co_u32_e32 v14, vcc, v7, v3
	v_subb_co_u32_e32 v15, vcc, v5, v3, vcc
.LBB12_33:                              ;   in Loop: Header=BB12_23 Depth=2
	s_andn2_saveexec_b64 s[0:1], s[36:37]
	s_cbranch_execz .LBB12_35
; %bb.34:                               ;   in Loop: Header=BB12_23 Depth=2
	v_cvt_f32_u32_e32 v3, s52
	s_sub_i32 s16, 0, s52
	v_mov_b32_e32 v15, v2
	v_rcp_iflag_f32_e32 v3, v3
	v_mul_f32_e32 v3, 0x4f7ffffe, v3
	v_cvt_u32_f32_e32 v3, v3
	v_mul_lo_u32 v5, s16, v3
	v_mul_hi_u32 v5, v3, v5
	v_add_u32_e32 v3, v3, v5
	v_mul_hi_u32 v3, v12, v3
	v_mul_lo_u32 v5, v3, s52
	v_add_u32_e32 v7, 1, v3
	v_sub_u32_e32 v5, v12, v5
	v_subrev_u32_e32 v9, s52, v5
	v_cmp_le_u32_e32 vcc, s52, v5
	v_cndmask_b32_e32 v5, v5, v9, vcc
	v_cndmask_b32_e32 v3, v3, v7, vcc
	v_add_u32_e32 v7, 1, v3
	v_cmp_le_u32_e32 vcc, s52, v5
	v_cndmask_b32_e32 v14, v3, v7, vcc
.LBB12_35:                              ;   in Loop: Header=BB12_23 Depth=2
	s_or_b64 exec, exec, s[0:1]
	s_add_u32 s0, s4, s34
	s_addc_u32 s1, s5, s35
	s_add_i32 s16, s30, 4
	s_lshl_b64 s[34:35], s[16:17], 2
	s_add_u32 s36, s42, s34
	s_addc_u32 s37, s43, s35
	s_load_dword s54, s[36:37], 0x8
	s_load_dword s53, s[0:1], 0x6c
                                        ; implicit-def: $vgpr16_vgpr17
	s_waitcnt lgkmcnt(0)
	s_ashr_i32 s0, s54, 31
	v_or_b32_e32 v3, s0, v15
	v_cmp_ne_u64_e32 vcc, 0, v[2:3]
	s_and_saveexec_b64 s[36:37], vcc
	s_xor_b64 s[36:37], exec, s[36:37]
	s_cbranch_execz .LBB12_37
; %bb.36:                               ;   in Loop: Header=BB12_23 Depth=2
	s_ashr_i32 s38, s0, 31
	s_add_u32 s40, s54, s38
	s_mov_b32 s39, s38
	s_addc_u32 s41, s0, s38
	s_xor_b64 s[40:41], s[40:41], s[38:39]
	v_cvt_f32_u32_e32 v3, s40
	v_cvt_f32_u32_e32 v5, s41
	s_sub_u32 s16, 0, s40
	s_subb_u32 s31, 0, s41
	v_mac_f32_e32 v3, 0x4f800000, v5
	v_rcp_f32_e32 v3, v3
	v_mul_f32_e32 v3, 0x5f7ffffc, v3
	v_mul_f32_e32 v5, 0x2f800000, v3
	v_trunc_f32_e32 v5, v5
	v_mac_f32_e32 v3, 0xcf800000, v5
	v_cvt_u32_f32_e32 v5, v5
	v_cvt_u32_f32_e32 v3, v3
	v_readfirstlane_b32 s39, v5
	v_readfirstlane_b32 s0, v3
	s_mul_i32 s1, s16, s39
	s_mul_hi_u32 s56, s16, s0
	s_mul_i32 s55, s31, s0
	s_add_i32 s1, s56, s1
	s_add_i32 s1, s1, s55
	s_mul_i32 s57, s16, s0
	s_mul_i32 s56, s0, s1
	s_mul_hi_u32 s58, s0, s57
	s_mul_hi_u32 s55, s0, s1
	s_add_u32 s56, s58, s56
	s_addc_u32 s55, 0, s55
	s_mul_hi_u32 s59, s39, s57
	s_mul_i32 s57, s39, s57
	s_add_u32 s56, s56, s57
	s_mul_hi_u32 s58, s39, s1
	s_addc_u32 s55, s55, s59
	s_addc_u32 s56, s58, 0
	s_mul_i32 s1, s39, s1
	s_add_u32 s1, s55, s1
	s_addc_u32 s55, 0, s56
	s_add_u32 s56, s0, s1
	s_cselect_b64 s[0:1], -1, 0
	s_cmp_lg_u64 s[0:1], 0
	s_addc_u32 s39, s39, s55
	s_mul_i32 s0, s16, s39
	s_mul_hi_u32 s1, s16, s56
	s_add_i32 s0, s1, s0
	s_mul_i32 s31, s31, s56
	s_add_i32 s0, s0, s31
	s_mul_i32 s16, s16, s56
	s_mul_hi_u32 s31, s39, s16
	s_mul_i32 s55, s39, s16
	s_mul_i32 s58, s56, s0
	s_mul_hi_u32 s16, s56, s16
	s_mul_hi_u32 s57, s56, s0
	s_add_u32 s16, s16, s58
	s_addc_u32 s57, 0, s57
	s_add_u32 s16, s16, s55
	s_mul_hi_u32 s1, s39, s0
	s_addc_u32 s16, s57, s31
	s_addc_u32 s1, s1, 0
	s_mul_i32 s0, s39, s0
	s_add_u32 s0, s16, s0
	s_addc_u32 s16, 0, s1
	s_add_u32 s31, s56, s0
	s_cselect_b64 s[0:1], -1, 0
	v_ashrrev_i32_e32 v3, 31, v15
	s_cmp_lg_u64 s[0:1], 0
	v_add_co_u32_e32 v5, vcc, v14, v3
	s_addc_u32 s16, s39, s16
	v_xor_b32_e32 v5, v5, v3
	v_addc_co_u32_e32 v7, vcc, v15, v3, vcc
	v_mad_u64_u32 v[15:16], s[0:1], v5, s16, 0
	v_mul_hi_u32 v9, v5, s31
	v_xor_b32_e32 v7, v7, v3
	v_mad_u64_u32 v[17:18], s[0:1], v7, s16, 0
	v_add_co_u32_e32 v9, vcc, v9, v15
	v_addc_co_u32_e32 v11, vcc, 0, v16, vcc
	v_mad_u64_u32 v[15:16], s[0:1], v7, s31, 0
	v_xor_b32_e32 v3, s38, v3
	v_add_co_u32_e32 v9, vcc, v9, v15
	v_addc_co_u32_e32 v9, vcc, v11, v16, vcc
	v_addc_co_u32_e32 v11, vcc, 0, v18, vcc
	v_add_co_u32_e32 v9, vcc, v9, v17
	v_addc_co_u32_e32 v11, vcc, 0, v11, vcc
	v_mul_lo_u32 v13, s41, v9
	v_mul_lo_u32 v17, s40, v11
	v_mad_u64_u32 v[15:16], s[0:1], s40, v9, 0
	v_add3_u32 v13, v16, v17, v13
	v_sub_u32_e32 v16, v7, v13
	v_mov_b32_e32 v17, s41
	v_sub_co_u32_e32 v5, vcc, v5, v15
	v_subb_co_u32_e64 v15, s[0:1], v16, v17, vcc
	v_subrev_co_u32_e64 v16, s[0:1], s40, v5
	v_subbrev_co_u32_e64 v15, s[0:1], 0, v15, s[0:1]
	v_cmp_le_u32_e64 s[0:1], s41, v15
	v_cndmask_b32_e64 v17, 0, -1, s[0:1]
	v_cmp_le_u32_e64 s[0:1], s40, v16
	v_cndmask_b32_e64 v16, 0, -1, s[0:1]
	v_cmp_eq_u32_e64 s[0:1], s41, v15
	v_cndmask_b32_e64 v15, v17, v16, s[0:1]
	v_add_co_u32_e64 v16, s[0:1], 2, v9
	v_subb_co_u32_e32 v7, vcc, v7, v13, vcc
	v_addc_co_u32_e64 v17, s[0:1], 0, v11, s[0:1]
	v_cmp_le_u32_e32 vcc, s41, v7
	v_add_co_u32_e64 v18, s[0:1], 1, v9
	v_cndmask_b32_e64 v13, 0, -1, vcc
	v_cmp_le_u32_e32 vcc, s40, v5
	v_addc_co_u32_e64 v19, s[0:1], 0, v11, s[0:1]
	v_cndmask_b32_e64 v5, 0, -1, vcc
	v_cmp_eq_u32_e32 vcc, s41, v7
	v_cmp_ne_u32_e64 s[0:1], 0, v15
	v_cndmask_b32_e32 v5, v13, v5, vcc
	v_cmp_ne_u32_e32 vcc, 0, v5
	v_cndmask_b32_e64 v7, v18, v16, s[0:1]
	v_cndmask_b32_e64 v15, v19, v17, s[0:1]
	v_cndmask_b32_e32 v7, v9, v7, vcc
	v_cndmask_b32_e32 v5, v11, v15, vcc
	v_xor_b32_e32 v7, v7, v3
	v_xor_b32_e32 v5, v5, v3
	v_sub_co_u32_e32 v16, vcc, v7, v3
	v_subb_co_u32_e32 v17, vcc, v5, v3, vcc
.LBB12_37:                              ;   in Loop: Header=BB12_23 Depth=2
	s_andn2_saveexec_b64 s[0:1], s[36:37]
	s_cbranch_execz .LBB12_39
; %bb.38:                               ;   in Loop: Header=BB12_23 Depth=2
	v_cvt_f32_u32_e32 v3, s54
	s_sub_i32 s16, 0, s54
	v_mov_b32_e32 v17, v2
	v_rcp_iflag_f32_e32 v3, v3
	v_mul_f32_e32 v3, 0x4f7ffffe, v3
	v_cvt_u32_f32_e32 v3, v3
	v_mul_lo_u32 v5, s16, v3
	v_mul_hi_u32 v5, v3, v5
	v_add_u32_e32 v3, v3, v5
	v_mul_hi_u32 v3, v14, v3
	v_mul_lo_u32 v5, v3, s54
	v_add_u32_e32 v7, 1, v3
	v_sub_u32_e32 v5, v14, v5
	v_subrev_u32_e32 v9, s54, v5
	v_cmp_le_u32_e32 vcc, s54, v5
	v_cndmask_b32_e32 v5, v5, v9, vcc
	v_cndmask_b32_e32 v3, v3, v7, vcc
	v_add_u32_e32 v7, 1, v3
	v_cmp_le_u32_e32 vcc, s54, v5
	v_cndmask_b32_e32 v16, v3, v7, vcc
.LBB12_39:                              ;   in Loop: Header=BB12_23 Depth=2
	s_or_b64 exec, exec, s[0:1]
	s_add_u32 s0, s4, s34
	s_addc_u32 s1, s5, s35
	s_add_i32 s16, s30, 3
	s_lshl_b64 s[34:35], s[16:17], 2
	s_add_u32 s36, s42, s34
	s_addc_u32 s37, s43, s35
	s_load_dword s55, s[36:37], 0x8
	s_load_dword s56, s[0:1], 0x6c
                                        ; implicit-def: $vgpr18_vgpr19
	s_waitcnt lgkmcnt(0)
	s_ashr_i32 s0, s55, 31
	v_or_b32_e32 v3, s0, v17
	v_cmp_ne_u64_e32 vcc, 0, v[2:3]
	s_and_saveexec_b64 s[36:37], vcc
	s_xor_b64 s[36:37], exec, s[36:37]
	s_cbranch_execz .LBB12_41
; %bb.40:                               ;   in Loop: Header=BB12_23 Depth=2
	s_ashr_i32 s38, s0, 31
	s_add_u32 s40, s55, s38
	s_mov_b32 s39, s38
	s_addc_u32 s41, s0, s38
	s_xor_b64 s[40:41], s[40:41], s[38:39]
	v_cvt_f32_u32_e32 v3, s40
	v_cvt_f32_u32_e32 v5, s41
	s_sub_u32 s16, 0, s40
	s_subb_u32 s31, 0, s41
	v_mac_f32_e32 v3, 0x4f800000, v5
	v_rcp_f32_e32 v3, v3
	v_mul_f32_e32 v3, 0x5f7ffffc, v3
	v_mul_f32_e32 v5, 0x2f800000, v3
	v_trunc_f32_e32 v5, v5
	v_mac_f32_e32 v3, 0xcf800000, v5
	v_cvt_u32_f32_e32 v5, v5
	v_cvt_u32_f32_e32 v3, v3
	v_readfirstlane_b32 s39, v5
	v_readfirstlane_b32 s0, v3
	s_mul_i32 s1, s16, s39
	s_mul_hi_u32 s58, s16, s0
	s_mul_i32 s57, s31, s0
	s_add_i32 s1, s58, s1
	s_add_i32 s1, s1, s57
	s_mul_i32 s59, s16, s0
	s_mul_i32 s58, s0, s1
	s_mul_hi_u32 s60, s0, s59
	s_mul_hi_u32 s57, s0, s1
	s_add_u32 s58, s60, s58
	s_addc_u32 s57, 0, s57
	s_mul_hi_u32 s61, s39, s59
	s_mul_i32 s59, s39, s59
	s_add_u32 s58, s58, s59
	s_mul_hi_u32 s60, s39, s1
	s_addc_u32 s57, s57, s61
	s_addc_u32 s58, s60, 0
	s_mul_i32 s1, s39, s1
	s_add_u32 s1, s57, s1
	s_addc_u32 s57, 0, s58
	s_add_u32 s58, s0, s1
	s_cselect_b64 s[0:1], -1, 0
	s_cmp_lg_u64 s[0:1], 0
	s_addc_u32 s39, s39, s57
	s_mul_i32 s0, s16, s39
	s_mul_hi_u32 s1, s16, s58
	s_add_i32 s0, s1, s0
	s_mul_i32 s31, s31, s58
	s_add_i32 s0, s0, s31
	s_mul_i32 s16, s16, s58
	s_mul_hi_u32 s31, s39, s16
	s_mul_i32 s57, s39, s16
	s_mul_i32 s60, s58, s0
	s_mul_hi_u32 s16, s58, s16
	s_mul_hi_u32 s59, s58, s0
	s_add_u32 s16, s16, s60
	s_addc_u32 s59, 0, s59
	s_add_u32 s16, s16, s57
	s_mul_hi_u32 s1, s39, s0
	s_addc_u32 s16, s59, s31
	s_addc_u32 s1, s1, 0
	s_mul_i32 s0, s39, s0
	s_add_u32 s0, s16, s0
	s_addc_u32 s16, 0, s1
	s_add_u32 s31, s58, s0
	s_cselect_b64 s[0:1], -1, 0
	v_ashrrev_i32_e32 v3, 31, v17
	s_cmp_lg_u64 s[0:1], 0
	v_add_co_u32_e32 v5, vcc, v16, v3
	s_addc_u32 s16, s39, s16
	v_xor_b32_e32 v5, v5, v3
	v_addc_co_u32_e32 v7, vcc, v17, v3, vcc
	v_mad_u64_u32 v[17:18], s[0:1], v5, s16, 0
	v_mul_hi_u32 v9, v5, s31
	v_xor_b32_e32 v7, v7, v3
	v_mad_u64_u32 v[19:20], s[0:1], v7, s16, 0
	v_add_co_u32_e32 v9, vcc, v9, v17
	v_addc_co_u32_e32 v11, vcc, 0, v18, vcc
	v_mad_u64_u32 v[17:18], s[0:1], v7, s31, 0
	v_xor_b32_e32 v3, s38, v3
	v_add_co_u32_e32 v9, vcc, v9, v17
	v_addc_co_u32_e32 v9, vcc, v11, v18, vcc
	v_addc_co_u32_e32 v11, vcc, 0, v20, vcc
	v_add_co_u32_e32 v9, vcc, v9, v19
	v_addc_co_u32_e32 v11, vcc, 0, v11, vcc
	v_mul_lo_u32 v13, s41, v9
	v_mul_lo_u32 v15, s40, v11
	v_mad_u64_u32 v[17:18], s[0:1], s40, v9, 0
	v_add3_u32 v13, v18, v15, v13
	v_sub_u32_e32 v15, v7, v13
	v_mov_b32_e32 v18, s41
	v_sub_co_u32_e32 v5, vcc, v5, v17
	v_subb_co_u32_e64 v15, s[0:1], v15, v18, vcc
	v_subrev_co_u32_e64 v17, s[0:1], s40, v5
	v_subbrev_co_u32_e64 v15, s[0:1], 0, v15, s[0:1]
	v_cmp_le_u32_e64 s[0:1], s41, v15
	v_cndmask_b32_e64 v18, 0, -1, s[0:1]
	v_cmp_le_u32_e64 s[0:1], s40, v17
	v_cndmask_b32_e64 v17, 0, -1, s[0:1]
	v_cmp_eq_u32_e64 s[0:1], s41, v15
	v_cndmask_b32_e64 v15, v18, v17, s[0:1]
	v_add_co_u32_e64 v17, s[0:1], 2, v9
	v_subb_co_u32_e32 v7, vcc, v7, v13, vcc
	v_addc_co_u32_e64 v18, s[0:1], 0, v11, s[0:1]
	v_cmp_le_u32_e32 vcc, s41, v7
	v_add_co_u32_e64 v19, s[0:1], 1, v9
	v_cndmask_b32_e64 v13, 0, -1, vcc
	v_cmp_le_u32_e32 vcc, s40, v5
	v_addc_co_u32_e64 v20, s[0:1], 0, v11, s[0:1]
	v_cndmask_b32_e64 v5, 0, -1, vcc
	v_cmp_eq_u32_e32 vcc, s41, v7
	v_cmp_ne_u32_e64 s[0:1], 0, v15
	v_cndmask_b32_e32 v5, v13, v5, vcc
	v_cmp_ne_u32_e32 vcc, 0, v5
	v_cndmask_b32_e64 v7, v19, v17, s[0:1]
	v_cndmask_b32_e64 v15, v20, v18, s[0:1]
	v_cndmask_b32_e32 v7, v9, v7, vcc
	v_cndmask_b32_e32 v5, v11, v15, vcc
	v_xor_b32_e32 v7, v7, v3
	v_xor_b32_e32 v5, v5, v3
	v_sub_co_u32_e32 v18, vcc, v7, v3
	v_subb_co_u32_e32 v19, vcc, v5, v3, vcc
.LBB12_41:                              ;   in Loop: Header=BB12_23 Depth=2
	s_andn2_saveexec_b64 s[0:1], s[36:37]
	s_cbranch_execz .LBB12_43
; %bb.42:                               ;   in Loop: Header=BB12_23 Depth=2
	v_cvt_f32_u32_e32 v3, s55
	s_sub_i32 s16, 0, s55
	v_mov_b32_e32 v19, v2
	v_rcp_iflag_f32_e32 v3, v3
	v_mul_f32_e32 v3, 0x4f7ffffe, v3
	v_cvt_u32_f32_e32 v3, v3
	v_mul_lo_u32 v5, s16, v3
	v_mul_hi_u32 v5, v3, v5
	v_add_u32_e32 v3, v3, v5
	v_mul_hi_u32 v3, v16, v3
	v_mul_lo_u32 v5, v3, s55
	v_add_u32_e32 v7, 1, v3
	v_sub_u32_e32 v5, v16, v5
	v_subrev_u32_e32 v9, s55, v5
	v_cmp_le_u32_e32 vcc, s55, v5
	v_cndmask_b32_e32 v5, v5, v9, vcc
	v_cndmask_b32_e32 v3, v3, v7, vcc
	v_add_u32_e32 v7, 1, v3
	v_cmp_le_u32_e32 vcc, s55, v5
	v_cndmask_b32_e32 v18, v3, v7, vcc
.LBB12_43:                              ;   in Loop: Header=BB12_23 Depth=2
	s_or_b64 exec, exec, s[0:1]
	s_add_u32 s0, s4, s34
	s_addc_u32 s1, s5, s35
	s_add_i32 s16, s30, 2
	s_lshl_b64 s[34:35], s[16:17], 2
	s_add_u32 s36, s42, s34
	s_addc_u32 s37, s43, s35
	s_load_dword s58, s[36:37], 0x8
	s_load_dword s57, s[0:1], 0x6c
                                        ; implicit-def: $vgpr20_vgpr21
	s_waitcnt lgkmcnt(0)
	s_ashr_i32 s0, s58, 31
	v_or_b32_e32 v3, s0, v19
	v_cmp_ne_u64_e32 vcc, 0, v[2:3]
	s_and_saveexec_b64 s[36:37], vcc
	s_xor_b64 s[36:37], exec, s[36:37]
	s_cbranch_execz .LBB12_45
; %bb.44:                               ;   in Loop: Header=BB12_23 Depth=2
	s_ashr_i32 s38, s0, 31
	s_add_u32 s40, s58, s38
	s_mov_b32 s39, s38
	s_addc_u32 s41, s0, s38
	s_xor_b64 s[40:41], s[40:41], s[38:39]
	v_cvt_f32_u32_e32 v3, s40
	v_cvt_f32_u32_e32 v5, s41
	s_sub_u32 s16, 0, s40
	s_subb_u32 s31, 0, s41
	v_mov_b32_e32 v17, s41
	v_mac_f32_e32 v3, 0x4f800000, v5
	v_rcp_f32_e32 v3, v3
	v_mul_f32_e32 v3, 0x5f7ffffc, v3
	v_mul_f32_e32 v5, 0x2f800000, v3
	v_trunc_f32_e32 v5, v5
	v_mac_f32_e32 v3, 0xcf800000, v5
	v_cvt_u32_f32_e32 v5, v5
	v_cvt_u32_f32_e32 v3, v3
	v_readfirstlane_b32 s39, v5
	v_readfirstlane_b32 s0, v3
	s_mul_i32 s1, s16, s39
	s_mul_hi_u32 s60, s16, s0
	s_mul_i32 s59, s31, s0
	s_add_i32 s1, s60, s1
	s_add_i32 s1, s1, s59
	s_mul_i32 s61, s16, s0
	s_mul_i32 s60, s0, s1
	s_mul_hi_u32 s62, s0, s61
	s_mul_hi_u32 s59, s0, s1
	s_add_u32 s60, s62, s60
	s_addc_u32 s59, 0, s59
	s_mul_hi_u32 s63, s39, s61
	s_mul_i32 s61, s39, s61
	s_add_u32 s60, s60, s61
	s_mul_hi_u32 s62, s39, s1
	s_addc_u32 s59, s59, s63
	s_addc_u32 s60, s62, 0
	s_mul_i32 s1, s39, s1
	s_add_u32 s1, s59, s1
	s_addc_u32 s59, 0, s60
	s_add_u32 s60, s0, s1
	s_cselect_b64 s[0:1], -1, 0
	s_cmp_lg_u64 s[0:1], 0
	s_addc_u32 s39, s39, s59
	s_mul_i32 s0, s16, s39
	s_mul_hi_u32 s1, s16, s60
	s_add_i32 s0, s1, s0
	s_mul_i32 s31, s31, s60
	s_add_i32 s0, s0, s31
	s_mul_i32 s16, s16, s60
	s_mul_hi_u32 s31, s39, s16
	s_mul_i32 s59, s39, s16
	s_mul_i32 s62, s60, s0
	s_mul_hi_u32 s16, s60, s16
	s_mul_hi_u32 s61, s60, s0
	s_add_u32 s16, s16, s62
	s_addc_u32 s61, 0, s61
	s_add_u32 s16, s16, s59
	s_mul_hi_u32 s1, s39, s0
	s_addc_u32 s16, s61, s31
	s_addc_u32 s1, s1, 0
	s_mul_i32 s0, s39, s0
	s_add_u32 s0, s16, s0
	s_addc_u32 s16, 0, s1
	s_add_u32 s31, s60, s0
	s_cselect_b64 s[0:1], -1, 0
	v_ashrrev_i32_e32 v3, 31, v19
	s_cmp_lg_u64 s[0:1], 0
	v_add_co_u32_e32 v5, vcc, v18, v3
	s_addc_u32 s16, s39, s16
	v_xor_b32_e32 v5, v5, v3
	v_addc_co_u32_e32 v7, vcc, v19, v3, vcc
	v_mad_u64_u32 v[19:20], s[0:1], v5, s16, 0
	v_mul_hi_u32 v9, v5, s31
	v_xor_b32_e32 v7, v7, v3
	v_mad_u64_u32 v[21:22], s[0:1], v7, s16, 0
	v_add_co_u32_e32 v9, vcc, v9, v19
	v_addc_co_u32_e32 v11, vcc, 0, v20, vcc
	v_mad_u64_u32 v[19:20], s[0:1], v7, s31, 0
	v_xor_b32_e32 v3, s38, v3
	v_add_co_u32_e32 v9, vcc, v9, v19
	v_addc_co_u32_e32 v9, vcc, v11, v20, vcc
	v_addc_co_u32_e32 v11, vcc, 0, v22, vcc
	v_add_co_u32_e32 v9, vcc, v9, v21
	v_addc_co_u32_e32 v11, vcc, 0, v11, vcc
	v_mul_lo_u32 v13, s41, v9
	v_mul_lo_u32 v15, s40, v11
	v_mad_u64_u32 v[19:20], s[0:1], s40, v9, 0
	v_add3_u32 v13, v20, v15, v13
	v_sub_u32_e32 v15, v7, v13
	v_sub_co_u32_e32 v5, vcc, v5, v19
	v_subb_co_u32_e64 v15, s[0:1], v15, v17, vcc
	v_subrev_co_u32_e64 v17, s[0:1], s40, v5
	v_subbrev_co_u32_e64 v15, s[0:1], 0, v15, s[0:1]
	v_cmp_le_u32_e64 s[0:1], s41, v15
	v_cndmask_b32_e64 v19, 0, -1, s[0:1]
	v_cmp_le_u32_e64 s[0:1], s40, v17
	v_cndmask_b32_e64 v17, 0, -1, s[0:1]
	v_cmp_eq_u32_e64 s[0:1], s41, v15
	v_cndmask_b32_e64 v15, v19, v17, s[0:1]
	v_add_co_u32_e64 v17, s[0:1], 2, v9
	v_subb_co_u32_e32 v7, vcc, v7, v13, vcc
	v_addc_co_u32_e64 v19, s[0:1], 0, v11, s[0:1]
	v_cmp_le_u32_e32 vcc, s41, v7
	v_add_co_u32_e64 v20, s[0:1], 1, v9
	v_cndmask_b32_e64 v13, 0, -1, vcc
	v_cmp_le_u32_e32 vcc, s40, v5
	v_addc_co_u32_e64 v21, s[0:1], 0, v11, s[0:1]
	v_cndmask_b32_e64 v5, 0, -1, vcc
	v_cmp_eq_u32_e32 vcc, s41, v7
	v_cmp_ne_u32_e64 s[0:1], 0, v15
	v_cndmask_b32_e32 v5, v13, v5, vcc
	v_cmp_ne_u32_e32 vcc, 0, v5
	v_cndmask_b32_e64 v7, v20, v17, s[0:1]
	v_cndmask_b32_e64 v15, v21, v19, s[0:1]
	v_cndmask_b32_e32 v7, v9, v7, vcc
	v_cndmask_b32_e32 v5, v11, v15, vcc
	v_xor_b32_e32 v7, v7, v3
	v_xor_b32_e32 v5, v5, v3
	v_sub_co_u32_e32 v20, vcc, v7, v3
	v_subb_co_u32_e32 v21, vcc, v5, v3, vcc
.LBB12_45:                              ;   in Loop: Header=BB12_23 Depth=2
	s_andn2_saveexec_b64 s[0:1], s[36:37]
	s_cbranch_execz .LBB12_47
; %bb.46:                               ;   in Loop: Header=BB12_23 Depth=2
	v_cvt_f32_u32_e32 v3, s58
	s_sub_i32 s16, 0, s58
	v_mov_b32_e32 v21, v2
	v_rcp_iflag_f32_e32 v3, v3
	v_mul_f32_e32 v3, 0x4f7ffffe, v3
	v_cvt_u32_f32_e32 v3, v3
	v_mul_lo_u32 v5, s16, v3
	v_mul_hi_u32 v5, v3, v5
	v_add_u32_e32 v3, v3, v5
	v_mul_hi_u32 v3, v18, v3
	v_mul_lo_u32 v5, v3, s58
	v_add_u32_e32 v7, 1, v3
	v_sub_u32_e32 v5, v18, v5
	v_subrev_u32_e32 v9, s58, v5
	v_cmp_le_u32_e32 vcc, s58, v5
	v_cndmask_b32_e32 v5, v5, v9, vcc
	v_cndmask_b32_e32 v3, v3, v7, vcc
	v_add_u32_e32 v7, 1, v3
	v_cmp_le_u32_e32 vcc, s58, v5
	v_cndmask_b32_e32 v20, v3, v7, vcc
.LBB12_47:                              ;   in Loop: Header=BB12_23 Depth=2
	s_or_b64 exec, exec, s[0:1]
	s_add_u32 s0, s4, s34
	s_addc_u32 s1, s5, s35
	s_add_i32 s16, s30, 1
	s_lshl_b64 s[34:35], s[16:17], 2
	s_add_u32 s36, s42, s34
	s_addc_u32 s37, s43, s35
	s_load_dword s59, s[36:37], 0x8
	s_load_dword s16, s[0:1], 0x6c
                                        ; implicit-def: $vgpr22_vgpr23
	s_waitcnt lgkmcnt(0)
	s_ashr_i32 s0, s59, 31
	v_or_b32_e32 v3, s0, v21
	v_cmp_ne_u64_e32 vcc, 0, v[2:3]
	s_and_saveexec_b64 s[36:37], vcc
	s_xor_b64 s[36:37], exec, s[36:37]
	s_cbranch_execz .LBB12_49
; %bb.48:                               ;   in Loop: Header=BB12_23 Depth=2
	s_ashr_i32 s38, s0, 31
	s_add_u32 s40, s59, s38
	s_mov_b32 s39, s38
	s_addc_u32 s41, s0, s38
	s_xor_b64 s[40:41], s[40:41], s[38:39]
	v_cvt_f32_u32_e32 v3, s40
	v_cvt_f32_u32_e32 v5, s41
	s_sub_u32 s31, 0, s40
	s_subb_u32 s39, 0, s41
	v_mov_b32_e32 v17, s41
	v_mac_f32_e32 v3, 0x4f800000, v5
	v_rcp_f32_e32 v3, v3
	v_mul_f32_e32 v3, 0x5f7ffffc, v3
	v_mul_f32_e32 v5, 0x2f800000, v3
	v_trunc_f32_e32 v5, v5
	v_mac_f32_e32 v3, 0xcf800000, v5
	v_cvt_u32_f32_e32 v5, v5
	v_cvt_u32_f32_e32 v3, v3
	v_readfirstlane_b32 s60, v5
	v_readfirstlane_b32 s0, v3
	s_mul_i32 s1, s31, s60
	s_mul_hi_u32 s62, s31, s0
	s_mul_i32 s61, s39, s0
	s_add_i32 s1, s62, s1
	s_add_i32 s1, s1, s61
	s_mul_i32 s63, s31, s0
	s_mul_i32 s62, s0, s1
	s_mul_hi_u32 s64, s0, s63
	s_mul_hi_u32 s61, s0, s1
	s_add_u32 s62, s64, s62
	s_addc_u32 s61, 0, s61
	s_mul_hi_u32 s65, s60, s63
	s_mul_i32 s63, s60, s63
	s_add_u32 s62, s62, s63
	s_mul_hi_u32 s64, s60, s1
	s_addc_u32 s61, s61, s65
	s_addc_u32 s62, s64, 0
	s_mul_i32 s1, s60, s1
	s_add_u32 s1, s61, s1
	s_addc_u32 s61, 0, s62
	s_add_u32 s62, s0, s1
	s_cselect_b64 s[0:1], -1, 0
	s_cmp_lg_u64 s[0:1], 0
	s_addc_u32 s60, s60, s61
	s_mul_i32 s0, s31, s60
	s_mul_hi_u32 s1, s31, s62
	s_add_i32 s0, s1, s0
	s_mul_i32 s39, s39, s62
	s_add_i32 s0, s0, s39
	s_mul_i32 s31, s31, s62
	s_mul_hi_u32 s39, s60, s31
	s_mul_i32 s61, s60, s31
	s_mul_i32 s64, s62, s0
	s_mul_hi_u32 s31, s62, s31
	s_mul_hi_u32 s63, s62, s0
	s_add_u32 s31, s31, s64
	s_addc_u32 s63, 0, s63
	s_add_u32 s31, s31, s61
	s_mul_hi_u32 s1, s60, s0
	s_addc_u32 s31, s63, s39
	s_addc_u32 s1, s1, 0
	s_mul_i32 s0, s60, s0
	s_add_u32 s0, s31, s0
	s_addc_u32 s31, 0, s1
	s_add_u32 s39, s62, s0
	s_cselect_b64 s[0:1], -1, 0
	v_ashrrev_i32_e32 v3, 31, v21
	s_cmp_lg_u64 s[0:1], 0
	v_add_co_u32_e32 v5, vcc, v20, v3
	s_addc_u32 s31, s60, s31
	v_xor_b32_e32 v5, v5, v3
	v_addc_co_u32_e32 v7, vcc, v21, v3, vcc
	v_mad_u64_u32 v[21:22], s[0:1], v5, s31, 0
	v_mul_hi_u32 v9, v5, s39
	v_xor_b32_e32 v7, v7, v3
	v_mad_u64_u32 v[23:24], s[0:1], v7, s31, 0
	v_add_co_u32_e32 v9, vcc, v9, v21
	v_addc_co_u32_e32 v11, vcc, 0, v22, vcc
	v_mad_u64_u32 v[21:22], s[0:1], v7, s39, 0
	v_xor_b32_e32 v3, s38, v3
	v_add_co_u32_e32 v9, vcc, v9, v21
	v_addc_co_u32_e32 v9, vcc, v11, v22, vcc
	v_addc_co_u32_e32 v11, vcc, 0, v24, vcc
	v_add_co_u32_e32 v9, vcc, v9, v23
	v_addc_co_u32_e32 v11, vcc, 0, v11, vcc
	v_mul_lo_u32 v13, s41, v9
	v_mul_lo_u32 v15, s40, v11
	v_mad_u64_u32 v[21:22], s[0:1], s40, v9, 0
	v_add3_u32 v13, v22, v15, v13
	v_sub_u32_e32 v15, v7, v13
	v_sub_co_u32_e32 v5, vcc, v5, v21
	v_subb_co_u32_e64 v15, s[0:1], v15, v17, vcc
	v_subrev_co_u32_e64 v17, s[0:1], s40, v5
	v_subbrev_co_u32_e64 v15, s[0:1], 0, v15, s[0:1]
	v_cmp_le_u32_e64 s[0:1], s41, v15
	v_cndmask_b32_e64 v19, 0, -1, s[0:1]
	v_cmp_le_u32_e64 s[0:1], s40, v17
	v_cndmask_b32_e64 v17, 0, -1, s[0:1]
	v_cmp_eq_u32_e64 s[0:1], s41, v15
	v_cndmask_b32_e64 v15, v19, v17, s[0:1]
	v_add_co_u32_e64 v17, s[0:1], 2, v9
	v_subb_co_u32_e32 v7, vcc, v7, v13, vcc
	v_addc_co_u32_e64 v19, s[0:1], 0, v11, s[0:1]
	v_cmp_le_u32_e32 vcc, s41, v7
	v_add_co_u32_e64 v21, s[0:1], 1, v9
	v_cndmask_b32_e64 v13, 0, -1, vcc
	v_cmp_le_u32_e32 vcc, s40, v5
	v_addc_co_u32_e64 v22, s[0:1], 0, v11, s[0:1]
	v_cndmask_b32_e64 v5, 0, -1, vcc
	v_cmp_eq_u32_e32 vcc, s41, v7
	v_cmp_ne_u32_e64 s[0:1], 0, v15
	v_cndmask_b32_e32 v5, v13, v5, vcc
	v_cmp_ne_u32_e32 vcc, 0, v5
	v_cndmask_b32_e64 v7, v21, v17, s[0:1]
	v_cndmask_b32_e64 v15, v22, v19, s[0:1]
	v_cndmask_b32_e32 v7, v9, v7, vcc
	v_cndmask_b32_e32 v5, v11, v15, vcc
	v_xor_b32_e32 v7, v7, v3
	v_xor_b32_e32 v5, v5, v3
	v_sub_co_u32_e32 v22, vcc, v7, v3
	v_subb_co_u32_e32 v23, vcc, v5, v3, vcc
.LBB12_49:                              ;   in Loop: Header=BB12_23 Depth=2
	s_andn2_saveexec_b64 s[0:1], s[36:37]
	s_cbranch_execz .LBB12_51
; %bb.50:                               ;   in Loop: Header=BB12_23 Depth=2
	v_cvt_f32_u32_e32 v3, s59
	s_sub_i32 s31, 0, s59
	v_mov_b32_e32 v23, v2
	v_rcp_iflag_f32_e32 v3, v3
	v_mul_f32_e32 v3, 0x4f7ffffe, v3
	v_cvt_u32_f32_e32 v3, v3
	v_mul_lo_u32 v5, s31, v3
	v_mul_hi_u32 v5, v3, v5
	v_add_u32_e32 v3, v3, v5
	v_mul_hi_u32 v3, v20, v3
	v_mul_lo_u32 v5, v3, s59
	v_add_u32_e32 v7, 1, v3
	v_sub_u32_e32 v5, v20, v5
	v_subrev_u32_e32 v9, s59, v5
	v_cmp_le_u32_e32 vcc, s59, v5
	v_cndmask_b32_e32 v5, v5, v9, vcc
	v_cndmask_b32_e32 v3, v3, v7, vcc
	v_add_u32_e32 v7, 1, v3
	v_cmp_le_u32_e32 vcc, s59, v5
	v_cndmask_b32_e32 v22, v3, v7, vcc
.LBB12_51:                              ;   in Loop: Header=BB12_23 Depth=2
	s_or_b64 exec, exec, s[0:1]
	s_add_u32 s0, s4, s34
	s_mov_b32 s31, s17
	s_addc_u32 s1, s5, s35
	s_lshl_b64 s[34:35], s[30:31], 2
	s_add_u32 s36, s42, s34
	s_addc_u32 s37, s43, s35
	s_load_dword s60, s[36:37], 0x8
	s_load_dword s31, s[0:1], 0x6c
                                        ; implicit-def: $vgpr24_vgpr25
	s_waitcnt lgkmcnt(0)
	s_ashr_i32 s0, s60, 31
	v_or_b32_e32 v3, s0, v23
	v_cmp_ne_u64_e32 vcc, 0, v[2:3]
	s_and_saveexec_b64 s[36:37], vcc
	s_xor_b64 s[36:37], exec, s[36:37]
	s_cbranch_execz .LBB12_53
; %bb.52:                               ;   in Loop: Header=BB12_23 Depth=2
	s_ashr_i32 s38, s0, 31
	s_add_u32 s40, s60, s38
	s_mov_b32 s39, s38
	s_addc_u32 s41, s0, s38
	s_xor_b64 s[40:41], s[40:41], s[38:39]
	v_cvt_f32_u32_e32 v3, s40
	v_cvt_f32_u32_e32 v5, s41
	s_sub_u32 s39, 0, s40
	s_subb_u32 s61, 0, s41
	v_mov_b32_e32 v17, s41
	v_mac_f32_e32 v3, 0x4f800000, v5
	v_rcp_f32_e32 v3, v3
	v_mul_f32_e32 v3, 0x5f7ffffc, v3
	v_mul_f32_e32 v5, 0x2f800000, v3
	v_trunc_f32_e32 v5, v5
	v_mac_f32_e32 v3, 0xcf800000, v5
	v_cvt_u32_f32_e32 v5, v5
	v_cvt_u32_f32_e32 v3, v3
	v_readfirstlane_b32 s62, v5
	v_readfirstlane_b32 s0, v3
	s_mul_i32 s1, s39, s62
	s_mul_hi_u32 s64, s39, s0
	s_mul_i32 s63, s61, s0
	s_add_i32 s1, s64, s1
	s_add_i32 s1, s1, s63
	s_mul_i32 s65, s39, s0
	s_mul_i32 s64, s0, s1
	s_mul_hi_u32 s66, s0, s65
	s_mul_hi_u32 s63, s0, s1
	s_add_u32 s64, s66, s64
	s_addc_u32 s63, 0, s63
	s_mul_hi_u32 s67, s62, s65
	s_mul_i32 s65, s62, s65
	s_add_u32 s64, s64, s65
	s_mul_hi_u32 s66, s62, s1
	s_addc_u32 s63, s63, s67
	s_addc_u32 s64, s66, 0
	s_mul_i32 s1, s62, s1
	s_add_u32 s1, s63, s1
	s_addc_u32 s63, 0, s64
	s_add_u32 s64, s0, s1
	s_cselect_b64 s[0:1], -1, 0
	s_cmp_lg_u64 s[0:1], 0
	s_addc_u32 s62, s62, s63
	s_mul_i32 s0, s39, s62
	s_mul_hi_u32 s1, s39, s64
	s_add_i32 s0, s1, s0
	s_mul_i32 s61, s61, s64
	s_add_i32 s0, s0, s61
	s_mul_i32 s39, s39, s64
	s_mul_hi_u32 s61, s62, s39
	s_mul_i32 s63, s62, s39
	s_mul_i32 s66, s64, s0
	s_mul_hi_u32 s39, s64, s39
	s_mul_hi_u32 s65, s64, s0
	s_add_u32 s39, s39, s66
	s_addc_u32 s65, 0, s65
	s_add_u32 s39, s39, s63
	s_mul_hi_u32 s1, s62, s0
	s_addc_u32 s39, s65, s61
	s_addc_u32 s1, s1, 0
	s_mul_i32 s0, s62, s0
	s_add_u32 s0, s39, s0
	s_addc_u32 s39, 0, s1
	s_add_u32 s61, s64, s0
	s_cselect_b64 s[0:1], -1, 0
	v_ashrrev_i32_e32 v3, 31, v23
	s_cmp_lg_u64 s[0:1], 0
	v_add_co_u32_e32 v5, vcc, v22, v3
	s_addc_u32 s39, s62, s39
	v_xor_b32_e32 v5, v5, v3
	v_addc_co_u32_e32 v7, vcc, v23, v3, vcc
	v_mad_u64_u32 v[23:24], s[0:1], v5, s39, 0
	v_mul_hi_u32 v9, v5, s61
	v_xor_b32_e32 v7, v7, v3
	v_mad_u64_u32 v[28:29], s[0:1], v7, s39, 0
	v_add_co_u32_e32 v9, vcc, v9, v23
	v_addc_co_u32_e32 v11, vcc, 0, v24, vcc
	v_mad_u64_u32 v[23:24], s[0:1], v7, s61, 0
	v_xor_b32_e32 v3, s38, v3
	v_add_co_u32_e32 v9, vcc, v9, v23
	v_addc_co_u32_e32 v9, vcc, v11, v24, vcc
	v_addc_co_u32_e32 v11, vcc, 0, v29, vcc
	v_add_co_u32_e32 v9, vcc, v9, v28
	v_addc_co_u32_e32 v11, vcc, 0, v11, vcc
	v_mul_lo_u32 v13, s41, v9
	v_mul_lo_u32 v15, s40, v11
	v_mad_u64_u32 v[23:24], s[0:1], s40, v9, 0
	v_add3_u32 v13, v24, v15, v13
	v_sub_u32_e32 v15, v7, v13
	v_sub_co_u32_e32 v5, vcc, v5, v23
	v_subb_co_u32_e64 v15, s[0:1], v15, v17, vcc
	v_subrev_co_u32_e64 v17, s[0:1], s40, v5
	v_subbrev_co_u32_e64 v15, s[0:1], 0, v15, s[0:1]
	v_cmp_le_u32_e64 s[0:1], s41, v15
	v_cndmask_b32_e64 v19, 0, -1, s[0:1]
	v_cmp_le_u32_e64 s[0:1], s40, v17
	v_cndmask_b32_e64 v17, 0, -1, s[0:1]
	v_cmp_eq_u32_e64 s[0:1], s41, v15
	v_cndmask_b32_e64 v15, v19, v17, s[0:1]
	v_add_co_u32_e64 v17, s[0:1], 2, v9
	v_subb_co_u32_e32 v7, vcc, v7, v13, vcc
	v_addc_co_u32_e64 v19, s[0:1], 0, v11, s[0:1]
	v_cmp_le_u32_e32 vcc, s41, v7
	v_add_co_u32_e64 v21, s[0:1], 1, v9
	v_cndmask_b32_e64 v13, 0, -1, vcc
	v_cmp_le_u32_e32 vcc, s40, v5
	v_addc_co_u32_e64 v23, s[0:1], 0, v11, s[0:1]
	v_cndmask_b32_e64 v5, 0, -1, vcc
	v_cmp_eq_u32_e32 vcc, s41, v7
	v_cmp_ne_u32_e64 s[0:1], 0, v15
	v_cndmask_b32_e32 v5, v13, v5, vcc
	v_cmp_ne_u32_e32 vcc, 0, v5
	v_cndmask_b32_e64 v7, v21, v17, s[0:1]
	v_cndmask_b32_e64 v15, v23, v19, s[0:1]
	v_cndmask_b32_e32 v7, v9, v7, vcc
	v_cndmask_b32_e32 v5, v11, v15, vcc
	v_xor_b32_e32 v7, v7, v3
	v_xor_b32_e32 v5, v5, v3
	v_sub_co_u32_e32 v24, vcc, v7, v3
	v_subb_co_u32_e32 v25, vcc, v5, v3, vcc
.LBB12_53:                              ;   in Loop: Header=BB12_23 Depth=2
	s_andn2_saveexec_b64 s[0:1], s[36:37]
	s_cbranch_execz .LBB12_55
; %bb.54:                               ;   in Loop: Header=BB12_23 Depth=2
	v_cvt_f32_u32_e32 v3, s60
	s_sub_i32 s36, 0, s60
	v_mov_b32_e32 v25, v2
	v_rcp_iflag_f32_e32 v3, v3
	v_mul_f32_e32 v3, 0x4f7ffffe, v3
	v_cvt_u32_f32_e32 v3, v3
	v_mul_lo_u32 v5, s36, v3
	v_mul_hi_u32 v5, v3, v5
	v_add_u32_e32 v3, v3, v5
	v_mul_hi_u32 v3, v22, v3
	v_mul_lo_u32 v5, v3, s60
	v_add_u32_e32 v7, 1, v3
	v_sub_u32_e32 v5, v22, v5
	v_subrev_u32_e32 v9, s60, v5
	v_cmp_le_u32_e32 vcc, s60, v5
	v_cndmask_b32_e32 v5, v5, v9, vcc
	v_cndmask_b32_e32 v3, v3, v7, vcc
	v_add_u32_e32 v7, 1, v3
	v_cmp_le_u32_e32 vcc, s60, v5
	v_cndmask_b32_e32 v24, v3, v7, vcc
.LBB12_55:                              ;   in Loop: Header=BB12_23 Depth=2
	s_or_b64 exec, exec, s[0:1]
	v_mul_lo_u32 v3, v10, s25
	v_mul_lo_u32 v5, v12, s50
	;; [unrolled: 1-line block ×3, first 2 shown]
	s_add_u32 s0, s4, s34
	v_sub_u32_e32 v3, v8, v3
	v_mul_lo_u32 v8, v16, s54
	v_sub_u32_e32 v5, v10, v5
	v_mul_lo_u32 v3, s28, v3
	v_mul_lo_u32 v5, s51, v5
	v_sub_u32_e32 v7, v12, v7
	v_sub_u32_e32 v8, v14, v8
	v_mul_lo_u32 v7, s53, v7
	v_mul_lo_u32 v8, s56, v8
	v_mul_lo_u32 v9, v18, s55
	v_add3_u32 v3, v3, v6, v5
	v_mul_lo_u32 v5, v20, s58
	s_addc_u32 s1, s5, s35
	v_add3_u32 v3, v7, v3, v8
	v_mul_lo_u32 v7, v22, s59
	v_mul_lo_u32 v8, v24, s60
	s_load_dword s0, s[0:1], 0x6c
	v_sub_u32_e32 v6, v16, v9
	v_sub_u32_e32 v5, v18, v5
	v_mul_lo_u32 v6, s57, v6
	v_mul_lo_u32 v5, s16, v5
	v_sub_u32_e32 v7, v20, v7
	v_sub_u32_e32 v8, v22, v8
	v_mul_lo_u32 v7, s31, v7
	s_waitcnt lgkmcnt(0)
	v_mul_lo_u32 v8, s0, v8
	v_add3_u32 v3, v6, v3, v5
	s_add_i32 s30, s30, -8
	s_cmp_eq_u32 s30, -8
	v_add3_u32 v6, v7, v3, v8
	s_cbranch_scc1 .LBB12_57
; %bb.56:                               ;   in Loop: Header=BB12_23 Depth=2
	v_mov_b32_e32 v8, v24
	v_mov_b32_e32 v9, v25
	s_branch .LBB12_23
.LBB12_57:                              ;   in Loop: Header=BB12_3 Depth=1
	s_load_dword s16, s[2:3], 0x4
	s_waitcnt lgkmcnt(0)
	v_cmp_gt_i32_e32 vcc, s16, v27
	s_and_b64 exec, exec, vcc
	s_cbranch_execz .LBB12_2
; %bb.58:                               ;   in Loop: Header=BB12_3 Depth=1
	v_ashrrev_i32_e32 v5, 31, v4
	v_cmp_lt_i64_e32 vcc, s[8:9], v[4:5]
	s_and_saveexec_b64 s[0:1], vcc
	s_cbranch_execz .LBB12_60
; %bb.59:                               ;   in Loop: Header=BB12_3 Depth=1
	v_ashrrev_i32_e32 v7, 31, v6
	v_lshlrev_b64 v[3:4], 3, v[6:7]
	v_mov_b32_e32 v5, s13
	v_add_co_u32_e32 v7, vcc, s12, v3
	v_addc_co_u32_e32 v8, vcc, v5, v4, vcc
	v_mov_b32_e32 v3, v2
	global_store_dwordx2 v[7:8], v[2:3], off
.LBB12_60:                              ;   in Loop: Header=BB12_3 Depth=1
	s_or_b64 exec, exec, s[0:1]
	v_add_u32_e32 v3, 1, v27
	v_cmp_gt_i32_e32 vcc, s16, v3
	s_and_b64 exec, exec, vcc
	s_cbranch_execz .LBB12_2
; %bb.61:                               ;   in Loop: Header=BB12_3 Depth=1
	v_sub_u32_e32 v3, v3, v26
	v_ashrrev_i32_e32 v4, 31, v3
	v_cmp_lt_i64_e32 vcc, s[8:9], v[3:4]
	s_and_b64 exec, exec, vcc
	s_cbranch_execz .LBB12_2
; %bb.62:                               ;   in Loop: Header=BB12_3 Depth=1
	v_add_u32_e32 v3, s29, v6
	v_ashrrev_i32_e32 v4, 31, v3
	v_lshlrev_b64 v[3:4], 3, v[3:4]
	v_mov_b32_e32 v6, s13
	v_add_co_u32_e32 v5, vcc, s12, v3
	v_addc_co_u32_e32 v6, vcc, v6, v4, vcc
	v_mov_b32_e32 v3, v2
	global_store_dwordx2 v[5:6], v[2:3], off
	s_branch .LBB12_2
.LBB12_63:
	s_endpgm
	.section	.rodata,"a",@progbits
	.p2align	6, 0x0
	.amdhsa_kernel _ZN2at6native16triu_tril_kernelIliLb0ELi2ELb1EEEvNS_4cuda6detail10TensorInfoIT_T0_EENS4_IKS5_S6_EEllS6_
		.amdhsa_group_segment_fixed_size 0
		.amdhsa_private_segment_fixed_size 0
		.amdhsa_kernarg_size 712
		.amdhsa_user_sgpr_count 6
		.amdhsa_user_sgpr_private_segment_buffer 1
		.amdhsa_user_sgpr_dispatch_ptr 0
		.amdhsa_user_sgpr_queue_ptr 0
		.amdhsa_user_sgpr_kernarg_segment_ptr 1
		.amdhsa_user_sgpr_dispatch_id 0
		.amdhsa_user_sgpr_flat_scratch_init 0
		.amdhsa_user_sgpr_private_segment_size 0
		.amdhsa_uses_dynamic_stack 0
		.amdhsa_system_sgpr_private_segment_wavefront_offset 0
		.amdhsa_system_sgpr_workgroup_id_x 1
		.amdhsa_system_sgpr_workgroup_id_y 0
		.amdhsa_system_sgpr_workgroup_id_z 0
		.amdhsa_system_sgpr_workgroup_info 0
		.amdhsa_system_vgpr_workitem_id 0
		.amdhsa_next_free_vgpr 30
		.amdhsa_next_free_sgpr 68
		.amdhsa_reserve_vcc 1
		.amdhsa_reserve_flat_scratch 0
		.amdhsa_float_round_mode_32 0
		.amdhsa_float_round_mode_16_64 0
		.amdhsa_float_denorm_mode_32 3
		.amdhsa_float_denorm_mode_16_64 3
		.amdhsa_dx10_clamp 1
		.amdhsa_ieee_mode 1
		.amdhsa_fp16_overflow 0
		.amdhsa_exception_fp_ieee_invalid_op 0
		.amdhsa_exception_fp_denorm_src 0
		.amdhsa_exception_fp_ieee_div_zero 0
		.amdhsa_exception_fp_ieee_overflow 0
		.amdhsa_exception_fp_ieee_underflow 0
		.amdhsa_exception_fp_ieee_inexact 0
		.amdhsa_exception_int_div_zero 0
	.end_amdhsa_kernel
	.section	.text._ZN2at6native16triu_tril_kernelIliLb0ELi2ELb1EEEvNS_4cuda6detail10TensorInfoIT_T0_EENS4_IKS5_S6_EEllS6_,"axG",@progbits,_ZN2at6native16triu_tril_kernelIliLb0ELi2ELb1EEEvNS_4cuda6detail10TensorInfoIT_T0_EENS4_IKS5_S6_EEllS6_,comdat
.Lfunc_end12:
	.size	_ZN2at6native16triu_tril_kernelIliLb0ELi2ELb1EEEvNS_4cuda6detail10TensorInfoIT_T0_EENS4_IKS5_S6_EEllS6_, .Lfunc_end12-_ZN2at6native16triu_tril_kernelIliLb0ELi2ELb1EEEvNS_4cuda6detail10TensorInfoIT_T0_EENS4_IKS5_S6_EEllS6_
                                        ; -- End function
	.set _ZN2at6native16triu_tril_kernelIliLb0ELi2ELb1EEEvNS_4cuda6detail10TensorInfoIT_T0_EENS4_IKS5_S6_EEllS6_.num_vgpr, 30
	.set _ZN2at6native16triu_tril_kernelIliLb0ELi2ELb1EEEvNS_4cuda6detail10TensorInfoIT_T0_EENS4_IKS5_S6_EEllS6_.num_agpr, 0
	.set _ZN2at6native16triu_tril_kernelIliLb0ELi2ELb1EEEvNS_4cuda6detail10TensorInfoIT_T0_EENS4_IKS5_S6_EEllS6_.numbered_sgpr, 68
	.set _ZN2at6native16triu_tril_kernelIliLb0ELi2ELb1EEEvNS_4cuda6detail10TensorInfoIT_T0_EENS4_IKS5_S6_EEllS6_.num_named_barrier, 0
	.set _ZN2at6native16triu_tril_kernelIliLb0ELi2ELb1EEEvNS_4cuda6detail10TensorInfoIT_T0_EENS4_IKS5_S6_EEllS6_.private_seg_size, 0
	.set _ZN2at6native16triu_tril_kernelIliLb0ELi2ELb1EEEvNS_4cuda6detail10TensorInfoIT_T0_EENS4_IKS5_S6_EEllS6_.uses_vcc, 1
	.set _ZN2at6native16triu_tril_kernelIliLb0ELi2ELb1EEEvNS_4cuda6detail10TensorInfoIT_T0_EENS4_IKS5_S6_EEllS6_.uses_flat_scratch, 0
	.set _ZN2at6native16triu_tril_kernelIliLb0ELi2ELb1EEEvNS_4cuda6detail10TensorInfoIT_T0_EENS4_IKS5_S6_EEllS6_.has_dyn_sized_stack, 0
	.set _ZN2at6native16triu_tril_kernelIliLb0ELi2ELb1EEEvNS_4cuda6detail10TensorInfoIT_T0_EENS4_IKS5_S6_EEllS6_.has_recursion, 0
	.set _ZN2at6native16triu_tril_kernelIliLb0ELi2ELb1EEEvNS_4cuda6detail10TensorInfoIT_T0_EENS4_IKS5_S6_EEllS6_.has_indirect_call, 0
	.section	.AMDGPU.csdata,"",@progbits
; Kernel info:
; codeLenInByte = 9348
; TotalNumSgprs: 72
; NumVgprs: 30
; ScratchSize: 0
; MemoryBound: 0
; FloatMode: 240
; IeeeMode: 1
; LDSByteSize: 0 bytes/workgroup (compile time only)
; SGPRBlocks: 8
; VGPRBlocks: 7
; NumSGPRsForWavesPerEU: 72
; NumVGPRsForWavesPerEU: 30
; Occupancy: 8
; WaveLimiterHint : 0
; COMPUTE_PGM_RSRC2:SCRATCH_EN: 0
; COMPUTE_PGM_RSRC2:USER_SGPR: 6
; COMPUTE_PGM_RSRC2:TRAP_HANDLER: 0
; COMPUTE_PGM_RSRC2:TGID_X_EN: 1
; COMPUTE_PGM_RSRC2:TGID_Y_EN: 0
; COMPUTE_PGM_RSRC2:TGID_Z_EN: 0
; COMPUTE_PGM_RSRC2:TIDIG_COMP_CNT: 0
	.section	.text._ZN2at6native16triu_tril_kernelIliLb0ELi2ELb0EEEvNS_4cuda6detail10TensorInfoIT_T0_EENS4_IKS5_S6_EEllS6_,"axG",@progbits,_ZN2at6native16triu_tril_kernelIliLb0ELi2ELb0EEEvNS_4cuda6detail10TensorInfoIT_T0_EENS4_IKS5_S6_EEllS6_,comdat
	.protected	_ZN2at6native16triu_tril_kernelIliLb0ELi2ELb0EEEvNS_4cuda6detail10TensorInfoIT_T0_EENS4_IKS5_S6_EEllS6_ ; -- Begin function _ZN2at6native16triu_tril_kernelIliLb0ELi2ELb0EEEvNS_4cuda6detail10TensorInfoIT_T0_EENS4_IKS5_S6_EEllS6_
	.globl	_ZN2at6native16triu_tril_kernelIliLb0ELi2ELb0EEEvNS_4cuda6detail10TensorInfoIT_T0_EENS4_IKS5_S6_EEllS6_
	.p2align	8
	.type	_ZN2at6native16triu_tril_kernelIliLb0ELi2ELb0EEEvNS_4cuda6detail10TensorInfoIT_T0_EENS4_IKS5_S6_EEllS6_,@function
_ZN2at6native16triu_tril_kernelIliLb0ELi2ELb0EEEvNS_4cuda6detail10TensorInfoIT_T0_EENS4_IKS5_S6_EEllS6_: ; @_ZN2at6native16triu_tril_kernelIliLb0ELi2ELb0EEEvNS_4cuda6detail10TensorInfoIT_T0_EENS4_IKS5_S6_EEllS6_
; %bb.0:
	s_load_dword s2, s[4:5], 0x1d4
	s_load_dwordx4 s[8:11], s[4:5], 0x1b0
	s_add_u32 s0, s4, 0x1c8
	v_mov_b32_e32 v2, 0
	s_addc_u32 s1, s5, 0
	s_waitcnt lgkmcnt(0)
	s_and_b32 s12, s2, 0xffff
	v_mov_b32_e32 v1, v2
	v_mov_b32_e32 v3, s6
	v_mad_u64_u32 v[0:1], s[2:3], s12, v3, v[0:1]
	v_lshlrev_b64 v[0:1], 1, v[0:1]
	v_cmp_gt_i64_e32 vcc, s[10:11], v[0:1]
	s_and_saveexec_b64 s[2:3], vcc
	s_cbranch_execz .LBB13_48
; %bb.1:
	s_load_dword s33, s[4:5], 0x1c0
	s_load_dwordx2 s[2:3], s[4:5], 0xd8
	s_load_dwordx2 s[18:19], s[4:5], 0x0
	s_load_dword s20, s[4:5], 0x1a8
	s_load_dword s13, s[0:1], 0x0
	s_add_u32 s46, s4, 0xd8
	s_addc_u32 s47, s5, 0
	s_waitcnt lgkmcnt(0)
	s_ashr_i32 s48, s33, 31
	s_ashr_i32 s21, s20, 31
	s_lshl_b64 s[0:1], s[20:21], 2
	s_add_u32 s16, s46, s0
	s_addc_u32 s17, s47, s1
	s_load_dwordx2 s[6:7], s[16:17], 0x0
	s_load_dwordx2 s[14:15], s[16:17], 0x64
	s_mul_i32 s22, s13, s12
	v_cmp_gt_i64_e64 s[12:13], s[20:21], 2
	s_mov_b32 s21, 0
	s_waitcnt lgkmcnt(0)
	s_ashr_i32 s49, s6, 31
	s_add_u32 s0, s4, s0
	s_addc_u32 s1, s5, s1
	s_load_dwordx2 s[16:17], s[0:1], 0x64
	s_add_i32 s50, s20, -3
	s_lshl_b32 s51, s22, 1
	s_and_b32 s52, s20, 3
	s_cmp_lg_u32 s52, 2
	s_cselect_b64 s[22:23], -1, 0
	s_cmp_gt_u32 s50, 2
	s_cselect_b64 s[24:25], -1, 0
	s_ashr_i32 s27, s15, 31
	s_mov_b32 s26, s15
	s_waitcnt lgkmcnt(0)
	s_ashr_i32 s29, s17, 31
	s_mov_b32 s28, s17
	s_mov_b64 s[30:31], 0
	s_ashr_i32 s34, s48, 31
	s_branch .LBB13_3
.LBB13_2:                               ;   in Loop: Header=BB13_3 Depth=1
	s_or_b64 exec, exec, s[0:1]
	v_add_co_u32_e32 v0, vcc, s51, v0
	v_addc_co_u32_e32 v1, vcc, 0, v1, vcc
	v_cmp_le_i64_e32 vcc, s[10:11], v[0:1]
	s_or_b64 s[30:31], vcc, s[30:31]
	s_andn2_b64 exec, exec, s[30:31]
	s_cbranch_execz .LBB13_48
.LBB13_3:                               ; =>This Loop Header: Depth=1
                                        ;     Child Loop BB13_13 Depth 2
                                        ;     Child Loop BB13_21 Depth 2
	v_or_b32_e32 v3, s48, v1
	v_cmp_ne_u64_e32 vcc, 0, v[2:3]
                                        ; implicit-def: $vgpr4_vgpr5
	s_and_saveexec_b64 s[0:1], vcc
	s_xor_b64 s[36:37], exec, s[0:1]
	s_cbranch_execz .LBB13_5
; %bb.4:                                ;   in Loop: Header=BB13_3 Depth=1
	s_add_u32 s0, s33, s34
	s_mov_b32 s35, s34
	s_addc_u32 s1, s48, s34
	s_xor_b64 s[38:39], s[0:1], s[34:35]
	v_cvt_f32_u32_e32 v3, s38
	v_cvt_f32_u32_e32 v4, s39
	s_sub_u32 s15, 0, s38
	s_subb_u32 s17, 0, s39
	v_ashrrev_i32_e32 v7, 31, v1
	v_mac_f32_e32 v3, 0x4f800000, v4
	v_rcp_f32_e32 v3, v3
	v_mul_f32_e32 v3, 0x5f7ffffc, v3
	v_mul_f32_e32 v4, 0x2f800000, v3
	v_trunc_f32_e32 v4, v4
	v_mac_f32_e32 v3, 0xcf800000, v4
	v_cvt_u32_f32_e32 v4, v4
	v_cvt_u32_f32_e32 v3, v3
	v_readfirstlane_b32 s20, v4
	v_readfirstlane_b32 s0, v3
	s_mul_i32 s1, s15, s20
	s_mul_hi_u32 s40, s15, s0
	s_mul_i32 s35, s17, s0
	s_add_i32 s1, s40, s1
	s_add_i32 s1, s1, s35
	s_mul_i32 s41, s15, s0
	s_mul_i32 s40, s0, s1
	s_mul_hi_u32 s42, s0, s41
	s_mul_hi_u32 s35, s0, s1
	s_add_u32 s40, s42, s40
	s_addc_u32 s35, 0, s35
	s_mul_hi_u32 s43, s20, s41
	s_mul_i32 s41, s20, s41
	s_add_u32 s40, s40, s41
	s_mul_hi_u32 s42, s20, s1
	s_addc_u32 s35, s35, s43
	s_addc_u32 s40, s42, 0
	s_mul_i32 s1, s20, s1
	s_add_u32 s1, s35, s1
	s_addc_u32 s35, 0, s40
	s_add_u32 s40, s0, s1
	s_cselect_b64 s[0:1], -1, 0
	s_cmp_lg_u64 s[0:1], 0
	s_addc_u32 s20, s20, s35
	s_mul_i32 s0, s15, s20
	s_mul_hi_u32 s1, s15, s40
	s_add_i32 s0, s1, s0
	s_mul_i32 s17, s17, s40
	s_add_i32 s0, s0, s17
	s_mul_i32 s15, s15, s40
	s_mul_hi_u32 s17, s20, s15
	s_mul_i32 s35, s20, s15
	s_mul_i32 s42, s40, s0
	s_mul_hi_u32 s15, s40, s15
	s_mul_hi_u32 s41, s40, s0
	s_add_u32 s15, s15, s42
	s_addc_u32 s41, 0, s41
	s_add_u32 s15, s15, s35
	s_mul_hi_u32 s1, s20, s0
	s_addc_u32 s15, s41, s17
	s_addc_u32 s1, s1, 0
	s_mul_i32 s0, s20, s0
	s_add_u32 s0, s15, s0
	s_addc_u32 s15, 0, s1
	s_add_u32 s17, s40, s0
	s_cselect_b64 s[0:1], -1, 0
	s_cmp_lg_u64 s[0:1], 0
	v_add_co_u32_e32 v3, vcc, v0, v7
	s_addc_u32 s15, s20, s15
	v_xor_b32_e32 v8, v3, v7
	v_mad_u64_u32 v[3:4], s[0:1], v8, s15, 0
	v_mul_hi_u32 v6, v8, s17
	v_addc_co_u32_e32 v5, vcc, v1, v7, vcc
	v_xor_b32_e32 v9, v5, v7
	v_add_co_u32_e32 v10, vcc, v6, v3
	v_addc_co_u32_e32 v11, vcc, 0, v4, vcc
	v_mad_u64_u32 v[3:4], s[0:1], v9, s17, 0
	v_mad_u64_u32 v[5:6], s[0:1], v9, s15, 0
	v_add_co_u32_e32 v3, vcc, v10, v3
	v_addc_co_u32_e32 v3, vcc, v11, v4, vcc
	v_addc_co_u32_e32 v4, vcc, 0, v6, vcc
	v_add_co_u32_e32 v5, vcc, v3, v5
	v_addc_co_u32_e32 v6, vcc, 0, v4, vcc
	v_mul_lo_u32 v10, s39, v5
	v_mul_lo_u32 v11, s38, v6
	v_mad_u64_u32 v[3:4], s[0:1], s38, v5, 0
	v_add3_u32 v4, v4, v11, v10
	v_sub_u32_e32 v10, v9, v4
	v_mov_b32_e32 v11, s39
	v_sub_co_u32_e32 v3, vcc, v8, v3
	v_subb_co_u32_e64 v8, s[0:1], v10, v11, vcc
	v_subrev_co_u32_e64 v10, s[0:1], s38, v3
	v_subbrev_co_u32_e64 v8, s[0:1], 0, v8, s[0:1]
	v_cmp_le_u32_e64 s[0:1], s39, v8
	v_cndmask_b32_e64 v11, 0, -1, s[0:1]
	v_cmp_le_u32_e64 s[0:1], s38, v10
	v_cndmask_b32_e64 v10, 0, -1, s[0:1]
	v_cmp_eq_u32_e64 s[0:1], s39, v8
	v_cndmask_b32_e64 v8, v11, v10, s[0:1]
	v_add_co_u32_e64 v10, s[0:1], 2, v5
	v_subb_co_u32_e32 v4, vcc, v9, v4, vcc
	v_addc_co_u32_e64 v11, s[0:1], 0, v6, s[0:1]
	v_cmp_le_u32_e32 vcc, s39, v4
	v_add_co_u32_e64 v12, s[0:1], 1, v5
	v_cndmask_b32_e64 v9, 0, -1, vcc
	v_cmp_le_u32_e32 vcc, s38, v3
	v_addc_co_u32_e64 v13, s[0:1], 0, v6, s[0:1]
	v_cndmask_b32_e64 v3, 0, -1, vcc
	v_cmp_eq_u32_e32 vcc, s39, v4
	v_cmp_ne_u32_e64 s[0:1], 0, v8
	v_cndmask_b32_e32 v3, v9, v3, vcc
	v_cmp_ne_u32_e32 vcc, 0, v3
	v_cndmask_b32_e64 v4, v12, v10, s[0:1]
	v_cndmask_b32_e64 v8, v13, v11, s[0:1]
	v_cndmask_b32_e32 v4, v5, v4, vcc
	v_xor_b32_e32 v5, s34, v7
	v_cndmask_b32_e32 v3, v6, v8, vcc
	v_xor_b32_e32 v4, v4, v5
	v_xor_b32_e32 v3, v3, v5
	v_sub_co_u32_e32 v4, vcc, v4, v5
	v_subb_co_u32_e32 v5, vcc, v3, v5, vcc
.LBB13_5:                               ;   in Loop: Header=BB13_3 Depth=1
	s_andn2_saveexec_b64 s[0:1], s[36:37]
	s_cbranch_execz .LBB13_7
; %bb.6:                                ;   in Loop: Header=BB13_3 Depth=1
	v_cvt_f32_u32_e32 v3, s33
	s_sub_i32 s15, 0, s33
	v_rcp_iflag_f32_e32 v3, v3
	v_mul_f32_e32 v3, 0x4f7ffffe, v3
	v_cvt_u32_f32_e32 v3, v3
	v_mul_lo_u32 v4, s15, v3
	v_mul_hi_u32 v4, v3, v4
	v_add_u32_e32 v3, v3, v4
	v_mul_hi_u32 v3, v0, v3
	v_mul_lo_u32 v4, v3, s33
	v_add_u32_e32 v5, 1, v3
	v_sub_u32_e32 v4, v0, v4
	v_subrev_u32_e32 v6, s33, v4
	v_cmp_le_u32_e32 vcc, s33, v4
	v_cndmask_b32_e32 v4, v4, v6, vcc
	v_cndmask_b32_e32 v3, v3, v5, vcc
	v_add_u32_e32 v5, 1, v3
	v_cmp_le_u32_e32 vcc, s33, v4
	v_cndmask_b32_e32 v4, v3, v5, vcc
	v_mov_b32_e32 v5, v2
.LBB13_7:                               ;   in Loop: Header=BB13_3 Depth=1
	s_or_b64 exec, exec, s[0:1]
	v_or_b32_e32 v3, s49, v5
	v_cmp_ne_u64_e32 vcc, 0, v[2:3]
                                        ; implicit-def: $vgpr8_vgpr9
	s_and_saveexec_b64 s[0:1], vcc
	s_xor_b64 s[36:37], exec, s[0:1]
	s_cbranch_execz .LBB13_9
; %bb.8:                                ;   in Loop: Header=BB13_3 Depth=1
	s_ashr_i32 s38, s49, 31
	s_add_u32 s0, s6, s38
	s_mov_b32 s39, s38
	s_addc_u32 s1, s49, s38
	s_xor_b64 s[40:41], s[0:1], s[38:39]
	v_cvt_f32_u32_e32 v3, s40
	v_cvt_f32_u32_e32 v6, s41
	s_sub_u32 s15, 0, s40
	s_subb_u32 s17, 0, s41
	v_mac_f32_e32 v3, 0x4f800000, v6
	v_rcp_f32_e32 v3, v3
	v_mul_f32_e32 v3, 0x5f7ffffc, v3
	v_mul_f32_e32 v6, 0x2f800000, v3
	v_trunc_f32_e32 v6, v6
	v_mac_f32_e32 v3, 0xcf800000, v6
	v_cvt_u32_f32_e32 v6, v6
	v_cvt_u32_f32_e32 v3, v3
	v_readfirstlane_b32 s20, v6
	v_readfirstlane_b32 s0, v3
	s_mul_i32 s1, s15, s20
	s_mul_hi_u32 s39, s15, s0
	s_mul_i32 s35, s17, s0
	s_add_i32 s1, s39, s1
	s_add_i32 s1, s1, s35
	s_mul_i32 s42, s15, s0
	s_mul_i32 s39, s0, s1
	s_mul_hi_u32 s43, s0, s42
	s_mul_hi_u32 s35, s0, s1
	s_add_u32 s39, s43, s39
	s_addc_u32 s35, 0, s35
	s_mul_hi_u32 s44, s20, s42
	s_mul_i32 s42, s20, s42
	s_add_u32 s39, s39, s42
	s_mul_hi_u32 s43, s20, s1
	s_addc_u32 s35, s35, s44
	s_addc_u32 s39, s43, 0
	s_mul_i32 s1, s20, s1
	s_add_u32 s1, s35, s1
	s_addc_u32 s35, 0, s39
	s_add_u32 s39, s0, s1
	s_cselect_b64 s[0:1], -1, 0
	s_cmp_lg_u64 s[0:1], 0
	s_addc_u32 s20, s20, s35
	s_mul_i32 s0, s15, s20
	s_mul_hi_u32 s1, s15, s39
	s_add_i32 s0, s1, s0
	s_mul_i32 s17, s17, s39
	s_add_i32 s0, s0, s17
	s_mul_i32 s15, s15, s39
	s_mul_hi_u32 s17, s20, s15
	s_mul_i32 s35, s20, s15
	s_mul_i32 s43, s39, s0
	s_mul_hi_u32 s15, s39, s15
	s_mul_hi_u32 s42, s39, s0
	s_add_u32 s15, s15, s43
	s_addc_u32 s42, 0, s42
	s_add_u32 s15, s15, s35
	s_mul_hi_u32 s1, s20, s0
	s_addc_u32 s15, s42, s17
	s_addc_u32 s1, s1, 0
	s_mul_i32 s0, s20, s0
	s_add_u32 s0, s15, s0
	s_addc_u32 s15, 0, s1
	s_add_u32 s17, s39, s0
	s_cselect_b64 s[0:1], -1, 0
	v_ashrrev_i32_e32 v3, 31, v5
	s_cmp_lg_u64 s[0:1], 0
	v_add_co_u32_e32 v6, vcc, v4, v3
	s_addc_u32 s15, s20, s15
	v_xor_b32_e32 v9, v6, v3
	v_addc_co_u32_e32 v7, vcc, v5, v3, vcc
	v_mad_u64_u32 v[5:6], s[0:1], v9, s15, 0
	v_mul_hi_u32 v8, v9, s17
	v_xor_b32_e32 v10, v7, v3
	v_xor_b32_e32 v3, s38, v3
	v_add_co_u32_e32 v11, vcc, v8, v5
	v_addc_co_u32_e32 v12, vcc, 0, v6, vcc
	v_mad_u64_u32 v[5:6], s[0:1], v10, s17, 0
	v_mad_u64_u32 v[7:8], s[0:1], v10, s15, 0
	v_add_co_u32_e32 v5, vcc, v11, v5
	v_addc_co_u32_e32 v5, vcc, v12, v6, vcc
	v_addc_co_u32_e32 v6, vcc, 0, v8, vcc
	v_add_co_u32_e32 v7, vcc, v5, v7
	v_addc_co_u32_e32 v8, vcc, 0, v6, vcc
	v_mul_lo_u32 v11, s41, v7
	v_mul_lo_u32 v12, s40, v8
	v_mad_u64_u32 v[5:6], s[0:1], s40, v7, 0
	v_add3_u32 v6, v6, v12, v11
	v_sub_u32_e32 v11, v10, v6
	v_mov_b32_e32 v12, s41
	v_sub_co_u32_e32 v5, vcc, v9, v5
	v_subb_co_u32_e64 v9, s[0:1], v11, v12, vcc
	v_subrev_co_u32_e64 v11, s[0:1], s40, v5
	v_subbrev_co_u32_e64 v9, s[0:1], 0, v9, s[0:1]
	v_cmp_le_u32_e64 s[0:1], s41, v9
	v_cndmask_b32_e64 v12, 0, -1, s[0:1]
	v_cmp_le_u32_e64 s[0:1], s40, v11
	v_cndmask_b32_e64 v11, 0, -1, s[0:1]
	v_cmp_eq_u32_e64 s[0:1], s41, v9
	v_cndmask_b32_e64 v9, v12, v11, s[0:1]
	v_add_co_u32_e64 v11, s[0:1], 2, v7
	v_subb_co_u32_e32 v6, vcc, v10, v6, vcc
	v_addc_co_u32_e64 v12, s[0:1], 0, v8, s[0:1]
	v_cmp_le_u32_e32 vcc, s41, v6
	v_add_co_u32_e64 v13, s[0:1], 1, v7
	v_cndmask_b32_e64 v10, 0, -1, vcc
	v_cmp_le_u32_e32 vcc, s40, v5
	v_addc_co_u32_e64 v14, s[0:1], 0, v8, s[0:1]
	v_cndmask_b32_e64 v5, 0, -1, vcc
	v_cmp_eq_u32_e32 vcc, s41, v6
	v_cmp_ne_u32_e64 s[0:1], 0, v9
	v_cndmask_b32_e32 v5, v10, v5, vcc
	v_cmp_ne_u32_e32 vcc, 0, v5
	v_cndmask_b32_e64 v6, v13, v11, s[0:1]
	v_cndmask_b32_e64 v9, v14, v12, s[0:1]
	v_cndmask_b32_e32 v6, v7, v6, vcc
	v_cndmask_b32_e32 v5, v8, v9, vcc
	v_xor_b32_e32 v6, v6, v3
	v_xor_b32_e32 v5, v5, v3
	v_sub_co_u32_e32 v8, vcc, v6, v3
	v_subb_co_u32_e32 v9, vcc, v5, v3, vcc
.LBB13_9:                               ;   in Loop: Header=BB13_3 Depth=1
	s_andn2_saveexec_b64 s[0:1], s[36:37]
	s_cbranch_execz .LBB13_11
; %bb.10:                               ;   in Loop: Header=BB13_3 Depth=1
	v_cvt_f32_u32_e32 v3, s6
	s_sub_i32 s15, 0, s6
	v_mov_b32_e32 v9, v2
	v_rcp_iflag_f32_e32 v3, v3
	v_mul_f32_e32 v3, 0x4f7ffffe, v3
	v_cvt_u32_f32_e32 v3, v3
	v_mul_lo_u32 v5, s15, v3
	v_mul_hi_u32 v5, v3, v5
	v_add_u32_e32 v3, v3, v5
	v_mul_hi_u32 v3, v4, v3
	v_mul_lo_u32 v5, v3, s6
	v_add_u32_e32 v6, 1, v3
	v_sub_u32_e32 v5, v4, v5
	v_subrev_u32_e32 v7, s6, v5
	v_cmp_le_u32_e32 vcc, s6, v5
	v_cndmask_b32_e32 v5, v5, v7, vcc
	v_cndmask_b32_e32 v3, v3, v6, vcc
	v_add_u32_e32 v6, 1, v3
	v_cmp_le_u32_e32 vcc, s6, v5
	v_cndmask_b32_e32 v8, v3, v6, vcc
.LBB13_11:                              ;   in Loop: Header=BB13_3 Depth=1
	s_or_b64 exec, exec, s[0:1]
	v_mad_u64_u32 v[5:6], s[0:1], v4, s33, 0
	v_mad_u64_u32 v[6:7], s[0:1], v8, s6, 0
	v_sub_co_u32_e32 v18, vcc, v0, v5
	v_mul_lo_u32 v3, s26, v18
	v_sub_co_u32_e32 v19, vcc, v4, v6
	v_mul_lo_u32 v4, s28, v18
	s_andn2_b64 vcc, exec, s[12:13]
	v_mad_u64_u32 v[6:7], s[0:1], s14, v19, v[3:4]
	v_mad_u64_u32 v[4:5], s[0:1], s16, v19, v[4:5]
	s_cbranch_vccnz .LBB13_39
; %bb.12:                               ;   in Loop: Header=BB13_3 Depth=1
	s_mov_b32 s15, 1
	s_andn2_b64 vcc, exec, s[22:23]
	s_mov_b32 s20, s50
	s_mov_b32 s0, s50
	s_cbranch_vccnz .LBB13_20
.LBB13_13:                              ;   Parent Loop BB13_3 Depth=1
                                        ; =>  This Inner Loop Header: Depth=2
	s_lshl_b64 s[36:37], s[20:21], 2
	s_add_u32 s38, s46, s36
	s_addc_u32 s39, s47, s37
	s_load_dword s17, s[38:39], 0x8
                                        ; implicit-def: $vgpr10_vgpr11
	s_waitcnt lgkmcnt(0)
	s_ashr_i32 s0, s17, 31
	v_or_b32_e32 v3, s0, v9
	v_cmp_ne_u64_e32 vcc, 0, v[2:3]
	s_and_saveexec_b64 s[40:41], vcc
	s_xor_b64 s[40:41], exec, s[40:41]
	s_cbranch_execz .LBB13_15
; %bb.14:                               ;   in Loop: Header=BB13_13 Depth=2
	s_ashr_i32 s42, s0, 31
	s_add_u32 s44, s17, s42
	s_mov_b32 s43, s42
	s_addc_u32 s45, s0, s42
	s_xor_b64 s[44:45], s[44:45], s[42:43]
	v_cvt_f32_u32_e32 v3, s44
	v_cvt_f32_u32_e32 v5, s45
	s_sub_u32 s35, 0, s44
	s_subb_u32 s43, 0, s45
	v_mac_f32_e32 v3, 0x4f800000, v5
	v_rcp_f32_e32 v3, v3
	v_mul_f32_e32 v3, 0x5f7ffffc, v3
	v_mul_f32_e32 v5, 0x2f800000, v3
	v_trunc_f32_e32 v5, v5
	v_mac_f32_e32 v3, 0xcf800000, v5
	v_cvt_u32_f32_e32 v5, v5
	v_cvt_u32_f32_e32 v3, v3
	v_readfirstlane_b32 s53, v5
	v_readfirstlane_b32 s0, v3
	s_mul_i32 s1, s35, s53
	s_mul_hi_u32 s55, s35, s0
	s_mul_i32 s54, s43, s0
	s_add_i32 s1, s55, s1
	s_add_i32 s1, s1, s54
	s_mul_i32 s56, s35, s0
	s_mul_i32 s55, s0, s1
	s_mul_hi_u32 s57, s0, s56
	s_mul_hi_u32 s54, s0, s1
	s_add_u32 s55, s57, s55
	s_addc_u32 s54, 0, s54
	s_mul_hi_u32 s58, s53, s56
	s_mul_i32 s56, s53, s56
	s_add_u32 s55, s55, s56
	s_mul_hi_u32 s57, s53, s1
	s_addc_u32 s54, s54, s58
	s_addc_u32 s55, s57, 0
	s_mul_i32 s1, s53, s1
	s_add_u32 s1, s54, s1
	s_addc_u32 s54, 0, s55
	s_add_u32 s55, s0, s1
	s_cselect_b64 s[0:1], -1, 0
	s_cmp_lg_u64 s[0:1], 0
	s_addc_u32 s53, s53, s54
	s_mul_i32 s0, s35, s53
	s_mul_hi_u32 s1, s35, s55
	s_add_i32 s0, s1, s0
	s_mul_i32 s43, s43, s55
	s_add_i32 s0, s0, s43
	s_mul_i32 s35, s35, s55
	s_mul_hi_u32 s43, s53, s35
	s_mul_i32 s54, s53, s35
	s_mul_i32 s57, s55, s0
	s_mul_hi_u32 s35, s55, s35
	s_mul_hi_u32 s56, s55, s0
	s_add_u32 s35, s35, s57
	s_addc_u32 s56, 0, s56
	s_add_u32 s35, s35, s54
	s_mul_hi_u32 s1, s53, s0
	s_addc_u32 s35, s56, s43
	s_addc_u32 s1, s1, 0
	s_mul_i32 s0, s53, s0
	s_add_u32 s0, s35, s0
	s_addc_u32 s35, 0, s1
	s_add_u32 s43, s55, s0
	s_cselect_b64 s[0:1], -1, 0
	v_ashrrev_i32_e32 v3, 31, v9
	s_cmp_lg_u64 s[0:1], 0
	v_add_co_u32_e32 v5, vcc, v8, v3
	s_addc_u32 s35, s53, s35
	v_xor_b32_e32 v5, v5, v3
	v_addc_co_u32_e32 v7, vcc, v9, v3, vcc
	v_mad_u64_u32 v[9:10], s[0:1], v5, s35, 0
	v_mul_hi_u32 v11, v5, s43
	v_xor_b32_e32 v7, v7, v3
	v_xor_b32_e32 v3, s42, v3
	v_add_co_u32_e32 v13, vcc, v11, v9
	v_addc_co_u32_e32 v14, vcc, 0, v10, vcc
	v_mad_u64_u32 v[9:10], s[0:1], v7, s43, 0
	v_mad_u64_u32 v[11:12], s[0:1], v7, s35, 0
	v_add_co_u32_e32 v9, vcc, v13, v9
	v_addc_co_u32_e32 v9, vcc, v14, v10, vcc
	v_addc_co_u32_e32 v10, vcc, 0, v12, vcc
	v_add_co_u32_e32 v11, vcc, v9, v11
	v_addc_co_u32_e32 v12, vcc, 0, v10, vcc
	v_mul_lo_u32 v13, s45, v11
	v_mul_lo_u32 v14, s44, v12
	v_mad_u64_u32 v[9:10], s[0:1], s44, v11, 0
	v_add3_u32 v10, v10, v14, v13
	v_sub_u32_e32 v13, v7, v10
	v_mov_b32_e32 v14, s45
	v_sub_co_u32_e32 v5, vcc, v5, v9
	v_subb_co_u32_e64 v9, s[0:1], v13, v14, vcc
	v_subrev_co_u32_e64 v13, s[0:1], s44, v5
	v_subbrev_co_u32_e64 v9, s[0:1], 0, v9, s[0:1]
	v_cmp_le_u32_e64 s[0:1], s45, v9
	v_cndmask_b32_e64 v14, 0, -1, s[0:1]
	v_cmp_le_u32_e64 s[0:1], s44, v13
	v_cndmask_b32_e64 v13, 0, -1, s[0:1]
	v_cmp_eq_u32_e64 s[0:1], s45, v9
	v_cndmask_b32_e64 v9, v14, v13, s[0:1]
	v_add_co_u32_e64 v13, s[0:1], 2, v11
	v_subb_co_u32_e32 v7, vcc, v7, v10, vcc
	v_addc_co_u32_e64 v14, s[0:1], 0, v12, s[0:1]
	v_cmp_le_u32_e32 vcc, s45, v7
	v_add_co_u32_e64 v15, s[0:1], 1, v11
	v_cndmask_b32_e64 v10, 0, -1, vcc
	v_cmp_le_u32_e32 vcc, s44, v5
	v_addc_co_u32_e64 v16, s[0:1], 0, v12, s[0:1]
	v_cndmask_b32_e64 v5, 0, -1, vcc
	v_cmp_eq_u32_e32 vcc, s45, v7
	v_cmp_ne_u32_e64 s[0:1], 0, v9
	v_cndmask_b32_e32 v5, v10, v5, vcc
	v_cmp_ne_u32_e32 vcc, 0, v5
	v_cndmask_b32_e64 v7, v15, v13, s[0:1]
	v_cndmask_b32_e64 v9, v16, v14, s[0:1]
	v_cndmask_b32_e32 v7, v11, v7, vcc
	v_cndmask_b32_e32 v5, v12, v9, vcc
	v_xor_b32_e32 v7, v7, v3
	v_xor_b32_e32 v5, v5, v3
	v_sub_co_u32_e32 v10, vcc, v7, v3
	v_subb_co_u32_e32 v11, vcc, v5, v3, vcc
.LBB13_15:                              ;   in Loop: Header=BB13_13 Depth=2
	s_andn2_saveexec_b64 s[0:1], s[40:41]
	s_cbranch_execz .LBB13_17
; %bb.16:                               ;   in Loop: Header=BB13_13 Depth=2
	v_cvt_f32_u32_e32 v3, s17
	s_sub_i32 s35, 0, s17
	v_mov_b32_e32 v11, v2
	v_rcp_iflag_f32_e32 v3, v3
	v_mul_f32_e32 v3, 0x4f7ffffe, v3
	v_cvt_u32_f32_e32 v3, v3
	v_mul_lo_u32 v5, s35, v3
	v_mul_hi_u32 v5, v3, v5
	v_add_u32_e32 v3, v3, v5
	v_mul_hi_u32 v3, v8, v3
	v_mul_lo_u32 v5, v3, s17
	v_add_u32_e32 v7, 1, v3
	v_sub_u32_e32 v5, v8, v5
	v_subrev_u32_e32 v9, s17, v5
	v_cmp_le_u32_e32 vcc, s17, v5
	v_cndmask_b32_e32 v5, v5, v9, vcc
	v_cndmask_b32_e32 v3, v3, v7, vcc
	v_add_u32_e32 v7, 1, v3
	v_cmp_le_u32_e32 vcc, s17, v5
	v_cndmask_b32_e32 v10, v3, v7, vcc
.LBB13_17:                              ;   in Loop: Header=BB13_13 Depth=2
	s_or_b64 exec, exec, s[0:1]
	s_add_u32 s0, s4, s36
	s_addc_u32 s1, s5, s37
	v_mul_lo_u32 v3, v10, s17
	s_load_dword s17, s[38:39], 0x6c
	s_load_dword s35, s[0:1], 0x6c
	s_add_i32 s20, s20, -1
	v_sub_u32_e32 v3, v8, v3
	s_waitcnt lgkmcnt(0)
	v_mad_u64_u32 v[6:7], s[0:1], s17, v3, v[6:7]
	v_mad_u64_u32 v[4:5], s[0:1], s35, v3, v[4:5]
	s_xor_b32 s0, s52, s15
	s_add_i32 s15, s15, 1
	s_cmp_lg_u32 s0, 2
	s_cbranch_scc0 .LBB13_19
; %bb.18:                               ;   in Loop: Header=BB13_13 Depth=2
	v_mov_b32_e32 v8, v10
	v_mov_b32_e32 v9, v11
	s_branch .LBB13_13
.LBB13_19:                              ;   in Loop: Header=BB13_3 Depth=1
	v_mov_b32_e32 v8, v10
	s_mov_b32 s0, s20
	v_mov_b32_e32 v9, v11
.LBB13_20:                              ;   in Loop: Header=BB13_3 Depth=1
	s_and_b64 vcc, exec, s[24:25]
	s_mov_b32 s20, s0
	s_cbranch_vccz .LBB13_39
.LBB13_21:                              ;   Parent Loop BB13_3 Depth=1
                                        ; =>  This Inner Loop Header: Depth=2
	s_lshl_b64 s[36:37], s[20:21], 2
	s_add_u32 s38, s46, s36
	s_addc_u32 s39, s47, s37
	s_load_dword s15, s[38:39], 0x8
                                        ; implicit-def: $vgpr10_vgpr11
	s_waitcnt lgkmcnt(0)
	s_ashr_i32 s0, s15, 31
	v_or_b32_e32 v3, s0, v9
	v_cmp_ne_u64_e32 vcc, 0, v[2:3]
	s_and_saveexec_b64 s[40:41], vcc
	s_xor_b64 s[40:41], exec, s[40:41]
	s_cbranch_execz .LBB13_23
; %bb.22:                               ;   in Loop: Header=BB13_21 Depth=2
	s_ashr_i32 s42, s0, 31
	s_add_u32 s44, s15, s42
	s_mov_b32 s43, s42
	s_addc_u32 s45, s0, s42
	s_xor_b64 s[44:45], s[44:45], s[42:43]
	v_cvt_f32_u32_e32 v3, s44
	v_cvt_f32_u32_e32 v5, s45
	s_sub_u32 s17, 0, s44
	s_subb_u32 s35, 0, s45
	v_mac_f32_e32 v3, 0x4f800000, v5
	v_rcp_f32_e32 v3, v3
	v_mul_f32_e32 v3, 0x5f7ffffc, v3
	v_mul_f32_e32 v5, 0x2f800000, v3
	v_trunc_f32_e32 v5, v5
	v_mac_f32_e32 v3, 0xcf800000, v5
	v_cvt_u32_f32_e32 v5, v5
	v_cvt_u32_f32_e32 v3, v3
	v_readfirstlane_b32 s43, v5
	v_readfirstlane_b32 s0, v3
	s_mul_i32 s1, s17, s43
	s_mul_hi_u32 s54, s17, s0
	s_mul_i32 s53, s35, s0
	s_add_i32 s1, s54, s1
	s_add_i32 s1, s1, s53
	s_mul_i32 s55, s17, s0
	s_mul_i32 s54, s0, s1
	s_mul_hi_u32 s56, s0, s55
	s_mul_hi_u32 s53, s0, s1
	s_add_u32 s54, s56, s54
	s_addc_u32 s53, 0, s53
	s_mul_hi_u32 s57, s43, s55
	s_mul_i32 s55, s43, s55
	s_add_u32 s54, s54, s55
	s_mul_hi_u32 s56, s43, s1
	s_addc_u32 s53, s53, s57
	s_addc_u32 s54, s56, 0
	s_mul_i32 s1, s43, s1
	s_add_u32 s1, s53, s1
	s_addc_u32 s53, 0, s54
	s_add_u32 s54, s0, s1
	s_cselect_b64 s[0:1], -1, 0
	s_cmp_lg_u64 s[0:1], 0
	s_addc_u32 s43, s43, s53
	s_mul_i32 s0, s17, s43
	s_mul_hi_u32 s1, s17, s54
	s_add_i32 s0, s1, s0
	s_mul_i32 s35, s35, s54
	s_add_i32 s0, s0, s35
	s_mul_i32 s17, s17, s54
	s_mul_hi_u32 s35, s43, s17
	s_mul_i32 s53, s43, s17
	s_mul_i32 s56, s54, s0
	s_mul_hi_u32 s17, s54, s17
	s_mul_hi_u32 s55, s54, s0
	s_add_u32 s17, s17, s56
	s_addc_u32 s55, 0, s55
	s_add_u32 s17, s17, s53
	s_mul_hi_u32 s1, s43, s0
	s_addc_u32 s17, s55, s35
	s_addc_u32 s1, s1, 0
	s_mul_i32 s0, s43, s0
	s_add_u32 s0, s17, s0
	s_addc_u32 s17, 0, s1
	s_add_u32 s35, s54, s0
	s_cselect_b64 s[0:1], -1, 0
	v_ashrrev_i32_e32 v3, 31, v9
	s_cmp_lg_u64 s[0:1], 0
	v_add_co_u32_e32 v5, vcc, v8, v3
	s_addc_u32 s17, s43, s17
	v_xor_b32_e32 v5, v5, v3
	v_addc_co_u32_e32 v7, vcc, v9, v3, vcc
	v_mad_u64_u32 v[9:10], s[0:1], v5, s17, 0
	v_mul_hi_u32 v11, v5, s35
	v_xor_b32_e32 v7, v7, v3
	v_xor_b32_e32 v3, s42, v3
	v_add_co_u32_e32 v13, vcc, v11, v9
	v_addc_co_u32_e32 v14, vcc, 0, v10, vcc
	v_mad_u64_u32 v[9:10], s[0:1], v7, s35, 0
	v_mad_u64_u32 v[11:12], s[0:1], v7, s17, 0
	v_add_co_u32_e32 v9, vcc, v13, v9
	v_addc_co_u32_e32 v9, vcc, v14, v10, vcc
	v_addc_co_u32_e32 v10, vcc, 0, v12, vcc
	v_add_co_u32_e32 v11, vcc, v9, v11
	v_addc_co_u32_e32 v12, vcc, 0, v10, vcc
	v_mul_lo_u32 v13, s45, v11
	v_mul_lo_u32 v14, s44, v12
	v_mad_u64_u32 v[9:10], s[0:1], s44, v11, 0
	v_add3_u32 v10, v10, v14, v13
	v_sub_u32_e32 v13, v7, v10
	v_mov_b32_e32 v14, s45
	v_sub_co_u32_e32 v5, vcc, v5, v9
	v_subb_co_u32_e64 v9, s[0:1], v13, v14, vcc
	v_subrev_co_u32_e64 v13, s[0:1], s44, v5
	v_subbrev_co_u32_e64 v9, s[0:1], 0, v9, s[0:1]
	v_cmp_le_u32_e64 s[0:1], s45, v9
	v_cndmask_b32_e64 v14, 0, -1, s[0:1]
	v_cmp_le_u32_e64 s[0:1], s44, v13
	v_cndmask_b32_e64 v13, 0, -1, s[0:1]
	v_cmp_eq_u32_e64 s[0:1], s45, v9
	v_cndmask_b32_e64 v9, v14, v13, s[0:1]
	v_add_co_u32_e64 v13, s[0:1], 2, v11
	v_subb_co_u32_e32 v7, vcc, v7, v10, vcc
	v_addc_co_u32_e64 v14, s[0:1], 0, v12, s[0:1]
	v_cmp_le_u32_e32 vcc, s45, v7
	v_add_co_u32_e64 v15, s[0:1], 1, v11
	v_cndmask_b32_e64 v10, 0, -1, vcc
	v_cmp_le_u32_e32 vcc, s44, v5
	v_addc_co_u32_e64 v16, s[0:1], 0, v12, s[0:1]
	v_cndmask_b32_e64 v5, 0, -1, vcc
	v_cmp_eq_u32_e32 vcc, s45, v7
	v_cmp_ne_u32_e64 s[0:1], 0, v9
	v_cndmask_b32_e32 v5, v10, v5, vcc
	v_cmp_ne_u32_e32 vcc, 0, v5
	v_cndmask_b32_e64 v7, v15, v13, s[0:1]
	v_cndmask_b32_e64 v9, v16, v14, s[0:1]
	v_cndmask_b32_e32 v7, v11, v7, vcc
	v_cndmask_b32_e32 v5, v12, v9, vcc
	v_xor_b32_e32 v7, v7, v3
	v_xor_b32_e32 v5, v5, v3
	v_sub_co_u32_e32 v10, vcc, v7, v3
	v_subb_co_u32_e32 v11, vcc, v5, v3, vcc
.LBB13_23:                              ;   in Loop: Header=BB13_21 Depth=2
	s_andn2_saveexec_b64 s[0:1], s[40:41]
	s_cbranch_execz .LBB13_25
; %bb.24:                               ;   in Loop: Header=BB13_21 Depth=2
	v_cvt_f32_u32_e32 v3, s15
	s_sub_i32 s17, 0, s15
	v_mov_b32_e32 v11, v2
	v_rcp_iflag_f32_e32 v3, v3
	v_mul_f32_e32 v3, 0x4f7ffffe, v3
	v_cvt_u32_f32_e32 v3, v3
	v_mul_lo_u32 v5, s17, v3
	v_mul_hi_u32 v5, v3, v5
	v_add_u32_e32 v3, v3, v5
	v_mul_hi_u32 v3, v8, v3
	v_mul_lo_u32 v5, v3, s15
	v_add_u32_e32 v7, 1, v3
	v_sub_u32_e32 v5, v8, v5
	v_subrev_u32_e32 v9, s15, v5
	v_cmp_le_u32_e32 vcc, s15, v5
	v_cndmask_b32_e32 v5, v5, v9, vcc
	v_cndmask_b32_e32 v3, v3, v7, vcc
	v_add_u32_e32 v7, 1, v3
	v_cmp_le_u32_e32 vcc, s15, v5
	v_cndmask_b32_e32 v10, v3, v7, vcc
.LBB13_25:                              ;   in Loop: Header=BB13_21 Depth=2
	s_or_b64 exec, exec, s[0:1]
	s_add_u32 s0, s4, s36
	s_addc_u32 s1, s5, s37
	s_add_i32 s36, s20, -1
	s_mov_b32 s37, s21
	s_lshl_b64 s[40:41], s[36:37], 2
	s_add_u32 s36, s46, s40
	s_addc_u32 s37, s47, s41
	s_load_dword s53, s[36:37], 0x8
	s_load_dword s35, s[38:39], 0x6c
	;; [unrolled: 1-line block ×3, first 2 shown]
                                        ; implicit-def: $vgpr12_vgpr13
	s_waitcnt lgkmcnt(0)
	s_ashr_i32 s0, s53, 31
	v_or_b32_e32 v3, s0, v11
	v_cmp_ne_u64_e32 vcc, 0, v[2:3]
	s_and_saveexec_b64 s[38:39], vcc
	s_xor_b64 s[38:39], exec, s[38:39]
	s_cbranch_execz .LBB13_27
; %bb.26:                               ;   in Loop: Header=BB13_21 Depth=2
	s_ashr_i32 s42, s0, 31
	s_add_u32 s44, s53, s42
	s_mov_b32 s43, s42
	s_addc_u32 s45, s0, s42
	s_xor_b64 s[44:45], s[44:45], s[42:43]
	v_cvt_f32_u32_e32 v3, s44
	v_cvt_f32_u32_e32 v5, s45
	s_sub_u32 s43, 0, s44
	s_subb_u32 s54, 0, s45
	v_mac_f32_e32 v3, 0x4f800000, v5
	v_rcp_f32_e32 v3, v3
	v_mul_f32_e32 v3, 0x5f7ffffc, v3
	v_mul_f32_e32 v5, 0x2f800000, v3
	v_trunc_f32_e32 v5, v5
	v_mac_f32_e32 v3, 0xcf800000, v5
	v_cvt_u32_f32_e32 v5, v5
	v_cvt_u32_f32_e32 v3, v3
	v_readfirstlane_b32 s55, v5
	v_readfirstlane_b32 s0, v3
	s_mul_i32 s1, s43, s55
	s_mul_hi_u32 s57, s43, s0
	s_mul_i32 s56, s54, s0
	s_add_i32 s1, s57, s1
	s_add_i32 s1, s1, s56
	s_mul_i32 s58, s43, s0
	s_mul_i32 s57, s0, s1
	s_mul_hi_u32 s59, s0, s58
	s_mul_hi_u32 s56, s0, s1
	s_add_u32 s57, s59, s57
	s_addc_u32 s56, 0, s56
	s_mul_hi_u32 s60, s55, s58
	s_mul_i32 s58, s55, s58
	s_add_u32 s57, s57, s58
	s_mul_hi_u32 s59, s55, s1
	s_addc_u32 s56, s56, s60
	s_addc_u32 s57, s59, 0
	s_mul_i32 s1, s55, s1
	s_add_u32 s1, s56, s1
	s_addc_u32 s56, 0, s57
	s_add_u32 s57, s0, s1
	s_cselect_b64 s[0:1], -1, 0
	s_cmp_lg_u64 s[0:1], 0
	s_addc_u32 s55, s55, s56
	s_mul_i32 s0, s43, s55
	s_mul_hi_u32 s1, s43, s57
	s_add_i32 s0, s1, s0
	s_mul_i32 s54, s54, s57
	s_add_i32 s0, s0, s54
	s_mul_i32 s43, s43, s57
	s_mul_hi_u32 s54, s55, s43
	s_mul_i32 s56, s55, s43
	s_mul_i32 s59, s57, s0
	s_mul_hi_u32 s43, s57, s43
	s_mul_hi_u32 s58, s57, s0
	s_add_u32 s43, s43, s59
	s_addc_u32 s58, 0, s58
	s_add_u32 s43, s43, s56
	s_mul_hi_u32 s1, s55, s0
	s_addc_u32 s43, s58, s54
	s_addc_u32 s1, s1, 0
	s_mul_i32 s0, s55, s0
	s_add_u32 s0, s43, s0
	s_addc_u32 s43, 0, s1
	s_add_u32 s54, s57, s0
	s_cselect_b64 s[0:1], -1, 0
	v_ashrrev_i32_e32 v3, 31, v11
	s_cmp_lg_u64 s[0:1], 0
	v_add_co_u32_e32 v5, vcc, v10, v3
	s_addc_u32 s43, s55, s43
	v_xor_b32_e32 v5, v5, v3
	v_addc_co_u32_e32 v7, vcc, v11, v3, vcc
	v_mad_u64_u32 v[11:12], s[0:1], v5, s43, 0
	v_mul_hi_u32 v9, v5, s54
	v_xor_b32_e32 v7, v7, v3
	v_mad_u64_u32 v[13:14], s[0:1], v7, s43, 0
	v_add_co_u32_e32 v9, vcc, v9, v11
	v_addc_co_u32_e32 v15, vcc, 0, v12, vcc
	v_mad_u64_u32 v[11:12], s[0:1], v7, s54, 0
	v_xor_b32_e32 v3, s42, v3
	v_add_co_u32_e32 v9, vcc, v9, v11
	v_addc_co_u32_e32 v9, vcc, v15, v12, vcc
	v_addc_co_u32_e32 v11, vcc, 0, v14, vcc
	v_add_co_u32_e32 v9, vcc, v9, v13
	v_addc_co_u32_e32 v13, vcc, 0, v11, vcc
	v_mul_lo_u32 v14, s45, v9
	v_mul_lo_u32 v15, s44, v13
	v_mad_u64_u32 v[11:12], s[0:1], s44, v9, 0
	v_add3_u32 v12, v12, v15, v14
	v_sub_u32_e32 v14, v7, v12
	v_mov_b32_e32 v15, s45
	v_sub_co_u32_e32 v5, vcc, v5, v11
	v_subb_co_u32_e64 v11, s[0:1], v14, v15, vcc
	v_subrev_co_u32_e64 v14, s[0:1], s44, v5
	v_subbrev_co_u32_e64 v11, s[0:1], 0, v11, s[0:1]
	v_cmp_le_u32_e64 s[0:1], s45, v11
	v_cndmask_b32_e64 v15, 0, -1, s[0:1]
	v_cmp_le_u32_e64 s[0:1], s44, v14
	v_cndmask_b32_e64 v14, 0, -1, s[0:1]
	v_cmp_eq_u32_e64 s[0:1], s45, v11
	v_cndmask_b32_e64 v11, v15, v14, s[0:1]
	v_add_co_u32_e64 v14, s[0:1], 2, v9
	v_subb_co_u32_e32 v7, vcc, v7, v12, vcc
	v_addc_co_u32_e64 v15, s[0:1], 0, v13, s[0:1]
	v_cmp_le_u32_e32 vcc, s45, v7
	v_add_co_u32_e64 v16, s[0:1], 1, v9
	v_cndmask_b32_e64 v12, 0, -1, vcc
	v_cmp_le_u32_e32 vcc, s44, v5
	v_addc_co_u32_e64 v17, s[0:1], 0, v13, s[0:1]
	v_cndmask_b32_e64 v5, 0, -1, vcc
	v_cmp_eq_u32_e32 vcc, s45, v7
	v_cmp_ne_u32_e64 s[0:1], 0, v11
	v_cndmask_b32_e32 v5, v12, v5, vcc
	v_cmp_ne_u32_e32 vcc, 0, v5
	v_cndmask_b32_e64 v7, v16, v14, s[0:1]
	v_cndmask_b32_e64 v11, v17, v15, s[0:1]
	v_cndmask_b32_e32 v7, v9, v7, vcc
	v_cndmask_b32_e32 v5, v13, v11, vcc
	v_xor_b32_e32 v7, v7, v3
	v_xor_b32_e32 v5, v5, v3
	v_sub_co_u32_e32 v12, vcc, v7, v3
	v_subb_co_u32_e32 v13, vcc, v5, v3, vcc
.LBB13_27:                              ;   in Loop: Header=BB13_21 Depth=2
	s_andn2_saveexec_b64 s[0:1], s[38:39]
	s_cbranch_execz .LBB13_29
; %bb.28:                               ;   in Loop: Header=BB13_21 Depth=2
	v_cvt_f32_u32_e32 v3, s53
	s_sub_i32 s38, 0, s53
	v_mov_b32_e32 v13, v2
	v_rcp_iflag_f32_e32 v3, v3
	v_mul_f32_e32 v3, 0x4f7ffffe, v3
	v_cvt_u32_f32_e32 v3, v3
	v_mul_lo_u32 v5, s38, v3
	v_mul_hi_u32 v5, v3, v5
	v_add_u32_e32 v3, v3, v5
	v_mul_hi_u32 v3, v10, v3
	v_mul_lo_u32 v5, v3, s53
	v_add_u32_e32 v7, 1, v3
	v_sub_u32_e32 v5, v10, v5
	v_subrev_u32_e32 v9, s53, v5
	v_cmp_le_u32_e32 vcc, s53, v5
	v_cndmask_b32_e32 v5, v5, v9, vcc
	v_cndmask_b32_e32 v3, v3, v7, vcc
	v_add_u32_e32 v7, 1, v3
	v_cmp_le_u32_e32 vcc, s53, v5
	v_cndmask_b32_e32 v12, v3, v7, vcc
.LBB13_29:                              ;   in Loop: Header=BB13_21 Depth=2
	s_or_b64 exec, exec, s[0:1]
	s_add_u32 s0, s4, s40
	s_addc_u32 s1, s5, s41
	s_add_i32 s38, s20, -2
	s_mov_b32 s39, s21
	s_lshl_b64 s[38:39], s[38:39], 2
	s_add_u32 s40, s46, s38
	s_addc_u32 s41, s47, s39
	s_load_dword s55, s[40:41], 0x8
	s_load_dword s56, s[36:37], 0x6c
	s_load_dword s54, s[0:1], 0x6c
                                        ; implicit-def: $vgpr14_vgpr15
	s_waitcnt lgkmcnt(0)
	s_ashr_i32 s0, s55, 31
	v_or_b32_e32 v3, s0, v13
	v_cmp_ne_u64_e32 vcc, 0, v[2:3]
	s_and_saveexec_b64 s[36:37], vcc
	s_xor_b64 s[36:37], exec, s[36:37]
	s_cbranch_execz .LBB13_31
; %bb.30:                               ;   in Loop: Header=BB13_21 Depth=2
	s_ashr_i32 s42, s0, 31
	s_add_u32 s44, s55, s42
	s_mov_b32 s43, s42
	s_addc_u32 s45, s0, s42
	s_xor_b64 s[44:45], s[44:45], s[42:43]
	v_cvt_f32_u32_e32 v3, s44
	v_cvt_f32_u32_e32 v5, s45
	s_sub_u32 s43, 0, s44
	s_subb_u32 s57, 0, s45
	v_mac_f32_e32 v3, 0x4f800000, v5
	v_rcp_f32_e32 v3, v3
	v_mul_f32_e32 v3, 0x5f7ffffc, v3
	v_mul_f32_e32 v5, 0x2f800000, v3
	v_trunc_f32_e32 v5, v5
	v_mac_f32_e32 v3, 0xcf800000, v5
	v_cvt_u32_f32_e32 v5, v5
	v_cvt_u32_f32_e32 v3, v3
	v_readfirstlane_b32 s58, v5
	v_readfirstlane_b32 s0, v3
	s_mul_i32 s1, s43, s58
	s_mul_hi_u32 s60, s43, s0
	s_mul_i32 s59, s57, s0
	s_add_i32 s1, s60, s1
	s_add_i32 s1, s1, s59
	s_mul_i32 s61, s43, s0
	s_mul_i32 s60, s0, s1
	s_mul_hi_u32 s62, s0, s61
	s_mul_hi_u32 s59, s0, s1
	s_add_u32 s60, s62, s60
	s_addc_u32 s59, 0, s59
	s_mul_hi_u32 s63, s58, s61
	s_mul_i32 s61, s58, s61
	s_add_u32 s60, s60, s61
	s_mul_hi_u32 s62, s58, s1
	s_addc_u32 s59, s59, s63
	s_addc_u32 s60, s62, 0
	s_mul_i32 s1, s58, s1
	s_add_u32 s1, s59, s1
	s_addc_u32 s59, 0, s60
	s_add_u32 s60, s0, s1
	s_cselect_b64 s[0:1], -1, 0
	s_cmp_lg_u64 s[0:1], 0
	s_addc_u32 s58, s58, s59
	s_mul_i32 s0, s43, s58
	s_mul_hi_u32 s1, s43, s60
	s_add_i32 s0, s1, s0
	s_mul_i32 s57, s57, s60
	s_add_i32 s0, s0, s57
	s_mul_i32 s43, s43, s60
	s_mul_hi_u32 s57, s58, s43
	s_mul_i32 s59, s58, s43
	s_mul_i32 s62, s60, s0
	s_mul_hi_u32 s43, s60, s43
	s_mul_hi_u32 s61, s60, s0
	s_add_u32 s43, s43, s62
	s_addc_u32 s61, 0, s61
	s_add_u32 s43, s43, s59
	s_mul_hi_u32 s1, s58, s0
	s_addc_u32 s43, s61, s57
	s_addc_u32 s1, s1, 0
	s_mul_i32 s0, s58, s0
	s_add_u32 s0, s43, s0
	s_addc_u32 s43, 0, s1
	s_add_u32 s57, s60, s0
	s_cselect_b64 s[0:1], -1, 0
	v_ashrrev_i32_e32 v3, 31, v13
	s_cmp_lg_u64 s[0:1], 0
	v_add_co_u32_e32 v5, vcc, v12, v3
	s_addc_u32 s43, s58, s43
	v_xor_b32_e32 v5, v5, v3
	v_addc_co_u32_e32 v7, vcc, v13, v3, vcc
	v_mad_u64_u32 v[13:14], s[0:1], v5, s43, 0
	v_mul_hi_u32 v9, v5, s57
	v_xor_b32_e32 v7, v7, v3
	v_mad_u64_u32 v[15:16], s[0:1], v7, s43, 0
	v_add_co_u32_e32 v9, vcc, v9, v13
	v_addc_co_u32_e32 v11, vcc, 0, v14, vcc
	v_mad_u64_u32 v[13:14], s[0:1], v7, s57, 0
	v_xor_b32_e32 v3, s42, v3
	v_add_co_u32_e32 v9, vcc, v9, v13
	v_addc_co_u32_e32 v9, vcc, v11, v14, vcc
	v_addc_co_u32_e32 v11, vcc, 0, v16, vcc
	v_add_co_u32_e32 v9, vcc, v9, v15
	v_addc_co_u32_e32 v11, vcc, 0, v11, vcc
	v_mul_lo_u32 v15, s45, v9
	v_mul_lo_u32 v16, s44, v11
	v_mad_u64_u32 v[13:14], s[0:1], s44, v9, 0
	v_add3_u32 v14, v14, v16, v15
	v_sub_u32_e32 v15, v7, v14
	v_mov_b32_e32 v16, s45
	v_sub_co_u32_e32 v5, vcc, v5, v13
	v_subb_co_u32_e64 v13, s[0:1], v15, v16, vcc
	v_subrev_co_u32_e64 v15, s[0:1], s44, v5
	v_subbrev_co_u32_e64 v13, s[0:1], 0, v13, s[0:1]
	v_cmp_le_u32_e64 s[0:1], s45, v13
	v_cndmask_b32_e64 v16, 0, -1, s[0:1]
	v_cmp_le_u32_e64 s[0:1], s44, v15
	v_cndmask_b32_e64 v15, 0, -1, s[0:1]
	v_cmp_eq_u32_e64 s[0:1], s45, v13
	v_cndmask_b32_e64 v13, v16, v15, s[0:1]
	v_add_co_u32_e64 v15, s[0:1], 2, v9
	v_subb_co_u32_e32 v7, vcc, v7, v14, vcc
	v_addc_co_u32_e64 v16, s[0:1], 0, v11, s[0:1]
	v_cmp_le_u32_e32 vcc, s45, v7
	v_add_co_u32_e64 v17, s[0:1], 1, v9
	v_cndmask_b32_e64 v14, 0, -1, vcc
	v_cmp_le_u32_e32 vcc, s44, v5
	v_addc_co_u32_e64 v20, s[0:1], 0, v11, s[0:1]
	v_cndmask_b32_e64 v5, 0, -1, vcc
	v_cmp_eq_u32_e32 vcc, s45, v7
	v_cmp_ne_u32_e64 s[0:1], 0, v13
	v_cndmask_b32_e32 v5, v14, v5, vcc
	v_cmp_ne_u32_e32 vcc, 0, v5
	v_cndmask_b32_e64 v7, v17, v15, s[0:1]
	v_cndmask_b32_e64 v13, v20, v16, s[0:1]
	v_cndmask_b32_e32 v7, v9, v7, vcc
	v_cndmask_b32_e32 v5, v11, v13, vcc
	v_xor_b32_e32 v7, v7, v3
	v_xor_b32_e32 v5, v5, v3
	v_sub_co_u32_e32 v14, vcc, v7, v3
	v_subb_co_u32_e32 v15, vcc, v5, v3, vcc
.LBB13_31:                              ;   in Loop: Header=BB13_21 Depth=2
	s_andn2_saveexec_b64 s[0:1], s[36:37]
	s_cbranch_execz .LBB13_33
; %bb.32:                               ;   in Loop: Header=BB13_21 Depth=2
	v_cvt_f32_u32_e32 v3, s55
	s_sub_i32 s36, 0, s55
	v_mov_b32_e32 v15, v2
	v_rcp_iflag_f32_e32 v3, v3
	v_mul_f32_e32 v3, 0x4f7ffffe, v3
	v_cvt_u32_f32_e32 v3, v3
	v_mul_lo_u32 v5, s36, v3
	v_mul_hi_u32 v5, v3, v5
	v_add_u32_e32 v3, v3, v5
	v_mul_hi_u32 v3, v12, v3
	v_mul_lo_u32 v5, v3, s55
	v_add_u32_e32 v7, 1, v3
	v_sub_u32_e32 v5, v12, v5
	v_subrev_u32_e32 v9, s55, v5
	v_cmp_le_u32_e32 vcc, s55, v5
	v_cndmask_b32_e32 v5, v5, v9, vcc
	v_cndmask_b32_e32 v3, v3, v7, vcc
	v_add_u32_e32 v7, 1, v3
	v_cmp_le_u32_e32 vcc, s55, v5
	v_cndmask_b32_e32 v14, v3, v7, vcc
.LBB13_33:                              ;   in Loop: Header=BB13_21 Depth=2
	s_or_b64 exec, exec, s[0:1]
	s_add_u32 s0, s4, s38
	s_addc_u32 s1, s5, s39
	s_add_i32 s36, s20, -3
	s_mov_b32 s37, s21
	s_lshl_b64 s[36:37], s[36:37], 2
	s_add_u32 s38, s46, s36
	s_addc_u32 s39, s47, s37
	s_load_dword s58, s[38:39], 0x8
	s_load_dword s59, s[40:41], 0x6c
	;; [unrolled: 1-line block ×3, first 2 shown]
                                        ; implicit-def: $vgpr16_vgpr17
	s_waitcnt lgkmcnt(0)
	s_ashr_i32 s0, s58, 31
	v_or_b32_e32 v3, s0, v15
	v_cmp_ne_u64_e32 vcc, 0, v[2:3]
	s_and_saveexec_b64 s[40:41], vcc
	s_xor_b64 s[40:41], exec, s[40:41]
	s_cbranch_execz .LBB13_35
; %bb.34:                               ;   in Loop: Header=BB13_21 Depth=2
	s_ashr_i32 s42, s0, 31
	s_add_u32 s44, s58, s42
	s_mov_b32 s43, s42
	s_addc_u32 s45, s0, s42
	s_xor_b64 s[44:45], s[44:45], s[42:43]
	v_cvt_f32_u32_e32 v3, s44
	v_cvt_f32_u32_e32 v5, s45
	s_sub_u32 s43, 0, s44
	s_subb_u32 s60, 0, s45
	v_mac_f32_e32 v3, 0x4f800000, v5
	v_rcp_f32_e32 v3, v3
	v_mul_f32_e32 v3, 0x5f7ffffc, v3
	v_mul_f32_e32 v5, 0x2f800000, v3
	v_trunc_f32_e32 v5, v5
	v_mac_f32_e32 v3, 0xcf800000, v5
	v_cvt_u32_f32_e32 v5, v5
	v_cvt_u32_f32_e32 v3, v3
	v_readfirstlane_b32 s61, v5
	v_readfirstlane_b32 s0, v3
	s_mul_i32 s1, s43, s61
	s_mul_hi_u32 s63, s43, s0
	s_mul_i32 s62, s60, s0
	s_add_i32 s1, s63, s1
	s_add_i32 s1, s1, s62
	s_mul_i32 s64, s43, s0
	s_mul_i32 s63, s0, s1
	s_mul_hi_u32 s65, s0, s64
	s_mul_hi_u32 s62, s0, s1
	s_add_u32 s63, s65, s63
	s_addc_u32 s62, 0, s62
	s_mul_hi_u32 s66, s61, s64
	s_mul_i32 s64, s61, s64
	s_add_u32 s63, s63, s64
	s_mul_hi_u32 s65, s61, s1
	s_addc_u32 s62, s62, s66
	s_addc_u32 s63, s65, 0
	s_mul_i32 s1, s61, s1
	s_add_u32 s1, s62, s1
	s_addc_u32 s62, 0, s63
	s_add_u32 s63, s0, s1
	s_cselect_b64 s[0:1], -1, 0
	s_cmp_lg_u64 s[0:1], 0
	s_addc_u32 s61, s61, s62
	s_mul_i32 s0, s43, s61
	s_mul_hi_u32 s1, s43, s63
	s_add_i32 s0, s1, s0
	s_mul_i32 s60, s60, s63
	s_add_i32 s0, s0, s60
	s_mul_i32 s43, s43, s63
	s_mul_hi_u32 s60, s61, s43
	s_mul_i32 s62, s61, s43
	s_mul_i32 s65, s63, s0
	s_mul_hi_u32 s43, s63, s43
	s_mul_hi_u32 s64, s63, s0
	s_add_u32 s43, s43, s65
	s_addc_u32 s64, 0, s64
	s_add_u32 s43, s43, s62
	s_mul_hi_u32 s1, s61, s0
	s_addc_u32 s43, s64, s60
	s_addc_u32 s1, s1, 0
	s_mul_i32 s0, s61, s0
	s_add_u32 s0, s43, s0
	s_addc_u32 s43, 0, s1
	s_add_u32 s60, s63, s0
	s_cselect_b64 s[0:1], -1, 0
	v_ashrrev_i32_e32 v3, 31, v15
	s_cmp_lg_u64 s[0:1], 0
	v_add_co_u32_e32 v5, vcc, v14, v3
	s_addc_u32 s43, s61, s43
	v_xor_b32_e32 v5, v5, v3
	v_addc_co_u32_e32 v7, vcc, v15, v3, vcc
	v_mad_u64_u32 v[15:16], s[0:1], v5, s43, 0
	v_mul_hi_u32 v9, v5, s60
	v_xor_b32_e32 v7, v7, v3
	v_mad_u64_u32 v[20:21], s[0:1], v7, s43, 0
	v_add_co_u32_e32 v9, vcc, v9, v15
	v_addc_co_u32_e32 v11, vcc, 0, v16, vcc
	v_mad_u64_u32 v[15:16], s[0:1], v7, s60, 0
	v_xor_b32_e32 v3, s42, v3
	v_add_co_u32_e32 v9, vcc, v9, v15
	v_addc_co_u32_e32 v9, vcc, v11, v16, vcc
	v_addc_co_u32_e32 v11, vcc, 0, v21, vcc
	v_add_co_u32_e32 v9, vcc, v9, v20
	v_addc_co_u32_e32 v11, vcc, 0, v11, vcc
	v_mul_lo_u32 v13, s45, v9
	v_mul_lo_u32 v17, s44, v11
	v_mad_u64_u32 v[15:16], s[0:1], s44, v9, 0
	v_add3_u32 v13, v16, v17, v13
	v_sub_u32_e32 v16, v7, v13
	v_mov_b32_e32 v17, s45
	v_sub_co_u32_e32 v5, vcc, v5, v15
	v_subb_co_u32_e64 v15, s[0:1], v16, v17, vcc
	v_subrev_co_u32_e64 v16, s[0:1], s44, v5
	v_subbrev_co_u32_e64 v15, s[0:1], 0, v15, s[0:1]
	v_cmp_le_u32_e64 s[0:1], s45, v15
	v_cndmask_b32_e64 v17, 0, -1, s[0:1]
	v_cmp_le_u32_e64 s[0:1], s44, v16
	v_cndmask_b32_e64 v16, 0, -1, s[0:1]
	v_cmp_eq_u32_e64 s[0:1], s45, v15
	v_cndmask_b32_e64 v15, v17, v16, s[0:1]
	v_add_co_u32_e64 v16, s[0:1], 2, v9
	v_subb_co_u32_e32 v7, vcc, v7, v13, vcc
	v_addc_co_u32_e64 v17, s[0:1], 0, v11, s[0:1]
	v_cmp_le_u32_e32 vcc, s45, v7
	v_add_co_u32_e64 v20, s[0:1], 1, v9
	v_cndmask_b32_e64 v13, 0, -1, vcc
	v_cmp_le_u32_e32 vcc, s44, v5
	v_addc_co_u32_e64 v21, s[0:1], 0, v11, s[0:1]
	v_cndmask_b32_e64 v5, 0, -1, vcc
	v_cmp_eq_u32_e32 vcc, s45, v7
	v_cmp_ne_u32_e64 s[0:1], 0, v15
	v_cndmask_b32_e32 v5, v13, v5, vcc
	v_cmp_ne_u32_e32 vcc, 0, v5
	v_cndmask_b32_e64 v7, v20, v16, s[0:1]
	v_cndmask_b32_e64 v15, v21, v17, s[0:1]
	v_cndmask_b32_e32 v7, v9, v7, vcc
	v_cndmask_b32_e32 v5, v11, v15, vcc
	v_xor_b32_e32 v7, v7, v3
	v_xor_b32_e32 v5, v5, v3
	v_sub_co_u32_e32 v16, vcc, v7, v3
	v_subb_co_u32_e32 v17, vcc, v5, v3, vcc
.LBB13_35:                              ;   in Loop: Header=BB13_21 Depth=2
	s_andn2_saveexec_b64 s[0:1], s[40:41]
	s_cbranch_execz .LBB13_37
; %bb.36:                               ;   in Loop: Header=BB13_21 Depth=2
	v_cvt_f32_u32_e32 v3, s58
	s_sub_i32 s40, 0, s58
	v_mov_b32_e32 v17, v2
	v_rcp_iflag_f32_e32 v3, v3
	v_mul_f32_e32 v3, 0x4f7ffffe, v3
	v_cvt_u32_f32_e32 v3, v3
	v_mul_lo_u32 v5, s40, v3
	v_mul_hi_u32 v5, v3, v5
	v_add_u32_e32 v3, v3, v5
	v_mul_hi_u32 v3, v14, v3
	v_mul_lo_u32 v5, v3, s58
	v_add_u32_e32 v7, 1, v3
	v_sub_u32_e32 v5, v14, v5
	v_subrev_u32_e32 v9, s58, v5
	v_cmp_le_u32_e32 vcc, s58, v5
	v_cndmask_b32_e32 v5, v5, v9, vcc
	v_cndmask_b32_e32 v3, v3, v7, vcc
	v_add_u32_e32 v7, 1, v3
	v_cmp_le_u32_e32 vcc, s58, v5
	v_cndmask_b32_e32 v16, v3, v7, vcc
.LBB13_37:                              ;   in Loop: Header=BB13_21 Depth=2
	s_or_b64 exec, exec, s[0:1]
	v_mul_lo_u32 v3, v10, s15
	v_mul_lo_u32 v5, v12, s53
	;; [unrolled: 1-line block ×3, first 2 shown]
	s_add_u32 s0, s4, s36
	v_sub_u32_e32 v3, v8, v3
	v_sub_u32_e32 v5, v10, v5
	v_mul_lo_u32 v7, s35, v3
	v_mul_lo_u32 v8, s56, v5
	s_addc_u32 s1, s5, s37
	s_load_dword s15, s[38:39], 0x6c
	v_mul_lo_u32 v3, s17, v3
	v_add3_u32 v6, v7, v6, v8
	v_sub_u32_e32 v7, v12, v9
	v_mul_lo_u32 v9, v16, s58
	s_load_dword s0, s[0:1], 0x6c
	v_mul_lo_u32 v5, s54, v5
	v_mul_lo_u32 v8, s59, v7
	v_sub_u32_e32 v9, v14, v9
	s_waitcnt lgkmcnt(0)
	v_mul_lo_u32 v10, s15, v9
	v_add3_u32 v3, v3, v4, v5
	v_mul_lo_u32 v4, s57, v7
	v_mul_lo_u32 v5, s0, v9
	s_add_i32 s20, s20, -4
	v_add3_u32 v6, v8, v6, v10
	s_cmp_eq_u32 s20, -1
	v_add3_u32 v4, v4, v3, v5
	s_cbranch_scc1 .LBB13_39
; %bb.38:                               ;   in Loop: Header=BB13_21 Depth=2
	v_mov_b32_e32 v8, v16
	v_mov_b32_e32 v9, v17
	s_branch .LBB13_21
.LBB13_39:                              ;   in Loop: Header=BB13_3 Depth=1
	v_sub_u32_e32 v8, v18, v19
	v_ashrrev_i32_e32 v9, 31, v8
	v_cmp_ge_i64_e32 vcc, s[8:9], v[8:9]
	v_mov_b32_e32 v10, 0
	v_mov_b32_e32 v12, 0
	;; [unrolled: 1-line block ×4, first 2 shown]
	s_and_saveexec_b64 s[0:1], vcc
	s_cbranch_execz .LBB13_45
; %bb.40:                               ;   in Loop: Header=BB13_3 Depth=1
	v_mov_b32_e32 v10, 0
	v_mov_b32_e32 v14, 0
	;; [unrolled: 1-line block ×4, first 2 shown]
	v_cmp_gt_i32_e32 vcc, s7, v18
	s_and_saveexec_b64 s[36:37], vcc
	s_cbranch_execz .LBB13_44
; %bb.41:                               ;   in Loop: Header=BB13_3 Depth=1
	v_ashrrev_i32_e32 v7, 31, v6
	v_lshlrev_b64 v[5:6], 3, v[6:7]
	v_mov_b32_e32 v3, s3
	v_add_co_u32_e32 v5, vcc, s2, v5
	v_addc_co_u32_e32 v6, vcc, v3, v6, vcc
	global_load_dwordx2 v[10:11], v[5:6], off
	v_add_u32_e32 v3, 1, v18
	v_mov_b32_e32 v14, 0
	v_mov_b32_e32 v15, 0
	v_cmp_gt_i32_e32 vcc, s7, v3
	s_and_saveexec_b64 s[38:39], vcc
	s_xor_b64 s[38:39], exec, s[38:39]
	s_cbranch_execz .LBB13_43
; %bb.42:                               ;   in Loop: Header=BB13_3 Depth=1
	s_lshl_b64 s[40:41], s[26:27], 3
	v_mov_b32_e32 v3, s41
	v_add_co_u32_e32 v5, vcc, s40, v5
	v_addc_co_u32_e32 v6, vcc, v6, v3, vcc
	global_load_dwordx2 v[14:15], v[5:6], off
.LBB13_43:                              ;   in Loop: Header=BB13_3 Depth=1
	s_or_b64 exec, exec, s[38:39]
.LBB13_44:                              ;   in Loop: Header=BB13_3 Depth=1
	s_or_b64 exec, exec, s[36:37]
	v_cmp_ge_i64_e32 vcc, s[8:9], v[8:9]
	v_add_u32_e32 v5, 1, v8
	v_ashrrev_i32_e32 v6, 31, v5
	s_waitcnt vmcnt(0)
	v_cndmask_b32_e32 v13, 0, v11, vcc
	v_cndmask_b32_e32 v12, 0, v10, vcc
	v_cmp_ge_i64_e32 vcc, s[8:9], v[5:6]
	v_cndmask_b32_e32 v11, 0, v15, vcc
	v_cndmask_b32_e32 v10, 0, v14, vcc
.LBB13_45:                              ;   in Loop: Header=BB13_3 Depth=1
	s_or_b64 exec, exec, s[0:1]
	v_cmp_gt_i32_e32 vcc, s7, v18
	s_and_saveexec_b64 s[0:1], vcc
	s_cbranch_execz .LBB13_2
; %bb.46:                               ;   in Loop: Header=BB13_3 Depth=1
	v_ashrrev_i32_e32 v5, 31, v4
	v_lshlrev_b64 v[3:4], 3, v[4:5]
	v_mov_b32_e32 v5, s19
	v_add_co_u32_e32 v3, vcc, s18, v3
	v_addc_co_u32_e32 v4, vcc, v5, v4, vcc
	v_add_u32_e32 v5, 1, v18
	v_cmp_gt_i32_e32 vcc, s7, v5
	global_store_dwordx2 v[3:4], v[12:13], off
	s_and_saveexec_b64 s[36:37], vcc
	s_xor_b64 s[36:37], exec, s[36:37]
	s_cbranch_execz .LBB13_2
; %bb.47:                               ;   in Loop: Header=BB13_3 Depth=1
	s_lshl_b64 s[36:37], s[28:29], 3
	v_mov_b32_e32 v5, s37
	v_add_co_u32_e32 v3, vcc, s36, v3
	v_addc_co_u32_e32 v4, vcc, v4, v5, vcc
	global_store_dwordx2 v[3:4], v[10:11], off
	s_branch .LBB13_2
.LBB13_48:
	s_endpgm
	.section	.rodata,"a",@progbits
	.p2align	6, 0x0
	.amdhsa_kernel _ZN2at6native16triu_tril_kernelIliLb0ELi2ELb0EEEvNS_4cuda6detail10TensorInfoIT_T0_EENS4_IKS5_S6_EEllS6_
		.amdhsa_group_segment_fixed_size 0
		.amdhsa_private_segment_fixed_size 0
		.amdhsa_kernarg_size 712
		.amdhsa_user_sgpr_count 6
		.amdhsa_user_sgpr_private_segment_buffer 1
		.amdhsa_user_sgpr_dispatch_ptr 0
		.amdhsa_user_sgpr_queue_ptr 0
		.amdhsa_user_sgpr_kernarg_segment_ptr 1
		.amdhsa_user_sgpr_dispatch_id 0
		.amdhsa_user_sgpr_flat_scratch_init 0
		.amdhsa_user_sgpr_private_segment_size 0
		.amdhsa_uses_dynamic_stack 0
		.amdhsa_system_sgpr_private_segment_wavefront_offset 0
		.amdhsa_system_sgpr_workgroup_id_x 1
		.amdhsa_system_sgpr_workgroup_id_y 0
		.amdhsa_system_sgpr_workgroup_id_z 0
		.amdhsa_system_sgpr_workgroup_info 0
		.amdhsa_system_vgpr_workitem_id 0
		.amdhsa_next_free_vgpr 22
		.amdhsa_next_free_sgpr 67
		.amdhsa_reserve_vcc 1
		.amdhsa_reserve_flat_scratch 0
		.amdhsa_float_round_mode_32 0
		.amdhsa_float_round_mode_16_64 0
		.amdhsa_float_denorm_mode_32 3
		.amdhsa_float_denorm_mode_16_64 3
		.amdhsa_dx10_clamp 1
		.amdhsa_ieee_mode 1
		.amdhsa_fp16_overflow 0
		.amdhsa_exception_fp_ieee_invalid_op 0
		.amdhsa_exception_fp_denorm_src 0
		.amdhsa_exception_fp_ieee_div_zero 0
		.amdhsa_exception_fp_ieee_overflow 0
		.amdhsa_exception_fp_ieee_underflow 0
		.amdhsa_exception_fp_ieee_inexact 0
		.amdhsa_exception_int_div_zero 0
	.end_amdhsa_kernel
	.section	.text._ZN2at6native16triu_tril_kernelIliLb0ELi2ELb0EEEvNS_4cuda6detail10TensorInfoIT_T0_EENS4_IKS5_S6_EEllS6_,"axG",@progbits,_ZN2at6native16triu_tril_kernelIliLb0ELi2ELb0EEEvNS_4cuda6detail10TensorInfoIT_T0_EENS4_IKS5_S6_EEllS6_,comdat
.Lfunc_end13:
	.size	_ZN2at6native16triu_tril_kernelIliLb0ELi2ELb0EEEvNS_4cuda6detail10TensorInfoIT_T0_EENS4_IKS5_S6_EEllS6_, .Lfunc_end13-_ZN2at6native16triu_tril_kernelIliLb0ELi2ELb0EEEvNS_4cuda6detail10TensorInfoIT_T0_EENS4_IKS5_S6_EEllS6_
                                        ; -- End function
	.set _ZN2at6native16triu_tril_kernelIliLb0ELi2ELb0EEEvNS_4cuda6detail10TensorInfoIT_T0_EENS4_IKS5_S6_EEllS6_.num_vgpr, 22
	.set _ZN2at6native16triu_tril_kernelIliLb0ELi2ELb0EEEvNS_4cuda6detail10TensorInfoIT_T0_EENS4_IKS5_S6_EEllS6_.num_agpr, 0
	.set _ZN2at6native16triu_tril_kernelIliLb0ELi2ELb0EEEvNS_4cuda6detail10TensorInfoIT_T0_EENS4_IKS5_S6_EEllS6_.numbered_sgpr, 67
	.set _ZN2at6native16triu_tril_kernelIliLb0ELi2ELb0EEEvNS_4cuda6detail10TensorInfoIT_T0_EENS4_IKS5_S6_EEllS6_.num_named_barrier, 0
	.set _ZN2at6native16triu_tril_kernelIliLb0ELi2ELb0EEEvNS_4cuda6detail10TensorInfoIT_T0_EENS4_IKS5_S6_EEllS6_.private_seg_size, 0
	.set _ZN2at6native16triu_tril_kernelIliLb0ELi2ELb0EEEvNS_4cuda6detail10TensorInfoIT_T0_EENS4_IKS5_S6_EEllS6_.uses_vcc, 1
	.set _ZN2at6native16triu_tril_kernelIliLb0ELi2ELb0EEEvNS_4cuda6detail10TensorInfoIT_T0_EENS4_IKS5_S6_EEllS6_.uses_flat_scratch, 0
	.set _ZN2at6native16triu_tril_kernelIliLb0ELi2ELb0EEEvNS_4cuda6detail10TensorInfoIT_T0_EENS4_IKS5_S6_EEllS6_.has_dyn_sized_stack, 0
	.set _ZN2at6native16triu_tril_kernelIliLb0ELi2ELb0EEEvNS_4cuda6detail10TensorInfoIT_T0_EENS4_IKS5_S6_EEllS6_.has_recursion, 0
	.set _ZN2at6native16triu_tril_kernelIliLb0ELi2ELb0EEEvNS_4cuda6detail10TensorInfoIT_T0_EENS4_IKS5_S6_EEllS6_.has_indirect_call, 0
	.section	.AMDGPU.csdata,"",@progbits
; Kernel info:
; codeLenInByte = 6368
; TotalNumSgprs: 71
; NumVgprs: 22
; ScratchSize: 0
; MemoryBound: 0
; FloatMode: 240
; IeeeMode: 1
; LDSByteSize: 0 bytes/workgroup (compile time only)
; SGPRBlocks: 8
; VGPRBlocks: 5
; NumSGPRsForWavesPerEU: 71
; NumVGPRsForWavesPerEU: 22
; Occupancy: 10
; WaveLimiterHint : 1
; COMPUTE_PGM_RSRC2:SCRATCH_EN: 0
; COMPUTE_PGM_RSRC2:USER_SGPR: 6
; COMPUTE_PGM_RSRC2:TRAP_HANDLER: 0
; COMPUTE_PGM_RSRC2:TGID_X_EN: 1
; COMPUTE_PGM_RSRC2:TGID_Y_EN: 0
; COMPUTE_PGM_RSRC2:TGID_Z_EN: 0
; COMPUTE_PGM_RSRC2:TIDIG_COMP_CNT: 0
	.section	.text._ZN2at6native16triu_tril_kernelIllLb0ELi2ELb1EEEvNS_4cuda6detail10TensorInfoIT_T0_EENS4_IKS5_S6_EEllS6_,"axG",@progbits,_ZN2at6native16triu_tril_kernelIllLb0ELi2ELb1EEEvNS_4cuda6detail10TensorInfoIT_T0_EENS4_IKS5_S6_EEllS6_,comdat
	.protected	_ZN2at6native16triu_tril_kernelIllLb0ELi2ELb1EEEvNS_4cuda6detail10TensorInfoIT_T0_EENS4_IKS5_S6_EEllS6_ ; -- Begin function _ZN2at6native16triu_tril_kernelIllLb0ELi2ELb1EEEvNS_4cuda6detail10TensorInfoIT_T0_EENS4_IKS5_S6_EEllS6_
	.globl	_ZN2at6native16triu_tril_kernelIllLb0ELi2ELb1EEEvNS_4cuda6detail10TensorInfoIT_T0_EENS4_IKS5_S6_EEllS6_
	.p2align	8
	.type	_ZN2at6native16triu_tril_kernelIllLb0ELi2ELb1EEEvNS_4cuda6detail10TensorInfoIT_T0_EENS4_IKS5_S6_EEllS6_,@function
_ZN2at6native16triu_tril_kernelIllLb0ELi2ELb1EEEvNS_4cuda6detail10TensorInfoIT_T0_EENS4_IKS5_S6_EEllS6_: ; @_ZN2at6native16triu_tril_kernelIllLb0ELi2ELb1EEEvNS_4cuda6detail10TensorInfoIT_T0_EENS4_IKS5_S6_EEllS6_
; %bb.0:
	s_load_dword s2, s[4:5], 0x364
	s_load_dwordx4 s[8:11], s[4:5], 0x340
	s_add_u32 s0, s4, 0x358
	v_mov_b32_e32 v2, 0
	s_addc_u32 s1, s5, 0
	s_waitcnt lgkmcnt(0)
	s_and_b32 s2, s2, 0xffff
	v_mov_b32_e32 v1, v2
	v_mov_b32_e32 v3, s6
	v_mad_u64_u32 v[0:1], s[6:7], s2, v3, v[0:1]
	v_lshlrev_b64 v[0:1], 1, v[0:1]
	v_cmp_gt_i64_e32 vcc, s[10:11], v[0:1]
	s_and_saveexec_b64 s[6:7], vcc
	s_cbranch_execz .LBB14_43
; %bb.1:
	s_load_dword s1, s[0:1], 0x0
	s_add_u32 s34, s4, 0x1a0
	s_load_dword s0, s[4:5], 0x338
	s_addc_u32 s35, s5, 0
	s_load_dwordx2 s[6:7], s[4:5], 0x350
	s_load_dwordx2 s[12:13], s[4:5], 0x0
	s_waitcnt lgkmcnt(0)
	s_mul_i32 s24, s1, s2
	s_mov_b32 s25, 0
	s_add_i32 s2, s0, -2
	s_ashr_i32 s3, s2, 31
	s_ashr_i32 s1, s0, 31
	s_lshl_b64 s[16:17], s[2:3], 3
	s_add_u32 s16, s34, s16
	s_addc_u32 s17, s35, s17
	s_lshl_b64 s[22:23], s[0:1], 3
	s_add_u32 s18, s4, s22
	s_addc_u32 s19, s5, s23
	s_add_i32 s20, s0, -3
	s_ashr_i32 s21, s20, 31
	s_add_u32 s22, s34, s22
	v_cmp_gt_i64_e64 s[14:15], s[0:1], 2
	s_addc_u32 s23, s35, s23
	s_lshl_b32 s33, s24, 1
	s_and_b32 s24, s2, 3
	s_and_b32 s0, s20, 3
	s_cmp_lg_u32 s0, 3
	s_cselect_b64 s[26:27], -1, 0
	s_cmp_gt_u32 s20, 2
	s_cselect_b64 s[28:29], -1, 0
	s_lshl_b64 s[0:1], s[20:21], 3
	s_add_u32 s2, s4, s0
	s_addc_u32 s3, s5, s1
	s_add_u32 s30, s2, 0xd0
	s_addc_u32 s31, s3, 0
	;; [unrolled: 2-line block ×3, first 2 shown]
	s_add_u32 s34, s0, 8
	s_load_dwordx2 s[16:17], s[16:17], 0x8
	s_addc_u32 s35, s1, 0
	s_add_u32 s64, s4, 0xb8
	s_addc_u32 s65, s5, 0
	s_add_u32 s66, s4, 0x190
	s_addc_u32 s67, s5, 0
	s_mov_b64 s[4:5], 0
	s_branch .LBB14_3
.LBB14_2:                               ;   in Loop: Header=BB14_3 Depth=1
	s_or_b64 exec, exec, s[36:37]
	v_add_co_u32_e32 v0, vcc, s33, v0
	v_addc_co_u32_e32 v1, vcc, 0, v1, vcc
	v_cmp_le_i64_e32 vcc, s[10:11], v[0:1]
	s_or_b64 s[4:5], vcc, s[4:5]
	s_andn2_b64 exec, exec, s[4:5]
	s_cbranch_execz .LBB14_43
.LBB14_3:                               ; =>This Loop Header: Depth=1
                                        ;     Child Loop BB14_17 Depth 2
                                        ;     Child Loop BB14_22 Depth 2
	v_or_b32_e32 v3, s7, v1
	v_cmp_ne_u64_e32 vcc, 0, v[2:3]
                                        ; implicit-def: $vgpr6_vgpr7
	s_and_saveexec_b64 s[0:1], vcc
	s_xor_b64 s[2:3], exec, s[0:1]
	s_cbranch_execz .LBB14_5
; %bb.4:                                ;   in Loop: Header=BB14_3 Depth=1
	s_ashr_i32 s36, s7, 31
	s_add_u32 s0, s6, s36
	s_mov_b32 s37, s36
	s_addc_u32 s1, s7, s36
	s_xor_b64 s[38:39], s[0:1], s[36:37]
	v_cvt_f32_u32_e32 v3, s38
	v_cvt_f32_u32_e32 v4, s39
	s_sub_u32 s37, 0, s38
	s_subb_u32 s40, 0, s39
	v_ashrrev_i32_e32 v7, 31, v1
	v_mac_f32_e32 v3, 0x4f800000, v4
	v_rcp_f32_e32 v3, v3
	v_mul_f32_e32 v3, 0x5f7ffffc, v3
	v_mul_f32_e32 v4, 0x2f800000, v3
	v_trunc_f32_e32 v4, v4
	v_mac_f32_e32 v3, 0xcf800000, v4
	v_cvt_u32_f32_e32 v4, v4
	v_cvt_u32_f32_e32 v3, v3
	v_readfirstlane_b32 s41, v4
	v_readfirstlane_b32 s0, v3
	s_mul_i32 s1, s37, s41
	s_mul_hi_u32 s43, s37, s0
	s_mul_i32 s42, s40, s0
	s_add_i32 s1, s43, s1
	s_add_i32 s1, s1, s42
	s_mul_i32 s44, s37, s0
	s_mul_i32 s43, s0, s1
	s_mul_hi_u32 s45, s0, s44
	s_mul_hi_u32 s42, s0, s1
	s_add_u32 s43, s45, s43
	s_addc_u32 s42, 0, s42
	s_mul_hi_u32 s46, s41, s44
	s_mul_i32 s44, s41, s44
	s_add_u32 s43, s43, s44
	s_mul_hi_u32 s45, s41, s1
	s_addc_u32 s42, s42, s46
	s_addc_u32 s43, s45, 0
	s_mul_i32 s1, s41, s1
	s_add_u32 s1, s42, s1
	s_addc_u32 s42, 0, s43
	s_add_u32 s43, s0, s1
	s_cselect_b64 s[0:1], -1, 0
	s_cmp_lg_u64 s[0:1], 0
	s_addc_u32 s41, s41, s42
	s_mul_i32 s0, s37, s41
	s_mul_hi_u32 s1, s37, s43
	s_add_i32 s0, s1, s0
	s_mul_i32 s40, s40, s43
	s_add_i32 s0, s0, s40
	s_mul_i32 s37, s37, s43
	s_mul_hi_u32 s40, s41, s37
	s_mul_i32 s42, s41, s37
	s_mul_i32 s45, s43, s0
	s_mul_hi_u32 s37, s43, s37
	s_mul_hi_u32 s44, s43, s0
	s_add_u32 s37, s37, s45
	s_addc_u32 s44, 0, s44
	s_add_u32 s37, s37, s42
	s_mul_hi_u32 s1, s41, s0
	s_addc_u32 s37, s44, s40
	s_addc_u32 s1, s1, 0
	s_mul_i32 s0, s41, s0
	s_add_u32 s0, s37, s0
	s_addc_u32 s37, 0, s1
	s_add_u32 s40, s43, s0
	s_cselect_b64 s[0:1], -1, 0
	s_cmp_lg_u64 s[0:1], 0
	v_add_co_u32_e32 v3, vcc, v0, v7
	s_addc_u32 s37, s41, s37
	v_xor_b32_e32 v8, v3, v7
	v_mad_u64_u32 v[3:4], s[0:1], v8, s37, 0
	v_mul_hi_u32 v6, v8, s40
	v_addc_co_u32_e32 v5, vcc, v1, v7, vcc
	v_xor_b32_e32 v9, v5, v7
	v_add_co_u32_e32 v10, vcc, v6, v3
	v_addc_co_u32_e32 v11, vcc, 0, v4, vcc
	v_mad_u64_u32 v[3:4], s[0:1], v9, s40, 0
	v_mad_u64_u32 v[5:6], s[0:1], v9, s37, 0
	v_add_co_u32_e32 v3, vcc, v10, v3
	v_addc_co_u32_e32 v3, vcc, v11, v4, vcc
	v_addc_co_u32_e32 v4, vcc, 0, v6, vcc
	v_add_co_u32_e32 v5, vcc, v3, v5
	v_addc_co_u32_e32 v6, vcc, 0, v4, vcc
	v_mul_lo_u32 v10, s39, v5
	v_mul_lo_u32 v11, s38, v6
	v_mad_u64_u32 v[3:4], s[0:1], s38, v5, 0
	v_add3_u32 v4, v4, v11, v10
	v_sub_u32_e32 v10, v9, v4
	v_mov_b32_e32 v11, s39
	v_sub_co_u32_e32 v3, vcc, v8, v3
	v_subb_co_u32_e64 v8, s[0:1], v10, v11, vcc
	v_subrev_co_u32_e64 v10, s[0:1], s38, v3
	v_subbrev_co_u32_e64 v8, s[0:1], 0, v8, s[0:1]
	v_cmp_le_u32_e64 s[0:1], s39, v8
	v_cndmask_b32_e64 v11, 0, -1, s[0:1]
	v_cmp_le_u32_e64 s[0:1], s38, v10
	v_cndmask_b32_e64 v10, 0, -1, s[0:1]
	v_cmp_eq_u32_e64 s[0:1], s39, v8
	v_cndmask_b32_e64 v8, v11, v10, s[0:1]
	v_add_co_u32_e64 v10, s[0:1], 2, v5
	v_subb_co_u32_e32 v4, vcc, v9, v4, vcc
	v_addc_co_u32_e64 v11, s[0:1], 0, v6, s[0:1]
	v_cmp_le_u32_e32 vcc, s39, v4
	v_add_co_u32_e64 v12, s[0:1], 1, v5
	v_cndmask_b32_e64 v9, 0, -1, vcc
	v_cmp_le_u32_e32 vcc, s38, v3
	v_addc_co_u32_e64 v13, s[0:1], 0, v6, s[0:1]
	v_cndmask_b32_e64 v3, 0, -1, vcc
	v_cmp_eq_u32_e32 vcc, s39, v4
	v_cmp_ne_u32_e64 s[0:1], 0, v8
	v_cndmask_b32_e32 v3, v9, v3, vcc
	v_cmp_ne_u32_e32 vcc, 0, v3
	v_cndmask_b32_e64 v4, v12, v10, s[0:1]
	v_cndmask_b32_e64 v8, v13, v11, s[0:1]
	v_cndmask_b32_e32 v4, v5, v4, vcc
	v_xor_b32_e32 v5, s36, v7
	v_cndmask_b32_e32 v3, v6, v8, vcc
	v_xor_b32_e32 v4, v4, v5
	v_xor_b32_e32 v3, v3, v5
	v_sub_co_u32_e32 v6, vcc, v4, v5
	v_subb_co_u32_e32 v7, vcc, v3, v5, vcc
.LBB14_5:                               ;   in Loop: Header=BB14_3 Depth=1
	s_andn2_saveexec_b64 s[0:1], s[2:3]
	s_cbranch_execz .LBB14_7
; %bb.6:                                ;   in Loop: Header=BB14_3 Depth=1
	v_cvt_f32_u32_e32 v3, s6
	s_sub_i32 s2, 0, s6
	v_mov_b32_e32 v7, v2
	v_rcp_iflag_f32_e32 v3, v3
	v_mul_f32_e32 v3, 0x4f7ffffe, v3
	v_cvt_u32_f32_e32 v3, v3
	v_mul_lo_u32 v4, s2, v3
	v_mul_hi_u32 v4, v3, v4
	v_add_u32_e32 v3, v3, v4
	v_mul_hi_u32 v3, v0, v3
	v_mul_lo_u32 v4, v3, s6
	v_add_u32_e32 v5, 1, v3
	v_sub_u32_e32 v4, v0, v4
	v_subrev_u32_e32 v6, s6, v4
	v_cmp_le_u32_e32 vcc, s6, v4
	v_cndmask_b32_e32 v4, v4, v6, vcc
	v_cndmask_b32_e32 v3, v3, v5, vcc
	v_add_u32_e32 v5, 1, v3
	v_cmp_le_u32_e32 vcc, s6, v4
	v_cndmask_b32_e32 v6, v3, v5, vcc
.LBB14_7:                               ;   in Loop: Header=BB14_3 Depth=1
	s_or_b64 exec, exec, s[0:1]
	s_waitcnt lgkmcnt(0)
	v_or_b32_e32 v3, s17, v7
	v_cmp_ne_u64_e32 vcc, 0, v[2:3]
                                        ; implicit-def: $vgpr10_vgpr11
	s_and_saveexec_b64 s[0:1], vcc
	s_xor_b64 s[2:3], exec, s[0:1]
	s_cbranch_execz .LBB14_9
; %bb.8:                                ;   in Loop: Header=BB14_3 Depth=1
	s_ashr_i32 s36, s17, 31
	s_add_u32 s0, s16, s36
	s_mov_b32 s37, s36
	s_addc_u32 s1, s17, s36
	s_xor_b64 s[38:39], s[0:1], s[36:37]
	v_cvt_f32_u32_e32 v3, s38
	v_cvt_f32_u32_e32 v4, s39
	s_sub_u32 s37, 0, s38
	s_subb_u32 s40, 0, s39
	v_ashrrev_i32_e32 v5, 31, v7
	v_mac_f32_e32 v3, 0x4f800000, v4
	v_rcp_f32_e32 v3, v3
	v_mul_f32_e32 v3, 0x5f7ffffc, v3
	v_mul_f32_e32 v4, 0x2f800000, v3
	v_trunc_f32_e32 v4, v4
	v_mac_f32_e32 v3, 0xcf800000, v4
	v_cvt_u32_f32_e32 v4, v4
	v_cvt_u32_f32_e32 v3, v3
	v_readfirstlane_b32 s41, v4
	v_readfirstlane_b32 s0, v3
	s_mul_i32 s1, s37, s41
	s_mul_hi_u32 s43, s37, s0
	s_mul_i32 s42, s40, s0
	s_add_i32 s1, s43, s1
	s_add_i32 s1, s1, s42
	s_mul_i32 s44, s37, s0
	s_mul_i32 s43, s0, s1
	s_mul_hi_u32 s45, s0, s44
	s_mul_hi_u32 s42, s0, s1
	s_add_u32 s43, s45, s43
	s_addc_u32 s42, 0, s42
	s_mul_hi_u32 s46, s41, s44
	s_mul_i32 s44, s41, s44
	s_add_u32 s43, s43, s44
	s_mul_hi_u32 s45, s41, s1
	s_addc_u32 s42, s42, s46
	s_addc_u32 s43, s45, 0
	s_mul_i32 s1, s41, s1
	s_add_u32 s1, s42, s1
	s_addc_u32 s42, 0, s43
	s_add_u32 s43, s0, s1
	s_cselect_b64 s[0:1], -1, 0
	s_cmp_lg_u64 s[0:1], 0
	s_addc_u32 s41, s41, s42
	s_mul_i32 s0, s37, s41
	s_mul_hi_u32 s1, s37, s43
	s_add_i32 s0, s1, s0
	s_mul_i32 s40, s40, s43
	s_add_i32 s0, s0, s40
	s_mul_i32 s37, s37, s43
	s_mul_hi_u32 s40, s41, s37
	s_mul_i32 s42, s41, s37
	s_mul_i32 s45, s43, s0
	s_mul_hi_u32 s37, s43, s37
	s_mul_hi_u32 s44, s43, s0
	s_add_u32 s37, s37, s45
	s_addc_u32 s44, 0, s44
	s_add_u32 s37, s37, s42
	s_mul_hi_u32 s1, s41, s0
	s_addc_u32 s37, s44, s40
	s_addc_u32 s1, s1, 0
	s_mul_i32 s0, s41, s0
	s_add_u32 s0, s37, s0
	s_addc_u32 s37, 0, s1
	s_add_u32 s40, s43, s0
	s_cselect_b64 s[0:1], -1, 0
	s_cmp_lg_u64 s[0:1], 0
	v_add_co_u32_e32 v3, vcc, v6, v5
	s_addc_u32 s37, s41, s37
	v_xor_b32_e32 v10, v3, v5
	v_mad_u64_u32 v[3:4], s[0:1], v10, s37, 0
	v_mul_hi_u32 v9, v10, s40
	v_addc_co_u32_e32 v8, vcc, v7, v5, vcc
	v_xor_b32_e32 v11, v8, v5
	v_add_co_u32_e32 v12, vcc, v9, v3
	v_addc_co_u32_e32 v13, vcc, 0, v4, vcc
	v_mad_u64_u32 v[3:4], s[0:1], v11, s40, 0
	v_mad_u64_u32 v[8:9], s[0:1], v11, s37, 0
	v_add_co_u32_e32 v3, vcc, v12, v3
	v_addc_co_u32_e32 v3, vcc, v13, v4, vcc
	v_addc_co_u32_e32 v4, vcc, 0, v9, vcc
	v_add_co_u32_e32 v8, vcc, v3, v8
	v_addc_co_u32_e32 v9, vcc, 0, v4, vcc
	v_mul_lo_u32 v12, s39, v8
	v_mul_lo_u32 v13, s38, v9
	v_mad_u64_u32 v[3:4], s[0:1], s38, v8, 0
	v_xor_b32_e32 v5, s36, v5
	v_add3_u32 v4, v4, v13, v12
	v_sub_u32_e32 v12, v11, v4
	v_mov_b32_e32 v13, s39
	v_sub_co_u32_e32 v3, vcc, v10, v3
	v_subb_co_u32_e64 v10, s[0:1], v12, v13, vcc
	v_subrev_co_u32_e64 v12, s[0:1], s38, v3
	v_subbrev_co_u32_e64 v10, s[0:1], 0, v10, s[0:1]
	v_cmp_le_u32_e64 s[0:1], s39, v10
	v_cndmask_b32_e64 v13, 0, -1, s[0:1]
	v_cmp_le_u32_e64 s[0:1], s38, v12
	v_cndmask_b32_e64 v12, 0, -1, s[0:1]
	v_cmp_eq_u32_e64 s[0:1], s39, v10
	v_cndmask_b32_e64 v10, v13, v12, s[0:1]
	v_add_co_u32_e64 v12, s[0:1], 2, v8
	v_subb_co_u32_e32 v4, vcc, v11, v4, vcc
	v_addc_co_u32_e64 v13, s[0:1], 0, v9, s[0:1]
	v_cmp_le_u32_e32 vcc, s39, v4
	v_add_co_u32_e64 v14, s[0:1], 1, v8
	v_cndmask_b32_e64 v11, 0, -1, vcc
	v_cmp_le_u32_e32 vcc, s38, v3
	v_addc_co_u32_e64 v15, s[0:1], 0, v9, s[0:1]
	v_cndmask_b32_e64 v3, 0, -1, vcc
	v_cmp_eq_u32_e32 vcc, s39, v4
	v_cmp_ne_u32_e64 s[0:1], 0, v10
	v_cndmask_b32_e32 v3, v11, v3, vcc
	v_cmp_ne_u32_e32 vcc, 0, v3
	v_cndmask_b32_e64 v4, v14, v12, s[0:1]
	v_cndmask_b32_e64 v10, v15, v13, s[0:1]
	v_cndmask_b32_e32 v4, v8, v4, vcc
	v_cndmask_b32_e32 v3, v9, v10, vcc
	v_xor_b32_e32 v4, v4, v5
	v_xor_b32_e32 v3, v3, v5
	v_sub_co_u32_e32 v10, vcc, v4, v5
	v_subb_co_u32_e32 v11, vcc, v3, v5, vcc
.LBB14_9:                               ;   in Loop: Header=BB14_3 Depth=1
	s_andn2_saveexec_b64 s[0:1], s[2:3]
	s_cbranch_execz .LBB14_11
; %bb.10:                               ;   in Loop: Header=BB14_3 Depth=1
	v_cvt_f32_u32_e32 v3, s16
	s_sub_i32 s2, 0, s16
	v_mov_b32_e32 v11, v2
	v_rcp_iflag_f32_e32 v3, v3
	v_mul_f32_e32 v3, 0x4f7ffffe, v3
	v_cvt_u32_f32_e32 v3, v3
	v_mul_lo_u32 v4, s2, v3
	v_mul_hi_u32 v4, v3, v4
	v_add_u32_e32 v3, v3, v4
	v_mul_hi_u32 v3, v6, v3
	v_mul_lo_u32 v4, v3, s16
	v_add_u32_e32 v5, 1, v3
	v_sub_u32_e32 v4, v6, v4
	v_subrev_u32_e32 v8, s16, v4
	v_cmp_le_u32_e32 vcc, s16, v4
	v_cndmask_b32_e32 v4, v4, v8, vcc
	v_cndmask_b32_e32 v3, v3, v5, vcc
	v_add_u32_e32 v5, 1, v3
	v_cmp_le_u32_e32 vcc, s16, v4
	v_cndmask_b32_e32 v10, v3, v5, vcc
.LBB14_11:                              ;   in Loop: Header=BB14_3 Depth=1
	s_or_b64 exec, exec, s[0:1]
	v_mul_lo_u32 v5, v7, s6
	v_mul_lo_u32 v8, v6, s7
	v_mad_u64_u32 v[3:4], s[0:1], v6, s6, 0
	v_mul_lo_u32 v12, v11, s16
	v_mul_lo_u32 v13, v10, s17
	v_add3_u32 v5, v4, v8, v5
	v_mad_u64_u32 v[8:9], s[0:1], v10, s16, 0
	v_sub_co_u32_e32 v4, vcc, v0, v3
	v_subb_co_u32_e32 v5, vcc, v1, v5, vcc
	v_add3_u32 v3, v9, v13, v12
	v_sub_co_u32_e32 v20, vcc, v6, v8
	v_subb_co_u32_e32 v21, vcc, v7, v3, vcc
	v_sub_co_u32_e32 v6, vcc, v4, v20
	v_subb_co_u32_e32 v7, vcc, v5, v21, vcc
	v_add_co_u32_e32 v8, vcc, 2, v6
	v_addc_co_u32_e32 v9, vcc, 0, v7, vcc
	v_cmp_lt_i64_e32 vcc, s[8:9], v[8:9]
	s_and_saveexec_b64 s[36:37], vcc
	s_cbranch_execz .LBB14_2
; %bb.12:                               ;   in Loop: Header=BB14_3 Depth=1
	s_load_dwordx4 s[0:3], s[18:19], 0xc0
	s_andn2_b64 vcc, exec, s[14:15]
	s_waitcnt lgkmcnt(0)
	v_mul_lo_u32 v3, s3, v4
	v_mul_lo_u32 v12, s2, v5
	v_mad_u64_u32 v[8:9], s[38:39], s2, v4, 0
	v_mul_lo_u32 v13, s0, v21
	v_add3_u32 v9, v9, v12, v3
	v_mad_u64_u32 v[8:9], s[38:39], s0, v20, v[8:9]
	v_mul_lo_u32 v3, s1, v20
	v_add3_u32 v9, v3, v9, v13
	s_cbranch_vccnz .LBB14_38
; %bb.13:                               ;   in Loop: Header=BB14_3 Depth=1
	s_andn2_b64 vcc, exec, s[26:27]
	s_mov_b64 s[38:39], s[24:25]
	s_mov_b64 s[40:41], s[34:35]
	;; [unrolled: 1-line block ×4, first 2 shown]
	s_cbranch_vccz .LBB14_17
.LBB14_14:                              ;   in Loop: Header=BB14_3 Depth=1
	s_andn2_b64 vcc, exec, s[28:29]
	s_cbranch_vccnz .LBB14_38
; %bb.15:                               ;   in Loop: Header=BB14_3 Depth=1
	s_lshl_b64 s[0:1], s[42:43], 3
	s_add_u32 s38, s64, s0
	s_addc_u32 s39, s65, s1
	s_add_u32 s40, s66, s0
	s_addc_u32 s41, s67, s1
	;; [unrolled: 2-line block ×3, first 2 shown]
	s_branch .LBB14_22
.LBB14_16:                              ;   in Loop: Header=BB14_17 Depth=2
	s_or_b64 exec, exec, s[0:1]
	v_mul_lo_u32 v3, v13, s46
	v_mul_lo_u32 v16, v12, s47
	v_mad_u64_u32 v[14:15], s[0:1], v12, s46, 0
	s_load_dwordx2 s[0:1], s[44:45], 0x0
	s_add_u32 s42, s42, -1
	v_add3_u32 v3, v15, v16, v3
	v_sub_co_u32_e32 v10, vcc, v10, v14
	s_addc_u32 s43, s43, -1
	v_subb_co_u32_e32 v3, vcc, v11, v3, vcc
	s_add_u32 s44, s44, -8
	s_waitcnt lgkmcnt(0)
	v_mul_lo_u32 v3, s0, v3
	v_mul_lo_u32 v11, s1, v10
	v_mad_u64_u32 v[8:9], s[0:1], s0, v10, v[8:9]
	s_addc_u32 s45, s45, -1
	s_add_u32 s40, s40, -8
	s_addc_u32 s41, s41, -1
	s_add_u32 s38, s38, -1
	s_addc_u32 s39, s39, -1
	v_add3_u32 v9, v11, v9, v3
	v_mov_b32_e32 v10, v12
	s_cmp_lg_u64 s[38:39], 0
	v_mov_b32_e32 v11, v13
	s_cbranch_scc0 .LBB14_14
.LBB14_17:                              ;   Parent Loop BB14_3 Depth=1
                                        ; =>  This Inner Loop Header: Depth=2
	s_load_dwordx2 s[46:47], s[40:41], 0x0
                                        ; implicit-def: $vgpr12_vgpr13
	s_waitcnt lgkmcnt(0)
	v_or_b32_e32 v3, s47, v11
	v_cmp_ne_u64_e32 vcc, 0, v[2:3]
	s_and_saveexec_b64 s[0:1], vcc
	s_xor_b64 s[48:49], exec, s[0:1]
	s_cbranch_execz .LBB14_19
; %bb.18:                               ;   in Loop: Header=BB14_17 Depth=2
	s_ashr_i32 s50, s47, 31
	s_add_u32 s0, s46, s50
	s_mov_b32 s51, s50
	s_addc_u32 s1, s47, s50
	s_xor_b64 s[52:53], s[0:1], s[50:51]
	v_cvt_f32_u32_e32 v3, s52
	v_cvt_f32_u32_e32 v12, s53
	s_sub_u32 s51, 0, s52
	s_subb_u32 s54, 0, s53
	v_mac_f32_e32 v3, 0x4f800000, v12
	v_rcp_f32_e32 v3, v3
	v_mul_f32_e32 v3, 0x5f7ffffc, v3
	v_mul_f32_e32 v12, 0x2f800000, v3
	v_trunc_f32_e32 v12, v12
	v_mac_f32_e32 v3, 0xcf800000, v12
	v_cvt_u32_f32_e32 v12, v12
	v_cvt_u32_f32_e32 v3, v3
	v_readfirstlane_b32 s55, v12
	v_readfirstlane_b32 s0, v3
	s_mul_i32 s1, s51, s55
	s_mul_hi_u32 s57, s51, s0
	s_mul_i32 s56, s54, s0
	s_add_i32 s1, s57, s1
	s_add_i32 s1, s1, s56
	s_mul_i32 s58, s51, s0
	s_mul_i32 s57, s0, s1
	s_mul_hi_u32 s59, s0, s58
	s_mul_hi_u32 s56, s0, s1
	s_add_u32 s57, s59, s57
	s_addc_u32 s56, 0, s56
	s_mul_hi_u32 s60, s55, s58
	s_mul_i32 s58, s55, s58
	s_add_u32 s57, s57, s58
	s_mul_hi_u32 s59, s55, s1
	s_addc_u32 s56, s56, s60
	s_addc_u32 s57, s59, 0
	s_mul_i32 s1, s55, s1
	s_add_u32 s1, s56, s1
	s_addc_u32 s56, 0, s57
	s_add_u32 s57, s0, s1
	s_cselect_b64 s[0:1], -1, 0
	s_cmp_lg_u64 s[0:1], 0
	s_addc_u32 s55, s55, s56
	s_mul_i32 s0, s51, s55
	s_mul_hi_u32 s1, s51, s57
	s_add_i32 s0, s1, s0
	s_mul_i32 s54, s54, s57
	s_add_i32 s0, s0, s54
	s_mul_i32 s51, s51, s57
	s_mul_hi_u32 s54, s55, s51
	s_mul_i32 s56, s55, s51
	s_mul_i32 s59, s57, s0
	s_mul_hi_u32 s51, s57, s51
	s_mul_hi_u32 s58, s57, s0
	s_add_u32 s51, s51, s59
	s_addc_u32 s58, 0, s58
	s_add_u32 s51, s51, s56
	s_mul_hi_u32 s1, s55, s0
	s_addc_u32 s51, s58, s54
	s_addc_u32 s1, s1, 0
	s_mul_i32 s0, s55, s0
	s_add_u32 s0, s51, s0
	s_addc_u32 s51, 0, s1
	s_add_u32 s54, s57, s0
	s_cselect_b64 s[0:1], -1, 0
	v_ashrrev_i32_e32 v3, 31, v11
	s_cmp_lg_u64 s[0:1], 0
	v_add_co_u32_e32 v12, vcc, v10, v3
	s_addc_u32 s51, s55, s51
	v_xor_b32_e32 v16, v12, v3
	v_mad_u64_u32 v[12:13], s[0:1], v16, s51, 0
	v_mul_hi_u32 v15, v16, s54
	v_addc_co_u32_e32 v14, vcc, v11, v3, vcc
	v_xor_b32_e32 v17, v14, v3
	v_add_co_u32_e32 v18, vcc, v15, v12
	v_addc_co_u32_e32 v19, vcc, 0, v13, vcc
	v_mad_u64_u32 v[12:13], s[0:1], v17, s54, 0
	v_mad_u64_u32 v[14:15], s[0:1], v17, s51, 0
	v_add_co_u32_e32 v12, vcc, v18, v12
	v_addc_co_u32_e32 v12, vcc, v19, v13, vcc
	v_addc_co_u32_e32 v13, vcc, 0, v15, vcc
	v_add_co_u32_e32 v14, vcc, v12, v14
	v_addc_co_u32_e32 v15, vcc, 0, v13, vcc
	v_mul_lo_u32 v18, s53, v14
	v_mul_lo_u32 v19, s52, v15
	v_mad_u64_u32 v[12:13], s[0:1], s52, v14, 0
	v_xor_b32_e32 v3, s50, v3
	v_add3_u32 v13, v13, v19, v18
	v_sub_u32_e32 v18, v17, v13
	v_mov_b32_e32 v19, s53
	v_sub_co_u32_e32 v12, vcc, v16, v12
	v_subb_co_u32_e64 v16, s[0:1], v18, v19, vcc
	v_subrev_co_u32_e64 v18, s[0:1], s52, v12
	v_subbrev_co_u32_e64 v16, s[0:1], 0, v16, s[0:1]
	v_cmp_le_u32_e64 s[0:1], s53, v16
	v_cndmask_b32_e64 v19, 0, -1, s[0:1]
	v_cmp_le_u32_e64 s[0:1], s52, v18
	v_cndmask_b32_e64 v18, 0, -1, s[0:1]
	v_cmp_eq_u32_e64 s[0:1], s53, v16
	v_cndmask_b32_e64 v16, v19, v18, s[0:1]
	v_add_co_u32_e64 v18, s[0:1], 2, v14
	v_subb_co_u32_e32 v13, vcc, v17, v13, vcc
	v_addc_co_u32_e64 v19, s[0:1], 0, v15, s[0:1]
	v_cmp_le_u32_e32 vcc, s53, v13
	v_add_co_u32_e64 v22, s[0:1], 1, v14
	v_cndmask_b32_e64 v17, 0, -1, vcc
	v_cmp_le_u32_e32 vcc, s52, v12
	v_addc_co_u32_e64 v23, s[0:1], 0, v15, s[0:1]
	v_cndmask_b32_e64 v12, 0, -1, vcc
	v_cmp_eq_u32_e32 vcc, s53, v13
	v_cmp_ne_u32_e64 s[0:1], 0, v16
	v_cndmask_b32_e32 v12, v17, v12, vcc
	v_cndmask_b32_e64 v16, v23, v19, s[0:1]
	v_cmp_ne_u32_e32 vcc, 0, v12
	v_cndmask_b32_e64 v13, v22, v18, s[0:1]
	v_cndmask_b32_e32 v12, v15, v16, vcc
	v_cndmask_b32_e32 v13, v14, v13, vcc
	v_xor_b32_e32 v14, v12, v3
	v_xor_b32_e32 v12, v13, v3
	v_sub_co_u32_e32 v12, vcc, v12, v3
	v_subb_co_u32_e32 v13, vcc, v14, v3, vcc
.LBB14_19:                              ;   in Loop: Header=BB14_17 Depth=2
	s_andn2_saveexec_b64 s[0:1], s[48:49]
	s_cbranch_execz .LBB14_16
; %bb.20:                               ;   in Loop: Header=BB14_17 Depth=2
	v_cvt_f32_u32_e32 v3, s46
	s_sub_i32 s48, 0, s46
	v_rcp_iflag_f32_e32 v3, v3
	v_mul_f32_e32 v3, 0x4f7ffffe, v3
	v_cvt_u32_f32_e32 v3, v3
	v_mul_lo_u32 v12, s48, v3
	v_mul_hi_u32 v12, v3, v12
	v_add_u32_e32 v3, v3, v12
	v_mul_hi_u32 v3, v10, v3
	v_mul_lo_u32 v12, v3, s46
	v_add_u32_e32 v13, 1, v3
	v_sub_u32_e32 v12, v10, v12
	v_subrev_u32_e32 v14, s46, v12
	v_cmp_le_u32_e32 vcc, s46, v12
	v_cndmask_b32_e32 v12, v12, v14, vcc
	v_cndmask_b32_e32 v3, v3, v13, vcc
	v_add_u32_e32 v13, 1, v3
	v_cmp_le_u32_e32 vcc, s46, v12
	v_cndmask_b32_e32 v12, v3, v13, vcc
	v_mov_b32_e32 v13, v2
	s_branch .LBB14_16
.LBB14_21:                              ;   in Loop: Header=BB14_22 Depth=2
	s_or_b64 exec, exec, s[0:1]
	v_mul_lo_u32 v3, v13, s44
	v_mul_lo_u32 v24, v12, s45
	v_mad_u64_u32 v[22:23], s[0:1], v12, s44, 0
	v_add3_u32 v3, v23, v24, v3
	v_sub_co_u32_e32 v10, vcc, v10, v22
	v_subb_co_u32_e32 v3, vcc, v11, v3, vcc
	v_mul_lo_u32 v3, s48, v3
	v_mul_lo_u32 v22, s49, v10
	v_mad_u64_u32 v[8:9], s[0:1], s48, v10, v[8:9]
	v_mul_lo_u32 v23, v15, s46
	v_mul_lo_u32 v24, v14, s47
	v_mad_u64_u32 v[10:11], s[0:1], v14, s46, 0
	v_add3_u32 v9, v22, v9, v3
	v_mul_lo_u32 v22, v16, s51
	v_add3_u32 v3, v11, v24, v23
	v_sub_co_u32_e32 v10, vcc, v12, v10
	v_subb_co_u32_e32 v3, vcc, v13, v3, vcc
	v_mad_u64_u32 v[8:9], s[0:1], s52, v10, v[8:9]
	v_mul_lo_u32 v3, s52, v3
	v_mul_lo_u32 v12, s53, v10
	;; [unrolled: 1-line block ×3, first 2 shown]
	v_mad_u64_u32 v[10:11], s[0:1], v16, s50, 0
	v_add3_u32 v9, v12, v9, v3
	v_add3_u32 v3, v11, v22, v13
	v_sub_co_u32_e32 v10, vcc, v14, v10
	v_subb_co_u32_e32 v3, vcc, v15, v3, vcc
	v_mad_u64_u32 v[8:9], s[0:1], s56, v10, v[8:9]
	v_mul_lo_u32 v3, s56, v3
	v_mul_lo_u32 v12, s57, v10
	;; [unrolled: 1-line block ×4, first 2 shown]
	v_mad_u64_u32 v[10:11], s[0:1], v18, s54, 0
	s_load_dwordx2 s[0:1], s[38:39], 0x0
	v_add3_u32 v9, v12, v9, v3
	v_add3_u32 v3, v11, v14, v13
	v_sub_co_u32_e32 v10, vcc, v16, v10
	v_subb_co_u32_e32 v3, vcc, v17, v3, vcc
	s_add_u32 s38, s38, 0xffffffe0
	s_waitcnt lgkmcnt(0)
	v_mad_u64_u32 v[8:9], s[44:45], s0, v10, v[8:9]
	v_mul_lo_u32 v3, s0, v3
	v_mul_lo_u32 v10, s1, v10
	s_addc_u32 s39, s39, -1
	s_add_u32 s40, s40, 0xffffffe0
	s_addc_u32 s41, s41, -1
	s_add_u32 s42, s42, -4
	v_add3_u32 v9, v10, v9, v3
	s_addc_u32 s43, s43, -1
	v_mov_b32_e32 v10, v18
	s_cmp_eq_u64 s[42:43], 0
	v_mov_b32_e32 v11, v19
	s_cbranch_scc1 .LBB14_38
.LBB14_22:                              ;   Parent Loop BB14_3 Depth=1
                                        ; =>  This Inner Loop Header: Depth=2
	s_load_dwordx2 s[44:45], s[40:41], 0x18
                                        ; implicit-def: $vgpr12_vgpr13
	s_waitcnt lgkmcnt(0)
	v_or_b32_e32 v3, s45, v11
	v_cmp_ne_u64_e32 vcc, 0, v[2:3]
	s_and_saveexec_b64 s[0:1], vcc
	s_xor_b64 s[46:47], exec, s[0:1]
	s_cbranch_execz .LBB14_24
; %bb.23:                               ;   in Loop: Header=BB14_22 Depth=2
	s_ashr_i32 s48, s45, 31
	s_add_u32 s0, s44, s48
	s_mov_b32 s49, s48
	s_addc_u32 s1, s45, s48
	s_xor_b64 s[50:51], s[0:1], s[48:49]
	v_cvt_f32_u32_e32 v3, s50
	v_cvt_f32_u32_e32 v12, s51
	s_sub_u32 s49, 0, s50
	s_subb_u32 s52, 0, s51
	v_mac_f32_e32 v3, 0x4f800000, v12
	v_rcp_f32_e32 v3, v3
	v_mul_f32_e32 v3, 0x5f7ffffc, v3
	v_mul_f32_e32 v12, 0x2f800000, v3
	v_trunc_f32_e32 v12, v12
	v_mac_f32_e32 v3, 0xcf800000, v12
	v_cvt_u32_f32_e32 v12, v12
	v_cvt_u32_f32_e32 v3, v3
	v_readfirstlane_b32 s53, v12
	v_readfirstlane_b32 s0, v3
	s_mul_i32 s1, s49, s53
	s_mul_hi_u32 s55, s49, s0
	s_mul_i32 s54, s52, s0
	s_add_i32 s1, s55, s1
	s_add_i32 s1, s1, s54
	s_mul_i32 s56, s49, s0
	s_mul_i32 s55, s0, s1
	s_mul_hi_u32 s57, s0, s56
	s_mul_hi_u32 s54, s0, s1
	s_add_u32 s55, s57, s55
	s_addc_u32 s54, 0, s54
	s_mul_hi_u32 s58, s53, s56
	s_mul_i32 s56, s53, s56
	s_add_u32 s55, s55, s56
	s_mul_hi_u32 s57, s53, s1
	s_addc_u32 s54, s54, s58
	s_addc_u32 s55, s57, 0
	s_mul_i32 s1, s53, s1
	s_add_u32 s1, s54, s1
	s_addc_u32 s54, 0, s55
	s_add_u32 s55, s0, s1
	s_cselect_b64 s[0:1], -1, 0
	s_cmp_lg_u64 s[0:1], 0
	s_addc_u32 s53, s53, s54
	s_mul_i32 s0, s49, s53
	s_mul_hi_u32 s1, s49, s55
	s_add_i32 s0, s1, s0
	s_mul_i32 s52, s52, s55
	s_add_i32 s0, s0, s52
	s_mul_i32 s49, s49, s55
	s_mul_hi_u32 s52, s53, s49
	s_mul_i32 s54, s53, s49
	s_mul_i32 s57, s55, s0
	s_mul_hi_u32 s49, s55, s49
	s_mul_hi_u32 s56, s55, s0
	s_add_u32 s49, s49, s57
	s_addc_u32 s56, 0, s56
	s_add_u32 s49, s49, s54
	s_mul_hi_u32 s1, s53, s0
	s_addc_u32 s49, s56, s52
	s_addc_u32 s1, s1, 0
	s_mul_i32 s0, s53, s0
	s_add_u32 s0, s49, s0
	s_addc_u32 s49, 0, s1
	s_add_u32 s52, s55, s0
	s_cselect_b64 s[0:1], -1, 0
	v_ashrrev_i32_e32 v3, 31, v11
	s_cmp_lg_u64 s[0:1], 0
	v_add_co_u32_e32 v12, vcc, v10, v3
	s_addc_u32 s49, s53, s49
	v_xor_b32_e32 v16, v12, v3
	v_mad_u64_u32 v[12:13], s[0:1], v16, s49, 0
	v_mul_hi_u32 v15, v16, s52
	v_addc_co_u32_e32 v14, vcc, v11, v3, vcc
	v_xor_b32_e32 v17, v14, v3
	v_add_co_u32_e32 v18, vcc, v15, v12
	v_addc_co_u32_e32 v19, vcc, 0, v13, vcc
	v_mad_u64_u32 v[12:13], s[0:1], v17, s52, 0
	v_mad_u64_u32 v[14:15], s[0:1], v17, s49, 0
	v_add_co_u32_e32 v12, vcc, v18, v12
	v_addc_co_u32_e32 v12, vcc, v19, v13, vcc
	v_addc_co_u32_e32 v13, vcc, 0, v15, vcc
	v_add_co_u32_e32 v14, vcc, v12, v14
	v_addc_co_u32_e32 v15, vcc, 0, v13, vcc
	v_mul_lo_u32 v18, s51, v14
	v_mul_lo_u32 v19, s50, v15
	v_mad_u64_u32 v[12:13], s[0:1], s50, v14, 0
	v_xor_b32_e32 v3, s48, v3
	v_add3_u32 v13, v13, v19, v18
	v_sub_u32_e32 v18, v17, v13
	v_mov_b32_e32 v19, s51
	v_sub_co_u32_e32 v12, vcc, v16, v12
	v_subb_co_u32_e64 v16, s[0:1], v18, v19, vcc
	v_subrev_co_u32_e64 v18, s[0:1], s50, v12
	v_subbrev_co_u32_e64 v16, s[0:1], 0, v16, s[0:1]
	v_cmp_le_u32_e64 s[0:1], s51, v16
	v_cndmask_b32_e64 v19, 0, -1, s[0:1]
	v_cmp_le_u32_e64 s[0:1], s50, v18
	v_cndmask_b32_e64 v18, 0, -1, s[0:1]
	v_cmp_eq_u32_e64 s[0:1], s51, v16
	v_cndmask_b32_e64 v16, v19, v18, s[0:1]
	v_add_co_u32_e64 v18, s[0:1], 2, v14
	v_subb_co_u32_e32 v13, vcc, v17, v13, vcc
	v_addc_co_u32_e64 v19, s[0:1], 0, v15, s[0:1]
	v_cmp_le_u32_e32 vcc, s51, v13
	v_add_co_u32_e64 v22, s[0:1], 1, v14
	v_cndmask_b32_e64 v17, 0, -1, vcc
	v_cmp_le_u32_e32 vcc, s50, v12
	v_addc_co_u32_e64 v23, s[0:1], 0, v15, s[0:1]
	v_cndmask_b32_e64 v12, 0, -1, vcc
	v_cmp_eq_u32_e32 vcc, s51, v13
	v_cmp_ne_u32_e64 s[0:1], 0, v16
	v_cndmask_b32_e32 v12, v17, v12, vcc
	v_cndmask_b32_e64 v16, v23, v19, s[0:1]
	v_cmp_ne_u32_e32 vcc, 0, v12
	v_cndmask_b32_e64 v13, v22, v18, s[0:1]
	v_cndmask_b32_e32 v12, v15, v16, vcc
	v_cndmask_b32_e32 v13, v14, v13, vcc
	v_xor_b32_e32 v14, v12, v3
	v_xor_b32_e32 v12, v13, v3
	v_sub_co_u32_e32 v12, vcc, v12, v3
	v_subb_co_u32_e32 v13, vcc, v14, v3, vcc
.LBB14_24:                              ;   in Loop: Header=BB14_22 Depth=2
	s_andn2_saveexec_b64 s[0:1], s[46:47]
	s_cbranch_execz .LBB14_26
; %bb.25:                               ;   in Loop: Header=BB14_22 Depth=2
	v_cvt_f32_u32_e32 v3, s44
	s_sub_i32 s46, 0, s44
	v_rcp_iflag_f32_e32 v3, v3
	v_mul_f32_e32 v3, 0x4f7ffffe, v3
	v_cvt_u32_f32_e32 v3, v3
	v_mul_lo_u32 v12, s46, v3
	v_mul_hi_u32 v12, v3, v12
	v_add_u32_e32 v3, v3, v12
	v_mul_hi_u32 v3, v10, v3
	v_mul_lo_u32 v12, v3, s44
	v_add_u32_e32 v13, 1, v3
	v_sub_u32_e32 v12, v10, v12
	v_subrev_u32_e32 v14, s44, v12
	v_cmp_le_u32_e32 vcc, s44, v12
	v_cndmask_b32_e32 v12, v12, v14, vcc
	v_cndmask_b32_e32 v3, v3, v13, vcc
	v_add_u32_e32 v13, 1, v3
	v_cmp_le_u32_e32 vcc, s44, v12
	v_cndmask_b32_e32 v12, v3, v13, vcc
	v_mov_b32_e32 v13, v2
.LBB14_26:                              ;   in Loop: Header=BB14_22 Depth=2
	s_or_b64 exec, exec, s[0:1]
	s_load_dwordx2 s[46:47], s[40:41], 0x10
	s_load_dwordx2 s[48:49], s[38:39], 0x18
                                        ; implicit-def: $vgpr14_vgpr15
	s_waitcnt lgkmcnt(0)
	v_or_b32_e32 v3, s47, v13
	v_cmp_ne_u64_e32 vcc, 0, v[2:3]
	s_and_saveexec_b64 s[0:1], vcc
	s_xor_b64 s[50:51], exec, s[0:1]
	s_cbranch_execz .LBB14_28
; %bb.27:                               ;   in Loop: Header=BB14_22 Depth=2
	s_ashr_i32 s52, s47, 31
	s_add_u32 s0, s46, s52
	s_mov_b32 s53, s52
	s_addc_u32 s1, s47, s52
	s_xor_b64 s[54:55], s[0:1], s[52:53]
	v_cvt_f32_u32_e32 v3, s54
	v_cvt_f32_u32_e32 v14, s55
	s_sub_u32 s53, 0, s54
	s_subb_u32 s56, 0, s55
	v_mac_f32_e32 v3, 0x4f800000, v14
	v_rcp_f32_e32 v3, v3
	v_mul_f32_e32 v3, 0x5f7ffffc, v3
	v_mul_f32_e32 v14, 0x2f800000, v3
	v_trunc_f32_e32 v14, v14
	v_mac_f32_e32 v3, 0xcf800000, v14
	v_cvt_u32_f32_e32 v14, v14
	v_cvt_u32_f32_e32 v3, v3
	v_readfirstlane_b32 s57, v14
	v_readfirstlane_b32 s0, v3
	s_mul_i32 s1, s53, s57
	s_mul_hi_u32 s59, s53, s0
	s_mul_i32 s58, s56, s0
	s_add_i32 s1, s59, s1
	s_add_i32 s1, s1, s58
	s_mul_i32 s60, s53, s0
	s_mul_i32 s59, s0, s1
	s_mul_hi_u32 s61, s0, s60
	s_mul_hi_u32 s58, s0, s1
	s_add_u32 s59, s61, s59
	s_addc_u32 s58, 0, s58
	s_mul_hi_u32 s62, s57, s60
	s_mul_i32 s60, s57, s60
	s_add_u32 s59, s59, s60
	s_mul_hi_u32 s61, s57, s1
	s_addc_u32 s58, s58, s62
	s_addc_u32 s59, s61, 0
	s_mul_i32 s1, s57, s1
	s_add_u32 s1, s58, s1
	s_addc_u32 s58, 0, s59
	s_add_u32 s59, s0, s1
	s_cselect_b64 s[0:1], -1, 0
	s_cmp_lg_u64 s[0:1], 0
	s_addc_u32 s57, s57, s58
	s_mul_i32 s0, s53, s57
	s_mul_hi_u32 s1, s53, s59
	s_add_i32 s0, s1, s0
	s_mul_i32 s56, s56, s59
	s_add_i32 s0, s0, s56
	s_mul_i32 s53, s53, s59
	s_mul_hi_u32 s56, s57, s53
	s_mul_i32 s58, s57, s53
	s_mul_i32 s61, s59, s0
	s_mul_hi_u32 s53, s59, s53
	s_mul_hi_u32 s60, s59, s0
	s_add_u32 s53, s53, s61
	s_addc_u32 s60, 0, s60
	s_add_u32 s53, s53, s58
	s_mul_hi_u32 s1, s57, s0
	s_addc_u32 s53, s60, s56
	s_addc_u32 s1, s1, 0
	s_mul_i32 s0, s57, s0
	s_add_u32 s0, s53, s0
	s_addc_u32 s53, 0, s1
	s_add_u32 s56, s59, s0
	s_cselect_b64 s[0:1], -1, 0
	v_ashrrev_i32_e32 v3, 31, v13
	s_cmp_lg_u64 s[0:1], 0
	v_add_co_u32_e32 v14, vcc, v12, v3
	s_addc_u32 s53, s57, s53
	v_xor_b32_e32 v18, v14, v3
	v_mad_u64_u32 v[14:15], s[0:1], v18, s53, 0
	v_mul_hi_u32 v17, v18, s56
	v_addc_co_u32_e32 v16, vcc, v13, v3, vcc
	v_xor_b32_e32 v19, v16, v3
	v_add_co_u32_e32 v22, vcc, v17, v14
	v_addc_co_u32_e32 v23, vcc, 0, v15, vcc
	v_mad_u64_u32 v[14:15], s[0:1], v19, s56, 0
	v_mad_u64_u32 v[16:17], s[0:1], v19, s53, 0
	v_add_co_u32_e32 v14, vcc, v22, v14
	v_addc_co_u32_e32 v14, vcc, v23, v15, vcc
	v_addc_co_u32_e32 v15, vcc, 0, v17, vcc
	v_add_co_u32_e32 v16, vcc, v14, v16
	v_addc_co_u32_e32 v17, vcc, 0, v15, vcc
	v_mul_lo_u32 v22, s55, v16
	v_mul_lo_u32 v23, s54, v17
	v_mad_u64_u32 v[14:15], s[0:1], s54, v16, 0
	v_xor_b32_e32 v3, s52, v3
	v_add3_u32 v15, v15, v23, v22
	v_sub_u32_e32 v22, v19, v15
	v_mov_b32_e32 v23, s55
	v_sub_co_u32_e32 v14, vcc, v18, v14
	v_subb_co_u32_e64 v18, s[0:1], v22, v23, vcc
	v_subrev_co_u32_e64 v22, s[0:1], s54, v14
	v_subbrev_co_u32_e64 v18, s[0:1], 0, v18, s[0:1]
	v_cmp_le_u32_e64 s[0:1], s55, v18
	v_cndmask_b32_e64 v23, 0, -1, s[0:1]
	v_cmp_le_u32_e64 s[0:1], s54, v22
	v_cndmask_b32_e64 v22, 0, -1, s[0:1]
	v_cmp_eq_u32_e64 s[0:1], s55, v18
	v_cndmask_b32_e64 v18, v23, v22, s[0:1]
	v_add_co_u32_e64 v22, s[0:1], 2, v16
	v_subb_co_u32_e32 v15, vcc, v19, v15, vcc
	v_addc_co_u32_e64 v23, s[0:1], 0, v17, s[0:1]
	v_cmp_le_u32_e32 vcc, s55, v15
	v_add_co_u32_e64 v24, s[0:1], 1, v16
	v_cndmask_b32_e64 v19, 0, -1, vcc
	v_cmp_le_u32_e32 vcc, s54, v14
	v_addc_co_u32_e64 v25, s[0:1], 0, v17, s[0:1]
	v_cndmask_b32_e64 v14, 0, -1, vcc
	v_cmp_eq_u32_e32 vcc, s55, v15
	v_cmp_ne_u32_e64 s[0:1], 0, v18
	v_cndmask_b32_e32 v14, v19, v14, vcc
	v_cndmask_b32_e64 v18, v25, v23, s[0:1]
	v_cmp_ne_u32_e32 vcc, 0, v14
	v_cndmask_b32_e64 v15, v24, v22, s[0:1]
	v_cndmask_b32_e32 v14, v17, v18, vcc
	v_cndmask_b32_e32 v15, v16, v15, vcc
	v_xor_b32_e32 v16, v14, v3
	v_xor_b32_e32 v14, v15, v3
	v_sub_co_u32_e32 v14, vcc, v14, v3
	v_subb_co_u32_e32 v15, vcc, v16, v3, vcc
.LBB14_28:                              ;   in Loop: Header=BB14_22 Depth=2
	s_andn2_saveexec_b64 s[0:1], s[50:51]
	s_cbranch_execz .LBB14_30
; %bb.29:                               ;   in Loop: Header=BB14_22 Depth=2
	v_cvt_f32_u32_e32 v3, s46
	s_sub_i32 s50, 0, s46
	v_rcp_iflag_f32_e32 v3, v3
	v_mul_f32_e32 v3, 0x4f7ffffe, v3
	v_cvt_u32_f32_e32 v3, v3
	v_mul_lo_u32 v14, s50, v3
	v_mul_hi_u32 v14, v3, v14
	v_add_u32_e32 v3, v3, v14
	v_mul_hi_u32 v3, v12, v3
	v_mul_lo_u32 v14, v3, s46
	v_add_u32_e32 v15, 1, v3
	v_sub_u32_e32 v14, v12, v14
	v_subrev_u32_e32 v16, s46, v14
	v_cmp_le_u32_e32 vcc, s46, v14
	v_cndmask_b32_e32 v14, v14, v16, vcc
	v_cndmask_b32_e32 v3, v3, v15, vcc
	v_add_u32_e32 v15, 1, v3
	v_cmp_le_u32_e32 vcc, s46, v14
	v_cndmask_b32_e32 v14, v3, v15, vcc
	v_mov_b32_e32 v15, v2
.LBB14_30:                              ;   in Loop: Header=BB14_22 Depth=2
	s_or_b64 exec, exec, s[0:1]
	s_load_dwordx2 s[50:51], s[40:41], 0x8
	s_load_dwordx2 s[52:53], s[38:39], 0x10
                                        ; implicit-def: $vgpr16_vgpr17
	s_waitcnt lgkmcnt(0)
	v_or_b32_e32 v3, s51, v15
	v_cmp_ne_u64_e32 vcc, 0, v[2:3]
	s_and_saveexec_b64 s[0:1], vcc
	s_xor_b64 s[54:55], exec, s[0:1]
	s_cbranch_execz .LBB14_32
; %bb.31:                               ;   in Loop: Header=BB14_22 Depth=2
	s_ashr_i32 s56, s51, 31
	s_add_u32 s0, s50, s56
	s_mov_b32 s57, s56
	s_addc_u32 s1, s51, s56
	s_xor_b64 s[58:59], s[0:1], s[56:57]
	v_cvt_f32_u32_e32 v3, s58
	v_cvt_f32_u32_e32 v16, s59
	s_sub_u32 s57, 0, s58
	s_subb_u32 s60, 0, s59
	v_mac_f32_e32 v3, 0x4f800000, v16
	v_rcp_f32_e32 v3, v3
	v_mul_f32_e32 v3, 0x5f7ffffc, v3
	v_mul_f32_e32 v16, 0x2f800000, v3
	v_trunc_f32_e32 v16, v16
	v_mac_f32_e32 v3, 0xcf800000, v16
	v_cvt_u32_f32_e32 v16, v16
	v_cvt_u32_f32_e32 v3, v3
	v_readfirstlane_b32 s61, v16
	v_readfirstlane_b32 s0, v3
	s_mul_i32 s1, s57, s61
	s_mul_hi_u32 s63, s57, s0
	s_mul_i32 s62, s60, s0
	s_add_i32 s1, s63, s1
	s_add_i32 s1, s1, s62
	s_mul_i32 s68, s57, s0
	s_mul_i32 s63, s0, s1
	s_mul_hi_u32 s69, s0, s68
	s_mul_hi_u32 s62, s0, s1
	s_add_u32 s63, s69, s63
	s_addc_u32 s62, 0, s62
	s_mul_hi_u32 s70, s61, s68
	s_mul_i32 s68, s61, s68
	s_add_u32 s63, s63, s68
	s_mul_hi_u32 s69, s61, s1
	s_addc_u32 s62, s62, s70
	s_addc_u32 s63, s69, 0
	s_mul_i32 s1, s61, s1
	s_add_u32 s1, s62, s1
	s_addc_u32 s62, 0, s63
	s_add_u32 s63, s0, s1
	s_cselect_b64 s[0:1], -1, 0
	s_cmp_lg_u64 s[0:1], 0
	s_addc_u32 s61, s61, s62
	s_mul_i32 s0, s57, s61
	s_mul_hi_u32 s1, s57, s63
	s_add_i32 s0, s1, s0
	s_mul_i32 s60, s60, s63
	s_add_i32 s0, s0, s60
	s_mul_i32 s57, s57, s63
	s_mul_hi_u32 s60, s61, s57
	s_mul_i32 s62, s61, s57
	s_mul_i32 s69, s63, s0
	s_mul_hi_u32 s57, s63, s57
	s_mul_hi_u32 s68, s63, s0
	s_add_u32 s57, s57, s69
	s_addc_u32 s68, 0, s68
	s_add_u32 s57, s57, s62
	s_mul_hi_u32 s1, s61, s0
	s_addc_u32 s57, s68, s60
	s_addc_u32 s1, s1, 0
	s_mul_i32 s0, s61, s0
	s_add_u32 s0, s57, s0
	s_addc_u32 s57, 0, s1
	s_add_u32 s60, s63, s0
	s_cselect_b64 s[0:1], -1, 0
	v_ashrrev_i32_e32 v3, 31, v15
	s_cmp_lg_u64 s[0:1], 0
	v_add_co_u32_e32 v16, vcc, v14, v3
	s_addc_u32 s57, s61, s57
	v_xor_b32_e32 v22, v16, v3
	v_mad_u64_u32 v[16:17], s[0:1], v22, s57, 0
	v_mul_hi_u32 v19, v22, s60
	v_addc_co_u32_e32 v18, vcc, v15, v3, vcc
	v_xor_b32_e32 v23, v18, v3
	v_add_co_u32_e32 v24, vcc, v19, v16
	v_addc_co_u32_e32 v25, vcc, 0, v17, vcc
	v_mad_u64_u32 v[16:17], s[0:1], v23, s60, 0
	v_mad_u64_u32 v[18:19], s[0:1], v23, s57, 0
	v_add_co_u32_e32 v16, vcc, v24, v16
	v_addc_co_u32_e32 v16, vcc, v25, v17, vcc
	v_addc_co_u32_e32 v17, vcc, 0, v19, vcc
	v_add_co_u32_e32 v18, vcc, v16, v18
	v_addc_co_u32_e32 v19, vcc, 0, v17, vcc
	v_mul_lo_u32 v24, s59, v18
	v_mul_lo_u32 v25, s58, v19
	v_mad_u64_u32 v[16:17], s[0:1], s58, v18, 0
	v_xor_b32_e32 v3, s56, v3
	v_add3_u32 v17, v17, v25, v24
	v_sub_u32_e32 v24, v23, v17
	v_mov_b32_e32 v25, s59
	v_sub_co_u32_e32 v16, vcc, v22, v16
	v_subb_co_u32_e64 v22, s[0:1], v24, v25, vcc
	v_subrev_co_u32_e64 v24, s[0:1], s58, v16
	v_subbrev_co_u32_e64 v22, s[0:1], 0, v22, s[0:1]
	v_cmp_le_u32_e64 s[0:1], s59, v22
	v_cndmask_b32_e64 v25, 0, -1, s[0:1]
	v_cmp_le_u32_e64 s[0:1], s58, v24
	v_cndmask_b32_e64 v24, 0, -1, s[0:1]
	v_cmp_eq_u32_e64 s[0:1], s59, v22
	v_cndmask_b32_e64 v22, v25, v24, s[0:1]
	v_add_co_u32_e64 v24, s[0:1], 2, v18
	v_subb_co_u32_e32 v17, vcc, v23, v17, vcc
	v_addc_co_u32_e64 v25, s[0:1], 0, v19, s[0:1]
	v_cmp_le_u32_e32 vcc, s59, v17
	v_add_co_u32_e64 v26, s[0:1], 1, v18
	v_cndmask_b32_e64 v23, 0, -1, vcc
	v_cmp_le_u32_e32 vcc, s58, v16
	v_addc_co_u32_e64 v27, s[0:1], 0, v19, s[0:1]
	v_cndmask_b32_e64 v16, 0, -1, vcc
	v_cmp_eq_u32_e32 vcc, s59, v17
	v_cmp_ne_u32_e64 s[0:1], 0, v22
	v_cndmask_b32_e32 v16, v23, v16, vcc
	v_cndmask_b32_e64 v22, v27, v25, s[0:1]
	v_cmp_ne_u32_e32 vcc, 0, v16
	v_cndmask_b32_e64 v17, v26, v24, s[0:1]
	v_cndmask_b32_e32 v16, v19, v22, vcc
	v_cndmask_b32_e32 v17, v18, v17, vcc
	v_xor_b32_e32 v18, v16, v3
	v_xor_b32_e32 v16, v17, v3
	v_sub_co_u32_e32 v16, vcc, v16, v3
	v_subb_co_u32_e32 v17, vcc, v18, v3, vcc
.LBB14_32:                              ;   in Loop: Header=BB14_22 Depth=2
	s_andn2_saveexec_b64 s[0:1], s[54:55]
	s_cbranch_execz .LBB14_34
; %bb.33:                               ;   in Loop: Header=BB14_22 Depth=2
	v_cvt_f32_u32_e32 v3, s50
	s_sub_i32 s54, 0, s50
	v_rcp_iflag_f32_e32 v3, v3
	v_mul_f32_e32 v3, 0x4f7ffffe, v3
	v_cvt_u32_f32_e32 v3, v3
	v_mul_lo_u32 v16, s54, v3
	v_mul_hi_u32 v16, v3, v16
	v_add_u32_e32 v3, v3, v16
	v_mul_hi_u32 v3, v14, v3
	v_mul_lo_u32 v16, v3, s50
	v_add_u32_e32 v17, 1, v3
	v_sub_u32_e32 v16, v14, v16
	v_subrev_u32_e32 v18, s50, v16
	v_cmp_le_u32_e32 vcc, s50, v16
	v_cndmask_b32_e32 v16, v16, v18, vcc
	v_cndmask_b32_e32 v3, v3, v17, vcc
	v_add_u32_e32 v17, 1, v3
	v_cmp_le_u32_e32 vcc, s50, v16
	v_cndmask_b32_e32 v16, v3, v17, vcc
	v_mov_b32_e32 v17, v2
.LBB14_34:                              ;   in Loop: Header=BB14_22 Depth=2
	s_or_b64 exec, exec, s[0:1]
	s_load_dwordx2 s[54:55], s[40:41], 0x0
	s_load_dwordx2 s[56:57], s[38:39], 0x8
                                        ; implicit-def: $vgpr18_vgpr19
	s_waitcnt lgkmcnt(0)
	v_or_b32_e32 v3, s55, v17
	v_cmp_ne_u64_e32 vcc, 0, v[2:3]
	s_and_saveexec_b64 s[0:1], vcc
	s_xor_b64 s[58:59], exec, s[0:1]
	s_cbranch_execz .LBB14_36
; %bb.35:                               ;   in Loop: Header=BB14_22 Depth=2
	s_ashr_i32 s60, s55, 31
	s_add_u32 s0, s54, s60
	s_mov_b32 s61, s60
	s_addc_u32 s1, s55, s60
	s_xor_b64 s[62:63], s[0:1], s[60:61]
	v_cvt_f32_u32_e32 v3, s62
	v_cvt_f32_u32_e32 v18, s63
	s_sub_u32 s61, 0, s62
	s_subb_u32 s68, 0, s63
	v_mac_f32_e32 v3, 0x4f800000, v18
	v_rcp_f32_e32 v3, v3
	v_mul_f32_e32 v3, 0x5f7ffffc, v3
	v_mul_f32_e32 v18, 0x2f800000, v3
	v_trunc_f32_e32 v18, v18
	v_mac_f32_e32 v3, 0xcf800000, v18
	v_cvt_u32_f32_e32 v18, v18
	v_cvt_u32_f32_e32 v3, v3
	v_readfirstlane_b32 s69, v18
	v_readfirstlane_b32 s0, v3
	s_mul_i32 s1, s61, s69
	s_mul_hi_u32 s71, s61, s0
	s_mul_i32 s70, s68, s0
	s_add_i32 s1, s71, s1
	s_add_i32 s1, s1, s70
	s_mul_i32 s72, s61, s0
	s_mul_i32 s71, s0, s1
	s_mul_hi_u32 s73, s0, s72
	s_mul_hi_u32 s70, s0, s1
	s_add_u32 s71, s73, s71
	s_addc_u32 s70, 0, s70
	s_mul_hi_u32 s74, s69, s72
	s_mul_i32 s72, s69, s72
	s_add_u32 s71, s71, s72
	s_mul_hi_u32 s73, s69, s1
	s_addc_u32 s70, s70, s74
	s_addc_u32 s71, s73, 0
	s_mul_i32 s1, s69, s1
	s_add_u32 s1, s70, s1
	s_addc_u32 s70, 0, s71
	s_add_u32 s71, s0, s1
	s_cselect_b64 s[0:1], -1, 0
	s_cmp_lg_u64 s[0:1], 0
	s_addc_u32 s69, s69, s70
	s_mul_i32 s0, s61, s69
	s_mul_hi_u32 s1, s61, s71
	s_add_i32 s0, s1, s0
	s_mul_i32 s68, s68, s71
	s_add_i32 s0, s0, s68
	s_mul_i32 s61, s61, s71
	s_mul_hi_u32 s68, s69, s61
	s_mul_i32 s70, s69, s61
	s_mul_i32 s73, s71, s0
	s_mul_hi_u32 s61, s71, s61
	s_mul_hi_u32 s72, s71, s0
	s_add_u32 s61, s61, s73
	s_addc_u32 s72, 0, s72
	s_add_u32 s61, s61, s70
	s_mul_hi_u32 s1, s69, s0
	s_addc_u32 s61, s72, s68
	s_addc_u32 s1, s1, 0
	s_mul_i32 s0, s69, s0
	s_add_u32 s0, s61, s0
	s_addc_u32 s61, 0, s1
	s_add_u32 s68, s71, s0
	s_cselect_b64 s[0:1], -1, 0
	v_ashrrev_i32_e32 v3, 31, v17
	s_cmp_lg_u64 s[0:1], 0
	v_add_co_u32_e32 v18, vcc, v16, v3
	s_addc_u32 s61, s69, s61
	v_xor_b32_e32 v24, v18, v3
	v_mad_u64_u32 v[18:19], s[0:1], v24, s61, 0
	v_mul_hi_u32 v23, v24, s68
	v_addc_co_u32_e32 v22, vcc, v17, v3, vcc
	v_xor_b32_e32 v25, v22, v3
	v_add_co_u32_e32 v26, vcc, v23, v18
	v_addc_co_u32_e32 v27, vcc, 0, v19, vcc
	v_mad_u64_u32 v[18:19], s[0:1], v25, s68, 0
	v_mad_u64_u32 v[22:23], s[0:1], v25, s61, 0
	v_add_co_u32_e32 v18, vcc, v26, v18
	v_addc_co_u32_e32 v18, vcc, v27, v19, vcc
	v_addc_co_u32_e32 v19, vcc, 0, v23, vcc
	v_add_co_u32_e32 v22, vcc, v18, v22
	v_addc_co_u32_e32 v23, vcc, 0, v19, vcc
	v_mul_lo_u32 v26, s63, v22
	v_mul_lo_u32 v27, s62, v23
	v_mad_u64_u32 v[18:19], s[0:1], s62, v22, 0
	v_xor_b32_e32 v3, s60, v3
	v_add3_u32 v19, v19, v27, v26
	v_sub_u32_e32 v26, v25, v19
	v_mov_b32_e32 v27, s63
	v_sub_co_u32_e32 v18, vcc, v24, v18
	v_subb_co_u32_e64 v24, s[0:1], v26, v27, vcc
	v_subrev_co_u32_e64 v26, s[0:1], s62, v18
	v_subbrev_co_u32_e64 v24, s[0:1], 0, v24, s[0:1]
	v_cmp_le_u32_e64 s[0:1], s63, v24
	v_cndmask_b32_e64 v27, 0, -1, s[0:1]
	v_cmp_le_u32_e64 s[0:1], s62, v26
	v_cndmask_b32_e64 v26, 0, -1, s[0:1]
	v_cmp_eq_u32_e64 s[0:1], s63, v24
	v_cndmask_b32_e64 v24, v27, v26, s[0:1]
	v_add_co_u32_e64 v26, s[0:1], 2, v22
	v_subb_co_u32_e32 v19, vcc, v25, v19, vcc
	v_addc_co_u32_e64 v27, s[0:1], 0, v23, s[0:1]
	v_cmp_le_u32_e32 vcc, s63, v19
	v_add_co_u32_e64 v28, s[0:1], 1, v22
	v_cndmask_b32_e64 v25, 0, -1, vcc
	v_cmp_le_u32_e32 vcc, s62, v18
	v_addc_co_u32_e64 v29, s[0:1], 0, v23, s[0:1]
	v_cndmask_b32_e64 v18, 0, -1, vcc
	v_cmp_eq_u32_e32 vcc, s63, v19
	v_cmp_ne_u32_e64 s[0:1], 0, v24
	v_cndmask_b32_e32 v18, v25, v18, vcc
	v_cndmask_b32_e64 v24, v29, v27, s[0:1]
	v_cmp_ne_u32_e32 vcc, 0, v18
	v_cndmask_b32_e64 v19, v28, v26, s[0:1]
	v_cndmask_b32_e32 v18, v23, v24, vcc
	v_cndmask_b32_e32 v19, v22, v19, vcc
	v_xor_b32_e32 v22, v18, v3
	v_xor_b32_e32 v18, v19, v3
	v_sub_co_u32_e32 v18, vcc, v18, v3
	v_subb_co_u32_e32 v19, vcc, v22, v3, vcc
.LBB14_36:                              ;   in Loop: Header=BB14_22 Depth=2
	s_andn2_saveexec_b64 s[0:1], s[58:59]
	s_cbranch_execz .LBB14_21
; %bb.37:                               ;   in Loop: Header=BB14_22 Depth=2
	v_cvt_f32_u32_e32 v3, s54
	s_sub_i32 s58, 0, s54
	v_rcp_iflag_f32_e32 v3, v3
	v_mul_f32_e32 v3, 0x4f7ffffe, v3
	v_cvt_u32_f32_e32 v3, v3
	v_mul_lo_u32 v18, s58, v3
	v_mul_hi_u32 v18, v3, v18
	v_add_u32_e32 v3, v3, v18
	v_mul_hi_u32 v3, v16, v3
	v_mul_lo_u32 v18, v3, s54
	v_add_u32_e32 v19, 1, v3
	v_sub_u32_e32 v18, v16, v18
	v_subrev_u32_e32 v22, s54, v18
	v_cmp_le_u32_e32 vcc, s54, v18
	v_cndmask_b32_e32 v18, v18, v22, vcc
	v_cndmask_b32_e32 v3, v3, v19, vcc
	v_add_u32_e32 v19, 1, v3
	v_cmp_le_u32_e32 vcc, s54, v18
	v_cndmask_b32_e32 v18, v3, v19, vcc
	v_mov_b32_e32 v19, v2
	s_branch .LBB14_21
.LBB14_38:                              ;   in Loop: Header=BB14_3 Depth=1
	s_load_dwordx2 s[38:39], s[22:23], 0x0
	s_waitcnt lgkmcnt(0)
	v_cmp_gt_i64_e32 vcc, s[38:39], v[4:5]
	s_and_b64 exec, exec, vcc
	s_cbranch_execz .LBB14_2
; %bb.39:                               ;   in Loop: Header=BB14_3 Depth=1
	v_lshlrev_b64 v[8:9], 3, v[8:9]
	v_mov_b32_e32 v3, s13
	v_cmp_lt_i64_e32 vcc, s[8:9], v[6:7]
	v_add_co_u32_e64 v6, s[0:1], s12, v8
	v_addc_co_u32_e64 v7, s[0:1], v3, v9, s[0:1]
	s_and_saveexec_b64 s[0:1], vcc
	s_cbranch_execz .LBB14_41
; %bb.40:                               ;   in Loop: Header=BB14_3 Depth=1
	v_mov_b32_e32 v3, v2
	global_store_dwordx2 v[6:7], v[2:3], off
.LBB14_41:                              ;   in Loop: Header=BB14_3 Depth=1
	s_or_b64 exec, exec, s[0:1]
	v_add_co_u32_e32 v3, vcc, 1, v4
	v_addc_co_u32_e32 v4, vcc, 0, v5, vcc
	v_cmp_gt_i64_e32 vcc, s[38:39], v[3:4]
	v_sub_co_u32_e64 v3, s[0:1], v3, v20
	v_subb_co_u32_e64 v4, s[0:1], v4, v21, s[0:1]
	v_cmp_lt_i64_e64 s[0:1], s[8:9], v[3:4]
	s_and_b64 s[0:1], vcc, s[0:1]
	s_and_b64 exec, exec, s[0:1]
	s_cbranch_execz .LBB14_2
; %bb.42:                               ;   in Loop: Header=BB14_3 Depth=1
	s_lshl_b64 s[0:1], s[2:3], 3
	v_mov_b32_e32 v3, s1
	v_add_co_u32_e32 v4, vcc, s0, v6
	v_addc_co_u32_e32 v5, vcc, v7, v3, vcc
	v_mov_b32_e32 v3, v2
	global_store_dwordx2 v[4:5], v[2:3], off
	s_branch .LBB14_2
.LBB14_43:
	s_endpgm
	.section	.rodata,"a",@progbits
	.p2align	6, 0x0
	.amdhsa_kernel _ZN2at6native16triu_tril_kernelIllLb0ELi2ELb1EEEvNS_4cuda6detail10TensorInfoIT_T0_EENS4_IKS5_S6_EEllS6_
		.amdhsa_group_segment_fixed_size 0
		.amdhsa_private_segment_fixed_size 0
		.amdhsa_kernarg_size 1112
		.amdhsa_user_sgpr_count 6
		.amdhsa_user_sgpr_private_segment_buffer 1
		.amdhsa_user_sgpr_dispatch_ptr 0
		.amdhsa_user_sgpr_queue_ptr 0
		.amdhsa_user_sgpr_kernarg_segment_ptr 1
		.amdhsa_user_sgpr_dispatch_id 0
		.amdhsa_user_sgpr_flat_scratch_init 0
		.amdhsa_user_sgpr_private_segment_size 0
		.amdhsa_uses_dynamic_stack 0
		.amdhsa_system_sgpr_private_segment_wavefront_offset 0
		.amdhsa_system_sgpr_workgroup_id_x 1
		.amdhsa_system_sgpr_workgroup_id_y 0
		.amdhsa_system_sgpr_workgroup_id_z 0
		.amdhsa_system_sgpr_workgroup_info 0
		.amdhsa_system_vgpr_workitem_id 0
		.amdhsa_next_free_vgpr 30
		.amdhsa_next_free_sgpr 75
		.amdhsa_reserve_vcc 1
		.amdhsa_reserve_flat_scratch 0
		.amdhsa_float_round_mode_32 0
		.amdhsa_float_round_mode_16_64 0
		.amdhsa_float_denorm_mode_32 3
		.amdhsa_float_denorm_mode_16_64 3
		.amdhsa_dx10_clamp 1
		.amdhsa_ieee_mode 1
		.amdhsa_fp16_overflow 0
		.amdhsa_exception_fp_ieee_invalid_op 0
		.amdhsa_exception_fp_denorm_src 0
		.amdhsa_exception_fp_ieee_div_zero 0
		.amdhsa_exception_fp_ieee_overflow 0
		.amdhsa_exception_fp_ieee_underflow 0
		.amdhsa_exception_fp_ieee_inexact 0
		.amdhsa_exception_int_div_zero 0
	.end_amdhsa_kernel
	.section	.text._ZN2at6native16triu_tril_kernelIllLb0ELi2ELb1EEEvNS_4cuda6detail10TensorInfoIT_T0_EENS4_IKS5_S6_EEllS6_,"axG",@progbits,_ZN2at6native16triu_tril_kernelIllLb0ELi2ELb1EEEvNS_4cuda6detail10TensorInfoIT_T0_EENS4_IKS5_S6_EEllS6_,comdat
.Lfunc_end14:
	.size	_ZN2at6native16triu_tril_kernelIllLb0ELi2ELb1EEEvNS_4cuda6detail10TensorInfoIT_T0_EENS4_IKS5_S6_EEllS6_, .Lfunc_end14-_ZN2at6native16triu_tril_kernelIllLb0ELi2ELb1EEEvNS_4cuda6detail10TensorInfoIT_T0_EENS4_IKS5_S6_EEllS6_
                                        ; -- End function
	.set _ZN2at6native16triu_tril_kernelIllLb0ELi2ELb1EEEvNS_4cuda6detail10TensorInfoIT_T0_EENS4_IKS5_S6_EEllS6_.num_vgpr, 30
	.set _ZN2at6native16triu_tril_kernelIllLb0ELi2ELb1EEEvNS_4cuda6detail10TensorInfoIT_T0_EENS4_IKS5_S6_EEllS6_.num_agpr, 0
	.set _ZN2at6native16triu_tril_kernelIllLb0ELi2ELb1EEEvNS_4cuda6detail10TensorInfoIT_T0_EENS4_IKS5_S6_EEllS6_.numbered_sgpr, 75
	.set _ZN2at6native16triu_tril_kernelIllLb0ELi2ELb1EEEvNS_4cuda6detail10TensorInfoIT_T0_EENS4_IKS5_S6_EEllS6_.num_named_barrier, 0
	.set _ZN2at6native16triu_tril_kernelIllLb0ELi2ELb1EEEvNS_4cuda6detail10TensorInfoIT_T0_EENS4_IKS5_S6_EEllS6_.private_seg_size, 0
	.set _ZN2at6native16triu_tril_kernelIllLb0ELi2ELb1EEEvNS_4cuda6detail10TensorInfoIT_T0_EENS4_IKS5_S6_EEllS6_.uses_vcc, 1
	.set _ZN2at6native16triu_tril_kernelIllLb0ELi2ELb1EEEvNS_4cuda6detail10TensorInfoIT_T0_EENS4_IKS5_S6_EEllS6_.uses_flat_scratch, 0
	.set _ZN2at6native16triu_tril_kernelIllLb0ELi2ELb1EEEvNS_4cuda6detail10TensorInfoIT_T0_EENS4_IKS5_S6_EEllS6_.has_dyn_sized_stack, 0
	.set _ZN2at6native16triu_tril_kernelIllLb0ELi2ELb1EEEvNS_4cuda6detail10TensorInfoIT_T0_EENS4_IKS5_S6_EEllS6_.has_recursion, 0
	.set _ZN2at6native16triu_tril_kernelIllLb0ELi2ELb1EEEvNS_4cuda6detail10TensorInfoIT_T0_EENS4_IKS5_S6_EEllS6_.has_indirect_call, 0
	.section	.AMDGPU.csdata,"",@progbits
; Kernel info:
; codeLenInByte = 6480
; TotalNumSgprs: 79
; NumVgprs: 30
; ScratchSize: 0
; MemoryBound: 0
; FloatMode: 240
; IeeeMode: 1
; LDSByteSize: 0 bytes/workgroup (compile time only)
; SGPRBlocks: 9
; VGPRBlocks: 7
; NumSGPRsForWavesPerEU: 79
; NumVGPRsForWavesPerEU: 30
; Occupancy: 8
; WaveLimiterHint : 0
; COMPUTE_PGM_RSRC2:SCRATCH_EN: 0
; COMPUTE_PGM_RSRC2:USER_SGPR: 6
; COMPUTE_PGM_RSRC2:TRAP_HANDLER: 0
; COMPUTE_PGM_RSRC2:TGID_X_EN: 1
; COMPUTE_PGM_RSRC2:TGID_Y_EN: 0
; COMPUTE_PGM_RSRC2:TGID_Z_EN: 0
; COMPUTE_PGM_RSRC2:TIDIG_COMP_CNT: 0
	.section	.text._ZN2at6native16triu_tril_kernelIllLb0ELi2ELb0EEEvNS_4cuda6detail10TensorInfoIT_T0_EENS4_IKS5_S6_EEllS6_,"axG",@progbits,_ZN2at6native16triu_tril_kernelIllLb0ELi2ELb0EEEvNS_4cuda6detail10TensorInfoIT_T0_EENS4_IKS5_S6_EEllS6_,comdat
	.protected	_ZN2at6native16triu_tril_kernelIllLb0ELi2ELb0EEEvNS_4cuda6detail10TensorInfoIT_T0_EENS4_IKS5_S6_EEllS6_ ; -- Begin function _ZN2at6native16triu_tril_kernelIllLb0ELi2ELb0EEEvNS_4cuda6detail10TensorInfoIT_T0_EENS4_IKS5_S6_EEllS6_
	.globl	_ZN2at6native16triu_tril_kernelIllLb0ELi2ELb0EEEvNS_4cuda6detail10TensorInfoIT_T0_EENS4_IKS5_S6_EEllS6_
	.p2align	8
	.type	_ZN2at6native16triu_tril_kernelIllLb0ELi2ELb0EEEvNS_4cuda6detail10TensorInfoIT_T0_EENS4_IKS5_S6_EEllS6_,@function
_ZN2at6native16triu_tril_kernelIllLb0ELi2ELb0EEEvNS_4cuda6detail10TensorInfoIT_T0_EENS4_IKS5_S6_EEllS6_: ; @_ZN2at6native16triu_tril_kernelIllLb0ELi2ELb0EEEvNS_4cuda6detail10TensorInfoIT_T0_EENS4_IKS5_S6_EEllS6_
; %bb.0:
	s_load_dword s2, s[4:5], 0x364
	s_load_dwordx4 s[8:11], s[4:5], 0x340
	s_add_u32 s0, s4, 0x358
	v_mov_b32_e32 v2, 0
	s_addc_u32 s1, s5, 0
	s_waitcnt lgkmcnt(0)
	s_and_b32 s7, s2, 0xffff
	v_mov_b32_e32 v1, v2
	v_mov_b32_e32 v3, s6
	v_mad_u64_u32 v[0:1], s[2:3], s7, v3, v[0:1]
	v_lshlrev_b64 v[0:1], 1, v[0:1]
	v_cmp_gt_i64_e32 vcc, s[10:11], v[0:1]
	s_and_saveexec_b64 s[2:3], vcc
	s_cbranch_execz .LBB15_38
; %bb.1:
	s_load_dword s6, s[0:1], 0x0
	s_load_dword s24, s[4:5], 0x338
	s_add_u32 s33, s4, 0x1a0
	s_addc_u32 s62, s5, 0
	s_load_dwordx2 s[2:3], s[4:5], 0x1a0
	s_waitcnt lgkmcnt(0)
	s_mul_i32 s30, s6, s7
	s_ashr_i32 s25, s24, 31
	s_lshl_b64 s[0:1], s[24:25], 3
	s_add_u32 s20, s33, s0
	s_addc_u32 s21, s62, s1
	s_add_u32 s22, s20, -8
	s_addc_u32 s23, s21, -1
	s_add_u32 s0, s4, s0
	v_cmp_gt_i64_e64 s[6:7], s[24:25], 2
	s_addc_u32 s1, s5, s1
	s_add_i32 s24, s24, -3
	s_ashr_i32 s25, s24, 31
	s_lshl_b32 s63, s30, 1
	s_bitcmp0_b32 s24, 0
	s_load_dwordx4 s[12:15], s[22:23], 0x0
	s_load_dwordx4 s[16:19], s[20:21], 0xc0
	s_cselect_b64 s[30:31], -1, 0
	s_load_dwordx4 s[20:23], s[0:1], 0xc0
	s_lshl_b64 s[0:1], s[24:25], 3
	s_add_u32 s34, s33, s0
	s_addc_u32 s35, s62, s1
	s_add_u32 s36, s4, s0
	s_addc_u32 s37, s5, s1
	s_load_dwordx2 s[26:27], s[4:5], 0x350
	s_load_dwordx2 s[28:29], s[4:5], 0x0
	s_add_u32 s38, s24, -1
	s_addc_u32 s39, s25, -1
	s_cmp_lg_u32 s24, 0
	s_cselect_b64 s[40:41], -1, 0
	s_add_u32 s64, s4, 0xc8
	s_addc_u32 s65, s5, 0
	s_mov_b64 s[4:5], 0
	s_branch .LBB15_3
.LBB15_2:                               ;   in Loop: Header=BB15_3 Depth=1
	s_or_b64 exec, exec, s[0:1]
	v_add_co_u32_e32 v0, vcc, s63, v0
	v_addc_co_u32_e32 v1, vcc, 0, v1, vcc
	v_cmp_le_i64_e32 vcc, s[10:11], v[0:1]
	s_or_b64 s[4:5], vcc, s[4:5]
	s_andn2_b64 exec, exec, s[4:5]
	s_cbranch_execz .LBB15_38
.LBB15_3:                               ; =>This Loop Header: Depth=1
                                        ;     Child Loop BB15_21 Depth 2
	s_waitcnt lgkmcnt(0)
	v_or_b32_e32 v3, s27, v1
	v_cmp_ne_u64_e32 vcc, 0, v[2:3]
                                        ; implicit-def: $vgpr6_vgpr7
	s_and_saveexec_b64 s[0:1], vcc
	s_xor_b64 s[42:43], exec, s[0:1]
	s_cbranch_execz .LBB15_5
; %bb.4:                                ;   in Loop: Header=BB15_3 Depth=1
	s_ashr_i32 s44, s27, 31
	s_add_u32 s0, s26, s44
	s_mov_b32 s45, s44
	s_addc_u32 s1, s27, s44
	s_xor_b64 s[46:47], s[0:1], s[44:45]
	v_cvt_f32_u32_e32 v3, s46
	v_cvt_f32_u32_e32 v4, s47
	s_sub_u32 s45, 0, s46
	s_subb_u32 s48, 0, s47
	v_ashrrev_i32_e32 v7, 31, v1
	v_mac_f32_e32 v3, 0x4f800000, v4
	v_rcp_f32_e32 v3, v3
	v_mul_f32_e32 v3, 0x5f7ffffc, v3
	v_mul_f32_e32 v4, 0x2f800000, v3
	v_trunc_f32_e32 v4, v4
	v_mac_f32_e32 v3, 0xcf800000, v4
	v_cvt_u32_f32_e32 v4, v4
	v_cvt_u32_f32_e32 v3, v3
	v_readfirstlane_b32 s49, v4
	v_readfirstlane_b32 s0, v3
	s_mul_i32 s1, s45, s49
	s_mul_hi_u32 s51, s45, s0
	s_mul_i32 s50, s48, s0
	s_add_i32 s1, s51, s1
	s_add_i32 s1, s1, s50
	s_mul_i32 s52, s45, s0
	s_mul_i32 s51, s0, s1
	s_mul_hi_u32 s53, s0, s52
	s_mul_hi_u32 s50, s0, s1
	s_add_u32 s51, s53, s51
	s_addc_u32 s50, 0, s50
	s_mul_hi_u32 s54, s49, s52
	s_mul_i32 s52, s49, s52
	s_add_u32 s51, s51, s52
	s_mul_hi_u32 s53, s49, s1
	s_addc_u32 s50, s50, s54
	s_addc_u32 s51, s53, 0
	s_mul_i32 s1, s49, s1
	s_add_u32 s1, s50, s1
	s_addc_u32 s50, 0, s51
	s_add_u32 s51, s0, s1
	s_cselect_b64 s[0:1], -1, 0
	s_cmp_lg_u64 s[0:1], 0
	s_addc_u32 s49, s49, s50
	s_mul_i32 s0, s45, s49
	s_mul_hi_u32 s1, s45, s51
	s_add_i32 s0, s1, s0
	s_mul_i32 s48, s48, s51
	s_add_i32 s0, s0, s48
	s_mul_i32 s45, s45, s51
	s_mul_hi_u32 s48, s49, s45
	s_mul_i32 s50, s49, s45
	s_mul_i32 s53, s51, s0
	s_mul_hi_u32 s45, s51, s45
	s_mul_hi_u32 s52, s51, s0
	s_add_u32 s45, s45, s53
	s_addc_u32 s52, 0, s52
	s_add_u32 s45, s45, s50
	s_mul_hi_u32 s1, s49, s0
	s_addc_u32 s45, s52, s48
	s_addc_u32 s1, s1, 0
	s_mul_i32 s0, s49, s0
	s_add_u32 s0, s45, s0
	s_addc_u32 s45, 0, s1
	s_add_u32 s48, s51, s0
	s_cselect_b64 s[0:1], -1, 0
	s_cmp_lg_u64 s[0:1], 0
	v_add_co_u32_e32 v3, vcc, v0, v7
	s_addc_u32 s45, s49, s45
	v_xor_b32_e32 v8, v3, v7
	v_mad_u64_u32 v[3:4], s[0:1], v8, s45, 0
	v_mul_hi_u32 v6, v8, s48
	v_addc_co_u32_e32 v5, vcc, v1, v7, vcc
	v_xor_b32_e32 v9, v5, v7
	v_add_co_u32_e32 v10, vcc, v6, v3
	v_addc_co_u32_e32 v11, vcc, 0, v4, vcc
	v_mad_u64_u32 v[3:4], s[0:1], v9, s48, 0
	v_mad_u64_u32 v[5:6], s[0:1], v9, s45, 0
	v_add_co_u32_e32 v3, vcc, v10, v3
	v_addc_co_u32_e32 v3, vcc, v11, v4, vcc
	v_addc_co_u32_e32 v4, vcc, 0, v6, vcc
	v_add_co_u32_e32 v5, vcc, v3, v5
	v_addc_co_u32_e32 v6, vcc, 0, v4, vcc
	v_mul_lo_u32 v10, s47, v5
	v_mul_lo_u32 v11, s46, v6
	v_mad_u64_u32 v[3:4], s[0:1], s46, v5, 0
	v_add3_u32 v4, v4, v11, v10
	v_sub_u32_e32 v10, v9, v4
	v_mov_b32_e32 v11, s47
	v_sub_co_u32_e32 v3, vcc, v8, v3
	v_subb_co_u32_e64 v8, s[0:1], v10, v11, vcc
	v_subrev_co_u32_e64 v10, s[0:1], s46, v3
	v_subbrev_co_u32_e64 v8, s[0:1], 0, v8, s[0:1]
	v_cmp_le_u32_e64 s[0:1], s47, v8
	v_cndmask_b32_e64 v11, 0, -1, s[0:1]
	v_cmp_le_u32_e64 s[0:1], s46, v10
	v_cndmask_b32_e64 v10, 0, -1, s[0:1]
	v_cmp_eq_u32_e64 s[0:1], s47, v8
	v_cndmask_b32_e64 v8, v11, v10, s[0:1]
	v_add_co_u32_e64 v10, s[0:1], 2, v5
	v_subb_co_u32_e32 v4, vcc, v9, v4, vcc
	v_addc_co_u32_e64 v11, s[0:1], 0, v6, s[0:1]
	v_cmp_le_u32_e32 vcc, s47, v4
	v_add_co_u32_e64 v12, s[0:1], 1, v5
	v_cndmask_b32_e64 v9, 0, -1, vcc
	v_cmp_le_u32_e32 vcc, s46, v3
	v_addc_co_u32_e64 v13, s[0:1], 0, v6, s[0:1]
	v_cndmask_b32_e64 v3, 0, -1, vcc
	v_cmp_eq_u32_e32 vcc, s47, v4
	v_cmp_ne_u32_e64 s[0:1], 0, v8
	v_cndmask_b32_e32 v3, v9, v3, vcc
	v_cmp_ne_u32_e32 vcc, 0, v3
	v_cndmask_b32_e64 v4, v12, v10, s[0:1]
	v_cndmask_b32_e64 v8, v13, v11, s[0:1]
	v_cndmask_b32_e32 v4, v5, v4, vcc
	v_xor_b32_e32 v5, s44, v7
	v_cndmask_b32_e32 v3, v6, v8, vcc
	v_xor_b32_e32 v4, v4, v5
	v_xor_b32_e32 v3, v3, v5
	v_sub_co_u32_e32 v6, vcc, v4, v5
	v_subb_co_u32_e32 v7, vcc, v3, v5, vcc
.LBB15_5:                               ;   in Loop: Header=BB15_3 Depth=1
	s_andn2_saveexec_b64 s[0:1], s[42:43]
	s_cbranch_execz .LBB15_7
; %bb.6:                                ;   in Loop: Header=BB15_3 Depth=1
	v_cvt_f32_u32_e32 v3, s26
	s_sub_i32 s42, 0, s26
	v_mov_b32_e32 v7, v2
	v_rcp_iflag_f32_e32 v3, v3
	v_mul_f32_e32 v3, 0x4f7ffffe, v3
	v_cvt_u32_f32_e32 v3, v3
	v_mul_lo_u32 v4, s42, v3
	v_mul_hi_u32 v4, v3, v4
	v_add_u32_e32 v3, v3, v4
	v_mul_hi_u32 v3, v0, v3
	v_mul_lo_u32 v4, v3, s26
	v_add_u32_e32 v5, 1, v3
	v_sub_u32_e32 v4, v0, v4
	v_subrev_u32_e32 v6, s26, v4
	v_cmp_le_u32_e32 vcc, s26, v4
	v_cndmask_b32_e32 v4, v4, v6, vcc
	v_cndmask_b32_e32 v3, v3, v5, vcc
	v_add_u32_e32 v5, 1, v3
	v_cmp_le_u32_e32 vcc, s26, v4
	v_cndmask_b32_e32 v6, v3, v5, vcc
.LBB15_7:                               ;   in Loop: Header=BB15_3 Depth=1
	s_or_b64 exec, exec, s[0:1]
	v_or_b32_e32 v3, s13, v7
	v_cmp_ne_u64_e32 vcc, 0, v[2:3]
                                        ; implicit-def: $vgpr10_vgpr11
	s_and_saveexec_b64 s[0:1], vcc
	s_xor_b64 s[42:43], exec, s[0:1]
	s_cbranch_execz .LBB15_9
; %bb.8:                                ;   in Loop: Header=BB15_3 Depth=1
	s_ashr_i32 s44, s13, 31
	s_add_u32 s0, s12, s44
	s_mov_b32 s45, s44
	s_addc_u32 s1, s13, s44
	s_xor_b64 s[46:47], s[0:1], s[44:45]
	v_cvt_f32_u32_e32 v3, s46
	v_cvt_f32_u32_e32 v4, s47
	s_sub_u32 s45, 0, s46
	s_subb_u32 s48, 0, s47
	v_ashrrev_i32_e32 v5, 31, v7
	v_mac_f32_e32 v3, 0x4f800000, v4
	v_rcp_f32_e32 v3, v3
	v_mul_f32_e32 v3, 0x5f7ffffc, v3
	v_mul_f32_e32 v4, 0x2f800000, v3
	v_trunc_f32_e32 v4, v4
	v_mac_f32_e32 v3, 0xcf800000, v4
	v_cvt_u32_f32_e32 v4, v4
	v_cvt_u32_f32_e32 v3, v3
	v_readfirstlane_b32 s49, v4
	v_readfirstlane_b32 s0, v3
	s_mul_i32 s1, s45, s49
	s_mul_hi_u32 s51, s45, s0
	s_mul_i32 s50, s48, s0
	s_add_i32 s1, s51, s1
	s_add_i32 s1, s1, s50
	s_mul_i32 s52, s45, s0
	s_mul_i32 s51, s0, s1
	s_mul_hi_u32 s53, s0, s52
	s_mul_hi_u32 s50, s0, s1
	s_add_u32 s51, s53, s51
	s_addc_u32 s50, 0, s50
	s_mul_hi_u32 s54, s49, s52
	s_mul_i32 s52, s49, s52
	s_add_u32 s51, s51, s52
	s_mul_hi_u32 s53, s49, s1
	s_addc_u32 s50, s50, s54
	s_addc_u32 s51, s53, 0
	s_mul_i32 s1, s49, s1
	s_add_u32 s1, s50, s1
	s_addc_u32 s50, 0, s51
	s_add_u32 s51, s0, s1
	s_cselect_b64 s[0:1], -1, 0
	s_cmp_lg_u64 s[0:1], 0
	s_addc_u32 s49, s49, s50
	s_mul_i32 s0, s45, s49
	s_mul_hi_u32 s1, s45, s51
	s_add_i32 s0, s1, s0
	s_mul_i32 s48, s48, s51
	s_add_i32 s0, s0, s48
	s_mul_i32 s45, s45, s51
	s_mul_hi_u32 s48, s49, s45
	s_mul_i32 s50, s49, s45
	s_mul_i32 s53, s51, s0
	s_mul_hi_u32 s45, s51, s45
	s_mul_hi_u32 s52, s51, s0
	s_add_u32 s45, s45, s53
	s_addc_u32 s52, 0, s52
	s_add_u32 s45, s45, s50
	s_mul_hi_u32 s1, s49, s0
	s_addc_u32 s45, s52, s48
	s_addc_u32 s1, s1, 0
	s_mul_i32 s0, s49, s0
	s_add_u32 s0, s45, s0
	s_addc_u32 s45, 0, s1
	s_add_u32 s48, s51, s0
	s_cselect_b64 s[0:1], -1, 0
	s_cmp_lg_u64 s[0:1], 0
	v_add_co_u32_e32 v3, vcc, v6, v5
	s_addc_u32 s45, s49, s45
	v_xor_b32_e32 v10, v3, v5
	v_mad_u64_u32 v[3:4], s[0:1], v10, s45, 0
	v_mul_hi_u32 v9, v10, s48
	v_addc_co_u32_e32 v8, vcc, v7, v5, vcc
	v_xor_b32_e32 v11, v8, v5
	v_add_co_u32_e32 v12, vcc, v9, v3
	v_addc_co_u32_e32 v13, vcc, 0, v4, vcc
	v_mad_u64_u32 v[3:4], s[0:1], v11, s48, 0
	v_mad_u64_u32 v[8:9], s[0:1], v11, s45, 0
	v_add_co_u32_e32 v3, vcc, v12, v3
	v_addc_co_u32_e32 v3, vcc, v13, v4, vcc
	v_addc_co_u32_e32 v4, vcc, 0, v9, vcc
	v_add_co_u32_e32 v8, vcc, v3, v8
	v_addc_co_u32_e32 v9, vcc, 0, v4, vcc
	v_mul_lo_u32 v12, s47, v8
	v_mul_lo_u32 v13, s46, v9
	v_mad_u64_u32 v[3:4], s[0:1], s46, v8, 0
	v_xor_b32_e32 v5, s44, v5
	v_add3_u32 v4, v4, v13, v12
	v_sub_u32_e32 v12, v11, v4
	v_mov_b32_e32 v13, s47
	v_sub_co_u32_e32 v3, vcc, v10, v3
	v_subb_co_u32_e64 v10, s[0:1], v12, v13, vcc
	v_subrev_co_u32_e64 v12, s[0:1], s46, v3
	v_subbrev_co_u32_e64 v10, s[0:1], 0, v10, s[0:1]
	v_cmp_le_u32_e64 s[0:1], s47, v10
	v_cndmask_b32_e64 v13, 0, -1, s[0:1]
	v_cmp_le_u32_e64 s[0:1], s46, v12
	v_cndmask_b32_e64 v12, 0, -1, s[0:1]
	v_cmp_eq_u32_e64 s[0:1], s47, v10
	v_cndmask_b32_e64 v10, v13, v12, s[0:1]
	v_add_co_u32_e64 v12, s[0:1], 2, v8
	v_subb_co_u32_e32 v4, vcc, v11, v4, vcc
	v_addc_co_u32_e64 v13, s[0:1], 0, v9, s[0:1]
	v_cmp_le_u32_e32 vcc, s47, v4
	v_add_co_u32_e64 v14, s[0:1], 1, v8
	v_cndmask_b32_e64 v11, 0, -1, vcc
	v_cmp_le_u32_e32 vcc, s46, v3
	v_addc_co_u32_e64 v15, s[0:1], 0, v9, s[0:1]
	v_cndmask_b32_e64 v3, 0, -1, vcc
	v_cmp_eq_u32_e32 vcc, s47, v4
	v_cmp_ne_u32_e64 s[0:1], 0, v10
	v_cndmask_b32_e32 v3, v11, v3, vcc
	v_cmp_ne_u32_e32 vcc, 0, v3
	v_cndmask_b32_e64 v4, v14, v12, s[0:1]
	v_cndmask_b32_e64 v10, v15, v13, s[0:1]
	v_cndmask_b32_e32 v4, v8, v4, vcc
	v_cndmask_b32_e32 v3, v9, v10, vcc
	v_xor_b32_e32 v4, v4, v5
	v_xor_b32_e32 v3, v3, v5
	v_sub_co_u32_e32 v10, vcc, v4, v5
	v_subb_co_u32_e32 v11, vcc, v3, v5, vcc
.LBB15_9:                               ;   in Loop: Header=BB15_3 Depth=1
	s_andn2_saveexec_b64 s[0:1], s[42:43]
	s_cbranch_execz .LBB15_11
; %bb.10:                               ;   in Loop: Header=BB15_3 Depth=1
	v_cvt_f32_u32_e32 v3, s12
	s_sub_i32 s42, 0, s12
	v_mov_b32_e32 v11, v2
	v_rcp_iflag_f32_e32 v3, v3
	v_mul_f32_e32 v3, 0x4f7ffffe, v3
	v_cvt_u32_f32_e32 v3, v3
	v_mul_lo_u32 v4, s42, v3
	v_mul_hi_u32 v4, v3, v4
	v_add_u32_e32 v3, v3, v4
	v_mul_hi_u32 v3, v6, v3
	v_mul_lo_u32 v4, v3, s12
	v_add_u32_e32 v5, 1, v3
	v_sub_u32_e32 v4, v6, v4
	v_subrev_u32_e32 v8, s12, v4
	v_cmp_le_u32_e32 vcc, s12, v4
	v_cndmask_b32_e32 v4, v4, v8, vcc
	v_cndmask_b32_e32 v3, v3, v5, vcc
	v_add_u32_e32 v5, 1, v3
	v_cmp_le_u32_e32 vcc, s12, v4
	v_cndmask_b32_e32 v10, v3, v5, vcc
.LBB15_11:                              ;   in Loop: Header=BB15_3 Depth=1
	s_or_b64 exec, exec, s[0:1]
	v_mul_lo_u32 v5, v7, s26
	v_mul_lo_u32 v8, v6, s27
	v_mad_u64_u32 v[3:4], s[0:1], v6, s26, 0
	v_mul_lo_u32 v12, v11, s12
	v_mul_lo_u32 v13, v10, s13
	v_add3_u32 v5, v4, v8, v5
	v_mad_u64_u32 v[8:9], s[0:1], v10, s12, 0
	v_sub_co_u32_e32 v4, vcc, v0, v3
	v_subb_co_u32_e32 v5, vcc, v1, v5, vcc
	v_add3_u32 v3, v9, v13, v12
	v_mul_lo_u32 v9, s19, v4
	v_mul_lo_u32 v14, s18, v5
	v_mad_u64_u32 v[12:13], s[0:1], s18, v4, 0
	v_sub_co_u32_e32 v16, vcc, v6, v8
	v_subb_co_u32_e32 v17, vcc, v7, v3, vcc
	v_add3_u32 v13, v13, v14, v9
	v_mul_lo_u32 v3, s23, v4
	v_mul_lo_u32 v14, s22, v5
	v_mad_u64_u32 v[6:7], s[0:1], s22, v4, 0
	v_mad_u64_u32 v[8:9], s[0:1], s16, v16, v[12:13]
	v_mul_lo_u32 v12, s16, v17
	v_mul_lo_u32 v13, s17, v16
	v_add3_u32 v7, v7, v14, v3
	v_mad_u64_u32 v[6:7], s[0:1], s20, v16, v[6:7]
	v_add3_u32 v9, v13, v9, v12
	v_mul_lo_u32 v3, s20, v17
	v_mul_lo_u32 v12, s21, v16
	s_andn2_b64 vcc, exec, s[6:7]
	v_add3_u32 v7, v12, v7, v3
	s_cbranch_vccnz .LBB15_29
; %bb.12:                               ;   in Loop: Header=BB15_3 Depth=1
	s_andn2_b64 vcc, exec, s[30:31]
	s_cbranch_vccnz .LBB15_18
; %bb.13:                               ;   in Loop: Header=BB15_3 Depth=1
	s_load_dwordx2 s[42:43], s[34:35], 0x8
                                        ; implicit-def: $vgpr12_vgpr13
	s_waitcnt lgkmcnt(0)
	v_or_b32_e32 v3, s43, v11
	v_cmp_ne_u64_e32 vcc, 0, v[2:3]
	s_and_saveexec_b64 s[0:1], vcc
	s_xor_b64 s[44:45], exec, s[0:1]
	s_cbranch_execz .LBB15_15
; %bb.14:                               ;   in Loop: Header=BB15_3 Depth=1
	s_ashr_i32 s46, s43, 31
	s_add_u32 s0, s42, s46
	s_mov_b32 s47, s46
	s_addc_u32 s1, s43, s46
	s_xor_b64 s[48:49], s[0:1], s[46:47]
	v_cvt_f32_u32_e32 v3, s48
	v_cvt_f32_u32_e32 v12, s49
	s_sub_u32 s47, 0, s48
	s_subb_u32 s50, 0, s49
	v_mac_f32_e32 v3, 0x4f800000, v12
	v_rcp_f32_e32 v3, v3
	v_mul_f32_e32 v3, 0x5f7ffffc, v3
	v_mul_f32_e32 v12, 0x2f800000, v3
	v_trunc_f32_e32 v12, v12
	v_mac_f32_e32 v3, 0xcf800000, v12
	v_cvt_u32_f32_e32 v12, v12
	v_cvt_u32_f32_e32 v3, v3
	v_readfirstlane_b32 s51, v12
	v_readfirstlane_b32 s0, v3
	s_mul_i32 s1, s47, s51
	s_mul_hi_u32 s53, s47, s0
	s_mul_i32 s52, s50, s0
	s_add_i32 s1, s53, s1
	s_add_i32 s1, s1, s52
	s_mul_i32 s54, s47, s0
	s_mul_i32 s53, s0, s1
	s_mul_hi_u32 s55, s0, s54
	s_mul_hi_u32 s52, s0, s1
	s_add_u32 s53, s55, s53
	s_addc_u32 s52, 0, s52
	s_mul_hi_u32 s56, s51, s54
	s_mul_i32 s54, s51, s54
	s_add_u32 s53, s53, s54
	s_mul_hi_u32 s55, s51, s1
	s_addc_u32 s52, s52, s56
	s_addc_u32 s53, s55, 0
	s_mul_i32 s1, s51, s1
	s_add_u32 s1, s52, s1
	s_addc_u32 s52, 0, s53
	s_add_u32 s53, s0, s1
	s_cselect_b64 s[0:1], -1, 0
	s_cmp_lg_u64 s[0:1], 0
	s_addc_u32 s51, s51, s52
	s_mul_i32 s0, s47, s51
	s_mul_hi_u32 s1, s47, s53
	s_add_i32 s0, s1, s0
	s_mul_i32 s50, s50, s53
	s_add_i32 s0, s0, s50
	s_mul_i32 s47, s47, s53
	s_mul_hi_u32 s50, s51, s47
	s_mul_i32 s52, s51, s47
	s_mul_i32 s55, s53, s0
	s_mul_hi_u32 s47, s53, s47
	s_mul_hi_u32 s54, s53, s0
	s_add_u32 s47, s47, s55
	s_addc_u32 s54, 0, s54
	s_add_u32 s47, s47, s52
	s_mul_hi_u32 s1, s51, s0
	s_addc_u32 s47, s54, s50
	s_addc_u32 s1, s1, 0
	s_mul_i32 s0, s51, s0
	s_add_u32 s0, s47, s0
	s_addc_u32 s47, 0, s1
	s_add_u32 s50, s53, s0
	s_cselect_b64 s[0:1], -1, 0
	v_ashrrev_i32_e32 v3, 31, v11
	s_cmp_lg_u64 s[0:1], 0
	v_add_co_u32_e32 v12, vcc, v10, v3
	s_addc_u32 s47, s51, s47
	v_xor_b32_e32 v18, v12, v3
	v_mad_u64_u32 v[12:13], s[0:1], v18, s47, 0
	v_mul_hi_u32 v15, v18, s50
	v_addc_co_u32_e32 v14, vcc, v11, v3, vcc
	v_xor_b32_e32 v19, v14, v3
	v_add_co_u32_e32 v20, vcc, v15, v12
	v_addc_co_u32_e32 v21, vcc, 0, v13, vcc
	v_mad_u64_u32 v[12:13], s[0:1], v19, s50, 0
	v_mad_u64_u32 v[14:15], s[0:1], v19, s47, 0
	v_add_co_u32_e32 v12, vcc, v20, v12
	v_addc_co_u32_e32 v12, vcc, v21, v13, vcc
	v_addc_co_u32_e32 v13, vcc, 0, v15, vcc
	v_add_co_u32_e32 v14, vcc, v12, v14
	v_addc_co_u32_e32 v15, vcc, 0, v13, vcc
	v_mul_lo_u32 v20, s49, v14
	v_mul_lo_u32 v21, s48, v15
	v_mad_u64_u32 v[12:13], s[0:1], s48, v14, 0
	v_xor_b32_e32 v3, s46, v3
	v_add3_u32 v13, v13, v21, v20
	v_sub_u32_e32 v20, v19, v13
	v_mov_b32_e32 v21, s49
	v_sub_co_u32_e32 v12, vcc, v18, v12
	v_subb_co_u32_e64 v18, s[0:1], v20, v21, vcc
	v_subrev_co_u32_e64 v20, s[0:1], s48, v12
	v_subbrev_co_u32_e64 v18, s[0:1], 0, v18, s[0:1]
	v_cmp_le_u32_e64 s[0:1], s49, v18
	v_cndmask_b32_e64 v21, 0, -1, s[0:1]
	v_cmp_le_u32_e64 s[0:1], s48, v20
	v_cndmask_b32_e64 v20, 0, -1, s[0:1]
	v_cmp_eq_u32_e64 s[0:1], s49, v18
	v_cndmask_b32_e64 v18, v21, v20, s[0:1]
	v_add_co_u32_e64 v20, s[0:1], 2, v14
	v_subb_co_u32_e32 v13, vcc, v19, v13, vcc
	v_addc_co_u32_e64 v21, s[0:1], 0, v15, s[0:1]
	v_cmp_le_u32_e32 vcc, s49, v13
	v_add_co_u32_e64 v22, s[0:1], 1, v14
	v_cndmask_b32_e64 v19, 0, -1, vcc
	v_cmp_le_u32_e32 vcc, s48, v12
	v_addc_co_u32_e64 v23, s[0:1], 0, v15, s[0:1]
	v_cndmask_b32_e64 v12, 0, -1, vcc
	v_cmp_eq_u32_e32 vcc, s49, v13
	v_cmp_ne_u32_e64 s[0:1], 0, v18
	v_cndmask_b32_e32 v12, v19, v12, vcc
	v_cndmask_b32_e64 v18, v23, v21, s[0:1]
	v_cmp_ne_u32_e32 vcc, 0, v12
	v_cndmask_b32_e64 v13, v22, v20, s[0:1]
	v_cndmask_b32_e32 v12, v15, v18, vcc
	v_cndmask_b32_e32 v13, v14, v13, vcc
	v_xor_b32_e32 v14, v12, v3
	v_xor_b32_e32 v12, v13, v3
	v_sub_co_u32_e32 v12, vcc, v12, v3
	v_subb_co_u32_e32 v13, vcc, v14, v3, vcc
.LBB15_15:                              ;   in Loop: Header=BB15_3 Depth=1
	s_andn2_saveexec_b64 s[0:1], s[44:45]
	s_cbranch_execz .LBB15_17
; %bb.16:                               ;   in Loop: Header=BB15_3 Depth=1
	v_cvt_f32_u32_e32 v3, s42
	s_sub_i32 s44, 0, s42
	v_rcp_iflag_f32_e32 v3, v3
	v_mul_f32_e32 v3, 0x4f7ffffe, v3
	v_cvt_u32_f32_e32 v3, v3
	v_mul_lo_u32 v12, s44, v3
	v_mul_hi_u32 v12, v3, v12
	v_add_u32_e32 v3, v3, v12
	v_mul_hi_u32 v3, v10, v3
	v_mul_lo_u32 v12, v3, s42
	v_add_u32_e32 v13, 1, v3
	v_sub_u32_e32 v12, v10, v12
	v_subrev_u32_e32 v14, s42, v12
	v_cmp_le_u32_e32 vcc, s42, v12
	v_cndmask_b32_e32 v12, v12, v14, vcc
	v_cndmask_b32_e32 v3, v3, v13, vcc
	v_add_u32_e32 v13, 1, v3
	v_cmp_le_u32_e32 vcc, s42, v12
	v_cndmask_b32_e32 v12, v3, v13, vcc
	v_mov_b32_e32 v13, v2
.LBB15_17:                              ;   in Loop: Header=BB15_3 Depth=1
	s_or_b64 exec, exec, s[0:1]
	v_mul_lo_u32 v3, v13, s42
	v_mul_lo_u32 v18, v12, s43
	v_mad_u64_u32 v[14:15], s[0:1], v12, s42, 0
	s_load_dwordx2 s[0:1], s[34:35], 0xd0
	s_load_dwordx2 s[42:43], s[36:37], 0xd0
	v_add3_u32 v3, v15, v18, v3
	v_sub_co_u32_e32 v10, vcc, v10, v14
	v_subb_co_u32_e32 v3, vcc, v11, v3, vcc
	s_waitcnt lgkmcnt(0)
	v_mul_lo_u32 v11, s0, v3
	v_mul_lo_u32 v14, s1, v10
	v_mad_u64_u32 v[8:9], s[0:1], s0, v10, v[8:9]
	v_mul_lo_u32 v3, s42, v3
	v_mul_lo_u32 v15, s43, v10
	v_mad_u64_u32 v[6:7], s[0:1], s42, v10, v[6:7]
	v_add3_u32 v9, v14, v9, v11
	v_mov_b32_e32 v10, v12
	v_add3_u32 v7, v15, v7, v3
	v_mov_b32_e32 v11, v13
	s_mov_b64 s[0:1], s[38:39]
	s_andn2_b64 vcc, exec, s[40:41]
	s_cbranch_vccz .LBB15_19
	s_branch .LBB15_29
.LBB15_18:                              ;   in Loop: Header=BB15_3 Depth=1
	s_mov_b64 s[0:1], s[24:25]
	s_andn2_b64 vcc, exec, s[40:41]
	s_cbranch_vccnz .LBB15_29
.LBB15_19:                              ;   in Loop: Header=BB15_3 Depth=1
	s_lshl_b64 s[44:45], s[0:1], 3
	s_add_u32 s42, s64, s44
	s_addc_u32 s43, s65, s45
	s_add_u32 s44, s33, s44
	s_addc_u32 s45, s62, s45
	;; [unrolled: 2-line block ×3, first 2 shown]
	s_branch .LBB15_21
.LBB15_20:                              ;   in Loop: Header=BB15_21 Depth=2
	s_or_b64 exec, exec, s[0:1]
	v_mul_lo_u32 v3, v13, s48
	v_mul_lo_u32 v20, v12, s49
	v_mad_u64_u32 v[18:19], s[0:1], v12, s48, 0
	v_mul_lo_u32 v21, v15, s50
	v_mul_lo_u32 v22, v14, s51
	v_add3_u32 v3, v19, v20, v3
	v_sub_co_u32_e32 v10, vcc, v10, v18
	v_subb_co_u32_e32 v3, vcc, v11, v3, vcc
	v_mul_lo_u32 v18, s54, v3
	v_mul_lo_u32 v19, s55, v10
	v_mad_u64_u32 v[8:9], s[0:1], s54, v10, v[8:9]
	v_mul_lo_u32 v3, s52, v3
	v_mul_lo_u32 v20, s53, v10
	v_mad_u64_u32 v[6:7], s[0:1], s52, v10, v[6:7]
	v_mad_u64_u32 v[10:11], s[0:1], v14, s50, 0
	s_load_dwordx2 s[0:1], s[44:45], 0xc8
	s_load_dwordx2 s[48:49], s[42:43], 0x0
	v_add3_u32 v7, v20, v7, v3
	v_add3_u32 v3, v11, v22, v21
	v_sub_co_u32_e32 v10, vcc, v12, v10
	v_add3_u32 v9, v19, v9, v18
	v_subb_co_u32_e32 v3, vcc, v13, v3, vcc
	s_add_u32 s42, s42, -16
	s_waitcnt lgkmcnt(0)
	v_mad_u64_u32 v[8:9], s[50:51], s0, v10, v[8:9]
	v_mul_lo_u32 v11, s0, v3
	v_mul_lo_u32 v12, s1, v10
	v_mad_u64_u32 v[6:7], s[0:1], s48, v10, v[6:7]
	v_mul_lo_u32 v3, s48, v3
	v_mul_lo_u32 v10, s49, v10
	s_addc_u32 s43, s43, -1
	s_add_u32 s44, s44, -16
	s_addc_u32 s45, s45, -1
	s_add_u32 s46, s46, -2
	v_add3_u32 v9, v12, v9, v11
	v_add3_u32 v7, v10, v7, v3
	s_addc_u32 s47, s47, -1
	v_mov_b32_e32 v10, v14
	s_cmp_eq_u64 s[46:47], 0
	v_mov_b32_e32 v11, v15
	s_cbranch_scc1 .LBB15_29
.LBB15_21:                              ;   Parent Loop BB15_3 Depth=1
                                        ; =>  This Inner Loop Header: Depth=2
	s_load_dwordx2 s[48:49], s[44:45], 0x8
                                        ; implicit-def: $vgpr12_vgpr13
	s_waitcnt lgkmcnt(0)
	v_or_b32_e32 v3, s49, v11
	v_cmp_ne_u64_e32 vcc, 0, v[2:3]
	s_and_saveexec_b64 s[0:1], vcc
	s_xor_b64 s[50:51], exec, s[0:1]
	s_cbranch_execz .LBB15_23
; %bb.22:                               ;   in Loop: Header=BB15_21 Depth=2
	s_ashr_i32 s52, s49, 31
	s_add_u32 s0, s48, s52
	s_mov_b32 s53, s52
	s_addc_u32 s1, s49, s52
	s_xor_b64 s[54:55], s[0:1], s[52:53]
	v_cvt_f32_u32_e32 v3, s54
	v_cvt_f32_u32_e32 v12, s55
	s_sub_u32 s53, 0, s54
	s_subb_u32 s56, 0, s55
	v_mac_f32_e32 v3, 0x4f800000, v12
	v_rcp_f32_e32 v3, v3
	v_mul_f32_e32 v3, 0x5f7ffffc, v3
	v_mul_f32_e32 v12, 0x2f800000, v3
	v_trunc_f32_e32 v12, v12
	v_mac_f32_e32 v3, 0xcf800000, v12
	v_cvt_u32_f32_e32 v12, v12
	v_cvt_u32_f32_e32 v3, v3
	v_readfirstlane_b32 s57, v12
	v_readfirstlane_b32 s0, v3
	s_mul_i32 s1, s53, s57
	s_mul_hi_u32 s59, s53, s0
	s_mul_i32 s58, s56, s0
	s_add_i32 s1, s59, s1
	s_add_i32 s1, s1, s58
	s_mul_i32 s60, s53, s0
	s_mul_i32 s59, s0, s1
	s_mul_hi_u32 s61, s0, s60
	s_mul_hi_u32 s58, s0, s1
	s_add_u32 s59, s61, s59
	s_addc_u32 s58, 0, s58
	s_mul_hi_u32 s66, s57, s60
	s_mul_i32 s60, s57, s60
	s_add_u32 s59, s59, s60
	s_mul_hi_u32 s61, s57, s1
	s_addc_u32 s58, s58, s66
	s_addc_u32 s59, s61, 0
	s_mul_i32 s1, s57, s1
	s_add_u32 s1, s58, s1
	s_addc_u32 s58, 0, s59
	s_add_u32 s59, s0, s1
	s_cselect_b64 s[0:1], -1, 0
	s_cmp_lg_u64 s[0:1], 0
	s_addc_u32 s57, s57, s58
	s_mul_i32 s0, s53, s57
	s_mul_hi_u32 s1, s53, s59
	s_add_i32 s0, s1, s0
	s_mul_i32 s56, s56, s59
	s_add_i32 s0, s0, s56
	s_mul_i32 s53, s53, s59
	s_mul_hi_u32 s56, s57, s53
	s_mul_i32 s58, s57, s53
	s_mul_i32 s61, s59, s0
	s_mul_hi_u32 s53, s59, s53
	s_mul_hi_u32 s60, s59, s0
	s_add_u32 s53, s53, s61
	s_addc_u32 s60, 0, s60
	s_add_u32 s53, s53, s58
	s_mul_hi_u32 s1, s57, s0
	s_addc_u32 s53, s60, s56
	s_addc_u32 s1, s1, 0
	s_mul_i32 s0, s57, s0
	s_add_u32 s0, s53, s0
	s_addc_u32 s53, 0, s1
	s_add_u32 s56, s59, s0
	s_cselect_b64 s[0:1], -1, 0
	v_ashrrev_i32_e32 v3, 31, v11
	s_cmp_lg_u64 s[0:1], 0
	v_add_co_u32_e32 v12, vcc, v10, v3
	s_addc_u32 s53, s57, s53
	v_xor_b32_e32 v18, v12, v3
	v_mad_u64_u32 v[12:13], s[0:1], v18, s53, 0
	v_mul_hi_u32 v15, v18, s56
	v_addc_co_u32_e32 v14, vcc, v11, v3, vcc
	v_xor_b32_e32 v19, v14, v3
	v_add_co_u32_e32 v20, vcc, v15, v12
	v_addc_co_u32_e32 v21, vcc, 0, v13, vcc
	v_mad_u64_u32 v[12:13], s[0:1], v19, s56, 0
	v_mad_u64_u32 v[14:15], s[0:1], v19, s53, 0
	v_add_co_u32_e32 v12, vcc, v20, v12
	v_addc_co_u32_e32 v12, vcc, v21, v13, vcc
	v_addc_co_u32_e32 v13, vcc, 0, v15, vcc
	v_add_co_u32_e32 v14, vcc, v12, v14
	v_addc_co_u32_e32 v15, vcc, 0, v13, vcc
	v_mul_lo_u32 v20, s55, v14
	v_mul_lo_u32 v21, s54, v15
	v_mad_u64_u32 v[12:13], s[0:1], s54, v14, 0
	v_xor_b32_e32 v3, s52, v3
	v_add3_u32 v13, v13, v21, v20
	v_sub_u32_e32 v20, v19, v13
	v_mov_b32_e32 v21, s55
	v_sub_co_u32_e32 v12, vcc, v18, v12
	v_subb_co_u32_e64 v18, s[0:1], v20, v21, vcc
	v_subrev_co_u32_e64 v20, s[0:1], s54, v12
	v_subbrev_co_u32_e64 v18, s[0:1], 0, v18, s[0:1]
	v_cmp_le_u32_e64 s[0:1], s55, v18
	v_cndmask_b32_e64 v21, 0, -1, s[0:1]
	v_cmp_le_u32_e64 s[0:1], s54, v20
	v_cndmask_b32_e64 v20, 0, -1, s[0:1]
	v_cmp_eq_u32_e64 s[0:1], s55, v18
	v_cndmask_b32_e64 v18, v21, v20, s[0:1]
	v_add_co_u32_e64 v20, s[0:1], 2, v14
	v_subb_co_u32_e32 v13, vcc, v19, v13, vcc
	v_addc_co_u32_e64 v21, s[0:1], 0, v15, s[0:1]
	v_cmp_le_u32_e32 vcc, s55, v13
	v_add_co_u32_e64 v22, s[0:1], 1, v14
	v_cndmask_b32_e64 v19, 0, -1, vcc
	v_cmp_le_u32_e32 vcc, s54, v12
	v_addc_co_u32_e64 v23, s[0:1], 0, v15, s[0:1]
	v_cndmask_b32_e64 v12, 0, -1, vcc
	v_cmp_eq_u32_e32 vcc, s55, v13
	v_cmp_ne_u32_e64 s[0:1], 0, v18
	v_cndmask_b32_e32 v12, v19, v12, vcc
	v_cndmask_b32_e64 v18, v23, v21, s[0:1]
	v_cmp_ne_u32_e32 vcc, 0, v12
	v_cndmask_b32_e64 v13, v22, v20, s[0:1]
	v_cndmask_b32_e32 v12, v15, v18, vcc
	v_cndmask_b32_e32 v13, v14, v13, vcc
	v_xor_b32_e32 v14, v12, v3
	v_xor_b32_e32 v12, v13, v3
	v_sub_co_u32_e32 v12, vcc, v12, v3
	v_subb_co_u32_e32 v13, vcc, v14, v3, vcc
.LBB15_23:                              ;   in Loop: Header=BB15_21 Depth=2
	s_andn2_saveexec_b64 s[0:1], s[50:51]
	s_cbranch_execz .LBB15_25
; %bb.24:                               ;   in Loop: Header=BB15_21 Depth=2
	v_cvt_f32_u32_e32 v3, s48
	s_sub_i32 s50, 0, s48
	v_rcp_iflag_f32_e32 v3, v3
	v_mul_f32_e32 v3, 0x4f7ffffe, v3
	v_cvt_u32_f32_e32 v3, v3
	v_mul_lo_u32 v12, s50, v3
	v_mul_hi_u32 v12, v3, v12
	v_add_u32_e32 v3, v3, v12
	v_mul_hi_u32 v3, v10, v3
	v_mul_lo_u32 v12, v3, s48
	v_add_u32_e32 v13, 1, v3
	v_sub_u32_e32 v12, v10, v12
	v_subrev_u32_e32 v14, s48, v12
	v_cmp_le_u32_e32 vcc, s48, v12
	v_cndmask_b32_e32 v12, v12, v14, vcc
	v_cndmask_b32_e32 v3, v3, v13, vcc
	v_add_u32_e32 v13, 1, v3
	v_cmp_le_u32_e32 vcc, s48, v12
	v_cndmask_b32_e32 v12, v3, v13, vcc
	v_mov_b32_e32 v13, v2
.LBB15_25:                              ;   in Loop: Header=BB15_21 Depth=2
	s_or_b64 exec, exec, s[0:1]
	s_load_dwordx2 s[50:51], s[44:45], 0x0
	s_load_dwordx2 s[54:55], s[44:45], 0xd0
	;; [unrolled: 1-line block ×3, first 2 shown]
                                        ; implicit-def: $vgpr14_vgpr15
	s_waitcnt lgkmcnt(0)
	v_or_b32_e32 v3, s51, v13
	v_cmp_ne_u64_e32 vcc, 0, v[2:3]
	s_and_saveexec_b64 s[0:1], vcc
	s_xor_b64 s[56:57], exec, s[0:1]
	s_cbranch_execz .LBB15_27
; %bb.26:                               ;   in Loop: Header=BB15_21 Depth=2
	s_ashr_i32 s58, s51, 31
	s_add_u32 s0, s50, s58
	s_mov_b32 s59, s58
	s_addc_u32 s1, s51, s58
	s_xor_b64 s[60:61], s[0:1], s[58:59]
	v_cvt_f32_u32_e32 v3, s60
	v_cvt_f32_u32_e32 v14, s61
	s_sub_u32 s59, 0, s60
	s_subb_u32 s66, 0, s61
	v_mac_f32_e32 v3, 0x4f800000, v14
	v_rcp_f32_e32 v3, v3
	v_mul_f32_e32 v3, 0x5f7ffffc, v3
	v_mul_f32_e32 v14, 0x2f800000, v3
	v_trunc_f32_e32 v14, v14
	v_mac_f32_e32 v3, 0xcf800000, v14
	v_cvt_u32_f32_e32 v14, v14
	v_cvt_u32_f32_e32 v3, v3
	v_readfirstlane_b32 s67, v14
	v_readfirstlane_b32 s0, v3
	s_mul_i32 s1, s59, s67
	s_mul_hi_u32 s69, s59, s0
	s_mul_i32 s68, s66, s0
	s_add_i32 s1, s69, s1
	s_add_i32 s1, s1, s68
	s_mul_i32 s70, s59, s0
	s_mul_i32 s69, s0, s1
	s_mul_hi_u32 s71, s0, s70
	s_mul_hi_u32 s68, s0, s1
	s_add_u32 s69, s71, s69
	s_addc_u32 s68, 0, s68
	s_mul_hi_u32 s72, s67, s70
	s_mul_i32 s70, s67, s70
	s_add_u32 s69, s69, s70
	s_mul_hi_u32 s71, s67, s1
	s_addc_u32 s68, s68, s72
	s_addc_u32 s69, s71, 0
	s_mul_i32 s1, s67, s1
	s_add_u32 s1, s68, s1
	s_addc_u32 s68, 0, s69
	s_add_u32 s69, s0, s1
	s_cselect_b64 s[0:1], -1, 0
	s_cmp_lg_u64 s[0:1], 0
	s_addc_u32 s67, s67, s68
	s_mul_i32 s0, s59, s67
	s_mul_hi_u32 s1, s59, s69
	s_add_i32 s0, s1, s0
	s_mul_i32 s66, s66, s69
	s_add_i32 s0, s0, s66
	s_mul_i32 s59, s59, s69
	s_mul_hi_u32 s66, s67, s59
	s_mul_i32 s68, s67, s59
	s_mul_i32 s71, s69, s0
	s_mul_hi_u32 s59, s69, s59
	s_mul_hi_u32 s70, s69, s0
	s_add_u32 s59, s59, s71
	s_addc_u32 s70, 0, s70
	s_add_u32 s59, s59, s68
	s_mul_hi_u32 s1, s67, s0
	s_addc_u32 s59, s70, s66
	s_addc_u32 s1, s1, 0
	s_mul_i32 s0, s67, s0
	s_add_u32 s0, s59, s0
	s_addc_u32 s59, 0, s1
	s_add_u32 s66, s69, s0
	s_cselect_b64 s[0:1], -1, 0
	v_ashrrev_i32_e32 v3, 31, v13
	s_cmp_lg_u64 s[0:1], 0
	v_add_co_u32_e32 v14, vcc, v12, v3
	s_addc_u32 s59, s67, s59
	v_xor_b32_e32 v20, v14, v3
	v_mad_u64_u32 v[14:15], s[0:1], v20, s59, 0
	v_mul_hi_u32 v19, v20, s66
	v_addc_co_u32_e32 v18, vcc, v13, v3, vcc
	v_xor_b32_e32 v21, v18, v3
	v_add_co_u32_e32 v22, vcc, v19, v14
	v_addc_co_u32_e32 v23, vcc, 0, v15, vcc
	v_mad_u64_u32 v[14:15], s[0:1], v21, s66, 0
	v_mad_u64_u32 v[18:19], s[0:1], v21, s59, 0
	v_add_co_u32_e32 v14, vcc, v22, v14
	v_addc_co_u32_e32 v14, vcc, v23, v15, vcc
	v_addc_co_u32_e32 v15, vcc, 0, v19, vcc
	v_add_co_u32_e32 v18, vcc, v14, v18
	v_addc_co_u32_e32 v19, vcc, 0, v15, vcc
	v_mul_lo_u32 v22, s61, v18
	v_mul_lo_u32 v23, s60, v19
	v_mad_u64_u32 v[14:15], s[0:1], s60, v18, 0
	v_xor_b32_e32 v3, s58, v3
	v_add3_u32 v15, v15, v23, v22
	v_sub_u32_e32 v22, v21, v15
	v_mov_b32_e32 v23, s61
	v_sub_co_u32_e32 v14, vcc, v20, v14
	v_subb_co_u32_e64 v20, s[0:1], v22, v23, vcc
	v_subrev_co_u32_e64 v22, s[0:1], s60, v14
	v_subbrev_co_u32_e64 v20, s[0:1], 0, v20, s[0:1]
	v_cmp_le_u32_e64 s[0:1], s61, v20
	v_cndmask_b32_e64 v23, 0, -1, s[0:1]
	v_cmp_le_u32_e64 s[0:1], s60, v22
	v_cndmask_b32_e64 v22, 0, -1, s[0:1]
	v_cmp_eq_u32_e64 s[0:1], s61, v20
	v_cndmask_b32_e64 v20, v23, v22, s[0:1]
	v_add_co_u32_e64 v22, s[0:1], 2, v18
	v_subb_co_u32_e32 v15, vcc, v21, v15, vcc
	v_addc_co_u32_e64 v23, s[0:1], 0, v19, s[0:1]
	v_cmp_le_u32_e32 vcc, s61, v15
	v_add_co_u32_e64 v24, s[0:1], 1, v18
	v_cndmask_b32_e64 v21, 0, -1, vcc
	v_cmp_le_u32_e32 vcc, s60, v14
	v_addc_co_u32_e64 v25, s[0:1], 0, v19, s[0:1]
	v_cndmask_b32_e64 v14, 0, -1, vcc
	v_cmp_eq_u32_e32 vcc, s61, v15
	v_cmp_ne_u32_e64 s[0:1], 0, v20
	v_cndmask_b32_e32 v14, v21, v14, vcc
	v_cndmask_b32_e64 v20, v25, v23, s[0:1]
	v_cmp_ne_u32_e32 vcc, 0, v14
	v_cndmask_b32_e64 v15, v24, v22, s[0:1]
	v_cndmask_b32_e32 v14, v19, v20, vcc
	v_cndmask_b32_e32 v15, v18, v15, vcc
	v_xor_b32_e32 v18, v14, v3
	v_xor_b32_e32 v14, v15, v3
	v_sub_co_u32_e32 v14, vcc, v14, v3
	v_subb_co_u32_e32 v15, vcc, v18, v3, vcc
.LBB15_27:                              ;   in Loop: Header=BB15_21 Depth=2
	s_andn2_saveexec_b64 s[0:1], s[56:57]
	s_cbranch_execz .LBB15_20
; %bb.28:                               ;   in Loop: Header=BB15_21 Depth=2
	v_cvt_f32_u32_e32 v3, s50
	s_sub_i32 s56, 0, s50
	v_rcp_iflag_f32_e32 v3, v3
	v_mul_f32_e32 v3, 0x4f7ffffe, v3
	v_cvt_u32_f32_e32 v3, v3
	v_mul_lo_u32 v14, s56, v3
	v_mul_hi_u32 v14, v3, v14
	v_add_u32_e32 v3, v3, v14
	v_mul_hi_u32 v3, v12, v3
	v_mul_lo_u32 v14, v3, s50
	v_add_u32_e32 v15, 1, v3
	v_sub_u32_e32 v14, v12, v14
	v_subrev_u32_e32 v18, s50, v14
	v_cmp_le_u32_e32 vcc, s50, v14
	v_cndmask_b32_e32 v14, v14, v18, vcc
	v_cndmask_b32_e32 v3, v3, v15, vcc
	v_add_u32_e32 v15, 1, v3
	v_cmp_le_u32_e32 vcc, s50, v14
	v_cndmask_b32_e32 v14, v3, v15, vcc
	v_mov_b32_e32 v15, v2
	s_branch .LBB15_20
.LBB15_29:                              ;   in Loop: Header=BB15_3 Depth=1
	v_sub_co_u32_e32 v12, vcc, v4, v16
	v_subb_co_u32_e32 v13, vcc, v5, v17, vcc
	v_cmp_ge_i64_e32 vcc, s[8:9], v[12:13]
	v_mov_b32_e32 v14, 0
	v_mov_b32_e32 v10, 0
	;; [unrolled: 1-line block ×4, first 2 shown]
	s_and_saveexec_b64 s[0:1], vcc
	s_cbranch_execz .LBB15_35
; %bb.30:                               ;   in Loop: Header=BB15_3 Depth=1
	v_cmp_gt_i64_e32 vcc, s[14:15], v[4:5]
	v_mov_b32_e32 v10, 0
	v_mov_b32_e32 v14, 0
	;; [unrolled: 1-line block ×4, first 2 shown]
	s_and_saveexec_b64 s[42:43], vcc
	s_cbranch_execz .LBB15_34
; %bb.31:                               ;   in Loop: Header=BB15_3 Depth=1
	v_lshlrev_b64 v[8:9], 3, v[8:9]
	v_mov_b32_e32 v3, s3
	v_add_co_u32_e32 v8, vcc, s2, v8
	v_addc_co_u32_e32 v9, vcc, v3, v9, vcc
	global_load_dwordx2 v[10:11], v[8:9], off
	v_add_co_u32_e32 v14, vcc, 1, v4
	v_addc_co_u32_e32 v15, vcc, 0, v5, vcc
	v_cmp_gt_i64_e32 vcc, s[14:15], v[14:15]
	v_mov_b32_e32 v14, 0
	v_mov_b32_e32 v15, 0
	s_and_saveexec_b64 s[44:45], vcc
	s_xor_b64 s[44:45], exec, s[44:45]
	s_cbranch_execz .LBB15_33
; %bb.32:                               ;   in Loop: Header=BB15_3 Depth=1
	s_lshl_b64 s[46:47], s[18:19], 3
	v_mov_b32_e32 v3, s47
	v_add_co_u32_e32 v8, vcc, s46, v8
	v_addc_co_u32_e32 v9, vcc, v9, v3, vcc
	global_load_dwordx2 v[14:15], v[8:9], off
.LBB15_33:                              ;   in Loop: Header=BB15_3 Depth=1
	s_or_b64 exec, exec, s[44:45]
.LBB15_34:                              ;   in Loop: Header=BB15_3 Depth=1
	s_or_b64 exec, exec, s[42:43]
	v_add_co_u32_e32 v8, vcc, 1, v12
	v_addc_co_u32_e32 v9, vcc, 0, v13, vcc
	v_cmp_ge_i64_e32 vcc, s[8:9], v[8:9]
	s_waitcnt vmcnt(0)
	v_cndmask_b32_e32 v15, 0, v15, vcc
	v_cndmask_b32_e32 v14, 0, v14, vcc
.LBB15_35:                              ;   in Loop: Header=BB15_3 Depth=1
	s_or_b64 exec, exec, s[0:1]
	v_cmp_gt_i64_e32 vcc, s[14:15], v[4:5]
	s_and_saveexec_b64 s[0:1], vcc
	s_cbranch_execz .LBB15_2
; %bb.36:                               ;   in Loop: Header=BB15_3 Depth=1
	v_lshlrev_b64 v[6:7], 3, v[6:7]
	v_mov_b32_e32 v3, s29
	v_add_co_u32_e32 v6, vcc, s28, v6
	v_addc_co_u32_e32 v7, vcc, v3, v7, vcc
	v_add_co_u32_e32 v3, vcc, 1, v4
	v_addc_co_u32_e32 v4, vcc, 0, v5, vcc
	v_cmp_gt_i64_e32 vcc, s[14:15], v[3:4]
	global_store_dwordx2 v[6:7], v[10:11], off
	s_and_saveexec_b64 s[42:43], vcc
	s_xor_b64 s[42:43], exec, s[42:43]
	s_cbranch_execz .LBB15_2
; %bb.37:                               ;   in Loop: Header=BB15_3 Depth=1
	s_lshl_b64 s[42:43], s[22:23], 3
	v_mov_b32_e32 v4, s43
	v_add_co_u32_e32 v3, vcc, s42, v6
	v_addc_co_u32_e32 v4, vcc, v7, v4, vcc
	global_store_dwordx2 v[3:4], v[14:15], off
	s_branch .LBB15_2
.LBB15_38:
	s_endpgm
	.section	.rodata,"a",@progbits
	.p2align	6, 0x0
	.amdhsa_kernel _ZN2at6native16triu_tril_kernelIllLb0ELi2ELb0EEEvNS_4cuda6detail10TensorInfoIT_T0_EENS4_IKS5_S6_EEllS6_
		.amdhsa_group_segment_fixed_size 0
		.amdhsa_private_segment_fixed_size 0
		.amdhsa_kernarg_size 1112
		.amdhsa_user_sgpr_count 6
		.amdhsa_user_sgpr_private_segment_buffer 1
		.amdhsa_user_sgpr_dispatch_ptr 0
		.amdhsa_user_sgpr_queue_ptr 0
		.amdhsa_user_sgpr_kernarg_segment_ptr 1
		.amdhsa_user_sgpr_dispatch_id 0
		.amdhsa_user_sgpr_flat_scratch_init 0
		.amdhsa_user_sgpr_private_segment_size 0
		.amdhsa_uses_dynamic_stack 0
		.amdhsa_system_sgpr_private_segment_wavefront_offset 0
		.amdhsa_system_sgpr_workgroup_id_x 1
		.amdhsa_system_sgpr_workgroup_id_y 0
		.amdhsa_system_sgpr_workgroup_id_z 0
		.amdhsa_system_sgpr_workgroup_info 0
		.amdhsa_system_vgpr_workitem_id 0
		.amdhsa_next_free_vgpr 26
		.amdhsa_next_free_sgpr 73
		.amdhsa_reserve_vcc 1
		.amdhsa_reserve_flat_scratch 0
		.amdhsa_float_round_mode_32 0
		.amdhsa_float_round_mode_16_64 0
		.amdhsa_float_denorm_mode_32 3
		.amdhsa_float_denorm_mode_16_64 3
		.amdhsa_dx10_clamp 1
		.amdhsa_ieee_mode 1
		.amdhsa_fp16_overflow 0
		.amdhsa_exception_fp_ieee_invalid_op 0
		.amdhsa_exception_fp_denorm_src 0
		.amdhsa_exception_fp_ieee_div_zero 0
		.amdhsa_exception_fp_ieee_overflow 0
		.amdhsa_exception_fp_ieee_underflow 0
		.amdhsa_exception_fp_ieee_inexact 0
		.amdhsa_exception_int_div_zero 0
	.end_amdhsa_kernel
	.section	.text._ZN2at6native16triu_tril_kernelIllLb0ELi2ELb0EEEvNS_4cuda6detail10TensorInfoIT_T0_EENS4_IKS5_S6_EEllS6_,"axG",@progbits,_ZN2at6native16triu_tril_kernelIllLb0ELi2ELb0EEEvNS_4cuda6detail10TensorInfoIT_T0_EENS4_IKS5_S6_EEllS6_,comdat
.Lfunc_end15:
	.size	_ZN2at6native16triu_tril_kernelIllLb0ELi2ELb0EEEvNS_4cuda6detail10TensorInfoIT_T0_EENS4_IKS5_S6_EEllS6_, .Lfunc_end15-_ZN2at6native16triu_tril_kernelIllLb0ELi2ELb0EEEvNS_4cuda6detail10TensorInfoIT_T0_EENS4_IKS5_S6_EEllS6_
                                        ; -- End function
	.set _ZN2at6native16triu_tril_kernelIllLb0ELi2ELb0EEEvNS_4cuda6detail10TensorInfoIT_T0_EENS4_IKS5_S6_EEllS6_.num_vgpr, 26
	.set _ZN2at6native16triu_tril_kernelIllLb0ELi2ELb0EEEvNS_4cuda6detail10TensorInfoIT_T0_EENS4_IKS5_S6_EEllS6_.num_agpr, 0
	.set _ZN2at6native16triu_tril_kernelIllLb0ELi2ELb0EEEvNS_4cuda6detail10TensorInfoIT_T0_EENS4_IKS5_S6_EEllS6_.numbered_sgpr, 73
	.set _ZN2at6native16triu_tril_kernelIllLb0ELi2ELb0EEEvNS_4cuda6detail10TensorInfoIT_T0_EENS4_IKS5_S6_EEllS6_.num_named_barrier, 0
	.set _ZN2at6native16triu_tril_kernelIllLb0ELi2ELb0EEEvNS_4cuda6detail10TensorInfoIT_T0_EENS4_IKS5_S6_EEllS6_.private_seg_size, 0
	.set _ZN2at6native16triu_tril_kernelIllLb0ELi2ELb0EEEvNS_4cuda6detail10TensorInfoIT_T0_EENS4_IKS5_S6_EEllS6_.uses_vcc, 1
	.set _ZN2at6native16triu_tril_kernelIllLb0ELi2ELb0EEEvNS_4cuda6detail10TensorInfoIT_T0_EENS4_IKS5_S6_EEllS6_.uses_flat_scratch, 0
	.set _ZN2at6native16triu_tril_kernelIllLb0ELi2ELb0EEEvNS_4cuda6detail10TensorInfoIT_T0_EENS4_IKS5_S6_EEllS6_.has_dyn_sized_stack, 0
	.set _ZN2at6native16triu_tril_kernelIllLb0ELi2ELb0EEEvNS_4cuda6detail10TensorInfoIT_T0_EENS4_IKS5_S6_EEllS6_.has_recursion, 0
	.set _ZN2at6native16triu_tril_kernelIllLb0ELi2ELb0EEEvNS_4cuda6detail10TensorInfoIT_T0_EENS4_IKS5_S6_EEllS6_.has_indirect_call, 0
	.section	.AMDGPU.csdata,"",@progbits
; Kernel info:
; codeLenInByte = 5012
; TotalNumSgprs: 77
; NumVgprs: 26
; ScratchSize: 0
; MemoryBound: 0
; FloatMode: 240
; IeeeMode: 1
; LDSByteSize: 0 bytes/workgroup (compile time only)
; SGPRBlocks: 9
; VGPRBlocks: 6
; NumSGPRsForWavesPerEU: 77
; NumVGPRsForWavesPerEU: 26
; Occupancy: 9
; WaveLimiterHint : 0
; COMPUTE_PGM_RSRC2:SCRATCH_EN: 0
; COMPUTE_PGM_RSRC2:USER_SGPR: 6
; COMPUTE_PGM_RSRC2:TRAP_HANDLER: 0
; COMPUTE_PGM_RSRC2:TGID_X_EN: 1
; COMPUTE_PGM_RSRC2:TGID_Y_EN: 0
; COMPUTE_PGM_RSRC2:TGID_Z_EN: 0
; COMPUTE_PGM_RSRC2:TIDIG_COMP_CNT: 0
	.section	.text._ZN2at6native16triu_tril_kernelIsiLb0ELi4ELb1EEEvNS_4cuda6detail10TensorInfoIT_T0_EENS4_IKS5_S6_EEllS6_,"axG",@progbits,_ZN2at6native16triu_tril_kernelIsiLb0ELi4ELb1EEEvNS_4cuda6detail10TensorInfoIT_T0_EENS4_IKS5_S6_EEllS6_,comdat
	.protected	_ZN2at6native16triu_tril_kernelIsiLb0ELi4ELb1EEEvNS_4cuda6detail10TensorInfoIT_T0_EENS4_IKS5_S6_EEllS6_ ; -- Begin function _ZN2at6native16triu_tril_kernelIsiLb0ELi4ELb1EEEvNS_4cuda6detail10TensorInfoIT_T0_EENS4_IKS5_S6_EEllS6_
	.globl	_ZN2at6native16triu_tril_kernelIsiLb0ELi4ELb1EEEvNS_4cuda6detail10TensorInfoIT_T0_EENS4_IKS5_S6_EEllS6_
	.p2align	8
	.type	_ZN2at6native16triu_tril_kernelIsiLb0ELi4ELb1EEEvNS_4cuda6detail10TensorInfoIT_T0_EENS4_IKS5_S6_EEllS6_,@function
_ZN2at6native16triu_tril_kernelIsiLb0ELi4ELb1EEEvNS_4cuda6detail10TensorInfoIT_T0_EENS4_IKS5_S6_EEllS6_: ; @_ZN2at6native16triu_tril_kernelIsiLb0ELi4ELb1EEEvNS_4cuda6detail10TensorInfoIT_T0_EENS4_IKS5_S6_EEllS6_
; %bb.0:
	s_load_dword s2, s[4:5], 0x1d4
	s_load_dwordx4 s[8:11], s[4:5], 0x1b0
	s_add_u32 s0, s4, 0x1c8
	v_mov_b32_e32 v2, 0
	s_addc_u32 s1, s5, 0
	s_waitcnt lgkmcnt(0)
	s_and_b32 s7, s2, 0xffff
	v_mov_b32_e32 v1, v2
	v_mov_b32_e32 v3, s6
	v_mad_u64_u32 v[0:1], s[2:3], s7, v3, v[0:1]
	v_lshlrev_b64 v[0:1], 2, v[0:1]
	v_cmp_gt_i64_e32 vcc, s[10:11], v[0:1]
	s_and_saveexec_b64 s[2:3], vcc
	s_cbranch_execz .LBB16_69
; %bb.1:
	s_load_dword s33, s[4:5], 0x1c0
	s_load_dword s16, s[4:5], 0x1a8
	s_add_u32 s42, s4, 0xd8
	s_addc_u32 s43, s5, 0
	s_load_dword s6, s[0:1], 0x0
	s_waitcnt lgkmcnt(0)
	s_ashr_i32 s44, s33, 31
	s_ashr_i32 s17, s16, 31
	s_lshl_b64 s[0:1], s[16:17], 2
	s_add_u32 s2, s42, s0
	s_addc_u32 s3, s43, s1
	s_load_dword s45, s[2:3], 0x0
	s_load_dwordx2 s[12:13], s[4:5], 0x0
	s_mul_i32 s18, s6, s7
	v_cmp_gt_i64_e64 s[6:7], s[16:17], 2
	s_mov_b32 s17, 0
	s_waitcnt lgkmcnt(0)
	s_ashr_i32 s46, s45, 31
	s_add_u32 s14, s4, s0
	s_addc_u32 s15, s5, s1
	s_add_i32 s0, s16, 6
	s_add_i32 s47, s16, -3
	s_lshl_b32 s48, s18, 2
	s_and_b32 s49, s0, 7
	s_and_b32 s0, s16, 7
	s_cmp_lg_u32 s0, 2
	s_cselect_b64 s[18:19], -1, 0
	s_cmp_gt_u32 s47, 6
	s_cselect_b64 s[20:21], -1, 0
	s_mov_b64 s[22:23], 0
	s_ashr_i32 s24, s44, 31
	s_branch .LBB16_3
.LBB16_2:                               ;   in Loop: Header=BB16_3 Depth=1
	s_or_b64 exec, exec, s[26:27]
	v_add_co_u32_e32 v0, vcc, s48, v0
	v_addc_co_u32_e32 v1, vcc, 0, v1, vcc
	v_cmp_le_i64_e32 vcc, s[10:11], v[0:1]
	s_or_b64 s[22:23], vcc, s[22:23]
	s_andn2_b64 exec, exec, s[22:23]
	s_cbranch_execz .LBB16_69
.LBB16_3:                               ; =>This Loop Header: Depth=1
                                        ;     Child Loop BB16_14 Depth 2
                                        ;     Child Loop BB16_23 Depth 2
	v_or_b32_e32 v3, s44, v1
	v_cmp_ne_u64_e32 vcc, 0, v[2:3]
                                        ; implicit-def: $vgpr4_vgpr5
	s_and_saveexec_b64 s[0:1], vcc
	s_xor_b64 s[26:27], exec, s[0:1]
	s_cbranch_execz .LBB16_5
; %bb.4:                                ;   in Loop: Header=BB16_3 Depth=1
	s_add_u32 s0, s33, s24
	s_mov_b32 s25, s24
	s_addc_u32 s1, s44, s24
	s_xor_b64 s[28:29], s[0:1], s[24:25]
	v_cvt_f32_u32_e32 v3, s28
	v_cvt_f32_u32_e32 v4, s29
	s_sub_u32 s16, 0, s28
	s_subb_u32 s25, 0, s29
	v_ashrrev_i32_e32 v7, 31, v1
	v_mac_f32_e32 v3, 0x4f800000, v4
	v_rcp_f32_e32 v3, v3
	v_mul_f32_e32 v3, 0x5f7ffffc, v3
	v_mul_f32_e32 v4, 0x2f800000, v3
	v_trunc_f32_e32 v4, v4
	v_mac_f32_e32 v3, 0xcf800000, v4
	v_cvt_u32_f32_e32 v4, v4
	v_cvt_u32_f32_e32 v3, v3
	v_readfirstlane_b32 s30, v4
	v_readfirstlane_b32 s0, v3
	s_mul_i32 s1, s16, s30
	s_mul_hi_u32 s34, s16, s0
	s_mul_i32 s31, s25, s0
	s_add_i32 s1, s34, s1
	s_add_i32 s1, s1, s31
	s_mul_i32 s35, s16, s0
	s_mul_i32 s34, s0, s1
	s_mul_hi_u32 s36, s0, s35
	s_mul_hi_u32 s31, s0, s1
	s_add_u32 s34, s36, s34
	s_addc_u32 s31, 0, s31
	s_mul_hi_u32 s37, s30, s35
	s_mul_i32 s35, s30, s35
	s_add_u32 s34, s34, s35
	s_mul_hi_u32 s36, s30, s1
	s_addc_u32 s31, s31, s37
	s_addc_u32 s34, s36, 0
	s_mul_i32 s1, s30, s1
	s_add_u32 s1, s31, s1
	s_addc_u32 s31, 0, s34
	s_add_u32 s34, s0, s1
	s_cselect_b64 s[0:1], -1, 0
	s_cmp_lg_u64 s[0:1], 0
	s_addc_u32 s30, s30, s31
	s_mul_i32 s0, s16, s30
	s_mul_hi_u32 s1, s16, s34
	s_add_i32 s0, s1, s0
	s_mul_i32 s25, s25, s34
	s_add_i32 s0, s0, s25
	s_mul_i32 s16, s16, s34
	s_mul_hi_u32 s25, s30, s16
	s_mul_i32 s31, s30, s16
	s_mul_i32 s36, s34, s0
	s_mul_hi_u32 s16, s34, s16
	s_mul_hi_u32 s35, s34, s0
	s_add_u32 s16, s16, s36
	s_addc_u32 s35, 0, s35
	s_add_u32 s16, s16, s31
	s_mul_hi_u32 s1, s30, s0
	s_addc_u32 s16, s35, s25
	s_addc_u32 s1, s1, 0
	s_mul_i32 s0, s30, s0
	s_add_u32 s0, s16, s0
	s_addc_u32 s16, 0, s1
	s_add_u32 s25, s34, s0
	s_cselect_b64 s[0:1], -1, 0
	s_cmp_lg_u64 s[0:1], 0
	v_add_co_u32_e32 v3, vcc, v0, v7
	s_addc_u32 s16, s30, s16
	v_xor_b32_e32 v8, v3, v7
	v_mad_u64_u32 v[3:4], s[0:1], v8, s16, 0
	v_mul_hi_u32 v6, v8, s25
	v_addc_co_u32_e32 v5, vcc, v1, v7, vcc
	v_xor_b32_e32 v9, v5, v7
	v_add_co_u32_e32 v10, vcc, v6, v3
	v_addc_co_u32_e32 v11, vcc, 0, v4, vcc
	v_mad_u64_u32 v[3:4], s[0:1], v9, s25, 0
	v_mad_u64_u32 v[5:6], s[0:1], v9, s16, 0
	v_add_co_u32_e32 v3, vcc, v10, v3
	v_addc_co_u32_e32 v3, vcc, v11, v4, vcc
	v_addc_co_u32_e32 v4, vcc, 0, v6, vcc
	v_add_co_u32_e32 v5, vcc, v3, v5
	v_addc_co_u32_e32 v6, vcc, 0, v4, vcc
	v_mul_lo_u32 v10, s29, v5
	v_mul_lo_u32 v11, s28, v6
	v_mad_u64_u32 v[3:4], s[0:1], s28, v5, 0
	v_add3_u32 v4, v4, v11, v10
	v_sub_u32_e32 v10, v9, v4
	v_mov_b32_e32 v11, s29
	v_sub_co_u32_e32 v3, vcc, v8, v3
	v_subb_co_u32_e64 v8, s[0:1], v10, v11, vcc
	v_subrev_co_u32_e64 v10, s[0:1], s28, v3
	v_subbrev_co_u32_e64 v8, s[0:1], 0, v8, s[0:1]
	v_cmp_le_u32_e64 s[0:1], s29, v8
	v_cndmask_b32_e64 v11, 0, -1, s[0:1]
	v_cmp_le_u32_e64 s[0:1], s28, v10
	v_cndmask_b32_e64 v10, 0, -1, s[0:1]
	v_cmp_eq_u32_e64 s[0:1], s29, v8
	v_cndmask_b32_e64 v8, v11, v10, s[0:1]
	v_add_co_u32_e64 v10, s[0:1], 2, v5
	v_subb_co_u32_e32 v4, vcc, v9, v4, vcc
	v_addc_co_u32_e64 v11, s[0:1], 0, v6, s[0:1]
	v_cmp_le_u32_e32 vcc, s29, v4
	v_add_co_u32_e64 v12, s[0:1], 1, v5
	v_cndmask_b32_e64 v9, 0, -1, vcc
	v_cmp_le_u32_e32 vcc, s28, v3
	v_addc_co_u32_e64 v13, s[0:1], 0, v6, s[0:1]
	v_cndmask_b32_e64 v3, 0, -1, vcc
	v_cmp_eq_u32_e32 vcc, s29, v4
	v_cmp_ne_u32_e64 s[0:1], 0, v8
	v_cndmask_b32_e32 v3, v9, v3, vcc
	v_cmp_ne_u32_e32 vcc, 0, v3
	v_cndmask_b32_e64 v4, v12, v10, s[0:1]
	v_cndmask_b32_e64 v8, v13, v11, s[0:1]
	v_cndmask_b32_e32 v4, v5, v4, vcc
	v_xor_b32_e32 v5, s24, v7
	v_cndmask_b32_e32 v3, v6, v8, vcc
	v_xor_b32_e32 v4, v4, v5
	v_xor_b32_e32 v3, v3, v5
	v_sub_co_u32_e32 v4, vcc, v4, v5
	v_subb_co_u32_e32 v5, vcc, v3, v5, vcc
.LBB16_5:                               ;   in Loop: Header=BB16_3 Depth=1
	s_andn2_saveexec_b64 s[0:1], s[26:27]
	s_cbranch_execz .LBB16_7
; %bb.6:                                ;   in Loop: Header=BB16_3 Depth=1
	v_cvt_f32_u32_e32 v3, s33
	s_sub_i32 s16, 0, s33
	v_rcp_iflag_f32_e32 v3, v3
	v_mul_f32_e32 v3, 0x4f7ffffe, v3
	v_cvt_u32_f32_e32 v3, v3
	v_mul_lo_u32 v4, s16, v3
	v_mul_hi_u32 v4, v3, v4
	v_add_u32_e32 v3, v3, v4
	v_mul_hi_u32 v3, v0, v3
	v_mul_lo_u32 v4, v3, s33
	v_add_u32_e32 v5, 1, v3
	v_sub_u32_e32 v4, v0, v4
	v_subrev_u32_e32 v6, s33, v4
	v_cmp_le_u32_e32 vcc, s33, v4
	v_cndmask_b32_e32 v4, v4, v6, vcc
	v_cndmask_b32_e32 v3, v3, v5, vcc
	v_add_u32_e32 v5, 1, v3
	v_cmp_le_u32_e32 vcc, s33, v4
	v_cndmask_b32_e32 v4, v3, v5, vcc
	v_mov_b32_e32 v5, v2
.LBB16_7:                               ;   in Loop: Header=BB16_3 Depth=1
	s_or_b64 exec, exec, s[0:1]
	v_or_b32_e32 v3, s46, v5
	v_cmp_ne_u64_e32 vcc, 0, v[2:3]
                                        ; implicit-def: $vgpr7_vgpr8
	s_and_saveexec_b64 s[0:1], vcc
	s_xor_b64 s[26:27], exec, s[0:1]
	s_cbranch_execz .LBB16_9
; %bb.8:                                ;   in Loop: Header=BB16_3 Depth=1
	s_ashr_i32 s28, s46, 31
	s_add_u32 s0, s45, s28
	s_mov_b32 s29, s28
	s_addc_u32 s1, s46, s28
	s_xor_b64 s[30:31], s[0:1], s[28:29]
	v_cvt_f32_u32_e32 v3, s30
	v_cvt_f32_u32_e32 v6, s31
	s_sub_u32 s16, 0, s30
	s_subb_u32 s25, 0, s31
	v_mac_f32_e32 v3, 0x4f800000, v6
	v_rcp_f32_e32 v3, v3
	v_mul_f32_e32 v3, 0x5f7ffffc, v3
	v_mul_f32_e32 v6, 0x2f800000, v3
	v_trunc_f32_e32 v6, v6
	v_mac_f32_e32 v3, 0xcf800000, v6
	v_cvt_u32_f32_e32 v6, v6
	v_cvt_u32_f32_e32 v3, v3
	v_readfirstlane_b32 s29, v6
	v_readfirstlane_b32 s0, v3
	s_mul_i32 s1, s16, s29
	s_mul_hi_u32 s35, s16, s0
	s_mul_i32 s34, s25, s0
	s_add_i32 s1, s35, s1
	s_add_i32 s1, s1, s34
	s_mul_i32 s36, s16, s0
	s_mul_i32 s35, s0, s1
	s_mul_hi_u32 s37, s0, s36
	s_mul_hi_u32 s34, s0, s1
	s_add_u32 s35, s37, s35
	s_addc_u32 s34, 0, s34
	s_mul_hi_u32 s38, s29, s36
	s_mul_i32 s36, s29, s36
	s_add_u32 s35, s35, s36
	s_mul_hi_u32 s37, s29, s1
	s_addc_u32 s34, s34, s38
	s_addc_u32 s35, s37, 0
	s_mul_i32 s1, s29, s1
	s_add_u32 s1, s34, s1
	s_addc_u32 s34, 0, s35
	s_add_u32 s35, s0, s1
	s_cselect_b64 s[0:1], -1, 0
	s_cmp_lg_u64 s[0:1], 0
	s_addc_u32 s29, s29, s34
	s_mul_i32 s0, s16, s29
	s_mul_hi_u32 s1, s16, s35
	s_add_i32 s0, s1, s0
	s_mul_i32 s25, s25, s35
	s_add_i32 s0, s0, s25
	s_mul_i32 s16, s16, s35
	s_mul_hi_u32 s25, s29, s16
	s_mul_i32 s34, s29, s16
	s_mul_i32 s37, s35, s0
	s_mul_hi_u32 s16, s35, s16
	s_mul_hi_u32 s36, s35, s0
	s_add_u32 s16, s16, s37
	s_addc_u32 s36, 0, s36
	s_add_u32 s16, s16, s34
	s_mul_hi_u32 s1, s29, s0
	s_addc_u32 s16, s36, s25
	s_addc_u32 s1, s1, 0
	s_mul_i32 s0, s29, s0
	s_add_u32 s0, s16, s0
	s_addc_u32 s16, 0, s1
	s_add_u32 s25, s35, s0
	s_cselect_b64 s[0:1], -1, 0
	v_ashrrev_i32_e32 v3, 31, v5
	s_cmp_lg_u64 s[0:1], 0
	v_add_co_u32_e32 v6, vcc, v4, v3
	s_addc_u32 s16, s29, s16
	v_xor_b32_e32 v9, v6, v3
	v_addc_co_u32_e32 v7, vcc, v5, v3, vcc
	v_mad_u64_u32 v[5:6], s[0:1], v9, s16, 0
	v_mul_hi_u32 v8, v9, s25
	v_xor_b32_e32 v10, v7, v3
	v_xor_b32_e32 v3, s28, v3
	v_add_co_u32_e32 v11, vcc, v8, v5
	v_addc_co_u32_e32 v12, vcc, 0, v6, vcc
	v_mad_u64_u32 v[5:6], s[0:1], v10, s25, 0
	v_mad_u64_u32 v[7:8], s[0:1], v10, s16, 0
	v_add_co_u32_e32 v5, vcc, v11, v5
	v_addc_co_u32_e32 v5, vcc, v12, v6, vcc
	v_addc_co_u32_e32 v6, vcc, 0, v8, vcc
	v_add_co_u32_e32 v7, vcc, v5, v7
	v_addc_co_u32_e32 v8, vcc, 0, v6, vcc
	v_mul_lo_u32 v11, s31, v7
	v_mul_lo_u32 v12, s30, v8
	v_mad_u64_u32 v[5:6], s[0:1], s30, v7, 0
	v_add3_u32 v6, v6, v12, v11
	v_sub_u32_e32 v11, v10, v6
	v_mov_b32_e32 v12, s31
	v_sub_co_u32_e32 v5, vcc, v9, v5
	v_subb_co_u32_e64 v9, s[0:1], v11, v12, vcc
	v_subrev_co_u32_e64 v11, s[0:1], s30, v5
	v_subbrev_co_u32_e64 v9, s[0:1], 0, v9, s[0:1]
	v_cmp_le_u32_e64 s[0:1], s31, v9
	v_cndmask_b32_e64 v12, 0, -1, s[0:1]
	v_cmp_le_u32_e64 s[0:1], s30, v11
	v_cndmask_b32_e64 v11, 0, -1, s[0:1]
	v_cmp_eq_u32_e64 s[0:1], s31, v9
	v_cndmask_b32_e64 v9, v12, v11, s[0:1]
	v_add_co_u32_e64 v11, s[0:1], 2, v7
	v_subb_co_u32_e32 v6, vcc, v10, v6, vcc
	v_addc_co_u32_e64 v12, s[0:1], 0, v8, s[0:1]
	v_cmp_le_u32_e32 vcc, s31, v6
	v_add_co_u32_e64 v13, s[0:1], 1, v7
	v_cndmask_b32_e64 v10, 0, -1, vcc
	v_cmp_le_u32_e32 vcc, s30, v5
	v_addc_co_u32_e64 v14, s[0:1], 0, v8, s[0:1]
	v_cndmask_b32_e64 v5, 0, -1, vcc
	v_cmp_eq_u32_e32 vcc, s31, v6
	v_cmp_ne_u32_e64 s[0:1], 0, v9
	v_cndmask_b32_e32 v5, v10, v5, vcc
	v_cmp_ne_u32_e32 vcc, 0, v5
	v_cndmask_b32_e64 v6, v13, v11, s[0:1]
	v_cndmask_b32_e64 v9, v14, v12, s[0:1]
	v_cndmask_b32_e32 v6, v7, v6, vcc
	v_cndmask_b32_e32 v5, v8, v9, vcc
	v_xor_b32_e32 v6, v6, v3
	v_xor_b32_e32 v5, v5, v3
	v_sub_co_u32_e32 v7, vcc, v6, v3
	v_subb_co_u32_e32 v8, vcc, v5, v3, vcc
.LBB16_9:                               ;   in Loop: Header=BB16_3 Depth=1
	s_andn2_saveexec_b64 s[0:1], s[26:27]
	s_cbranch_execz .LBB16_11
; %bb.10:                               ;   in Loop: Header=BB16_3 Depth=1
	v_cvt_f32_u32_e32 v3, s45
	s_sub_i32 s16, 0, s45
	v_mov_b32_e32 v8, v2
	v_rcp_iflag_f32_e32 v3, v3
	v_mul_f32_e32 v3, 0x4f7ffffe, v3
	v_cvt_u32_f32_e32 v3, v3
	v_mul_lo_u32 v5, s16, v3
	v_mul_hi_u32 v5, v3, v5
	v_add_u32_e32 v3, v3, v5
	v_mul_hi_u32 v3, v4, v3
	v_mul_lo_u32 v5, v3, s45
	v_add_u32_e32 v6, 1, v3
	v_sub_u32_e32 v5, v4, v5
	v_subrev_u32_e32 v7, s45, v5
	v_cmp_le_u32_e32 vcc, s45, v5
	v_cndmask_b32_e32 v5, v5, v7, vcc
	v_cndmask_b32_e32 v3, v3, v6, vcc
	v_add_u32_e32 v6, 1, v3
	v_cmp_le_u32_e32 vcc, s45, v5
	v_cndmask_b32_e32 v7, v3, v6, vcc
.LBB16_11:                              ;   in Loop: Header=BB16_3 Depth=1
	s_or_b64 exec, exec, s[0:1]
	v_mad_u64_u32 v[5:6], s[0:1], v4, s33, 0
	v_mad_u64_u32 v[9:10], s[0:1], v7, s45, 0
	v_sub_co_u32_e32 v26, vcc, v0, v5
	v_sub_co_u32_e32 v25, vcc, v4, v9
	v_sub_u32_e32 v6, v26, v25
	v_add_u32_e32 v3, 4, v6
	v_ashrrev_i32_e32 v4, 31, v3
	v_cmp_lt_i64_e32 vcc, s[8:9], v[3:4]
	s_and_saveexec_b64 s[26:27], vcc
	s_cbranch_execz .LBB16_2
; %bb.12:                               ;   in Loop: Header=BB16_3 Depth=1
	s_load_dwordx2 s[28:29], s[14:15], 0x64
	s_andn2_b64 vcc, exec, s[6:7]
	s_waitcnt lgkmcnt(0)
	v_mul_lo_u32 v3, s29, v26
	v_mad_u64_u32 v[4:5], s[0:1], s28, v25, v[3:4]
	s_cbranch_vccnz .LBB16_57
; %bb.13:                               ;   in Loop: Header=BB16_3 Depth=1
	s_andn2_b64 vcc, exec, s[18:19]
	s_mov_b32 s25, s49
	s_mov_b32 s16, s47
	;; [unrolled: 1-line block ×3, first 2 shown]
	s_cbranch_vccnz .LBB16_21
.LBB16_14:                              ;   Parent Loop BB16_3 Depth=1
                                        ; =>  This Inner Loop Header: Depth=2
	s_lshl_b64 s[30:31], s[16:17], 2
	s_add_u32 s0, s42, s30
	s_addc_u32 s1, s43, s31
	s_load_dword s28, s[0:1], 0x8
                                        ; implicit-def: $vgpr9_vgpr10
	s_waitcnt lgkmcnt(0)
	s_ashr_i32 s0, s28, 31
	v_or_b32_e32 v3, s0, v8
	v_cmp_ne_u64_e32 vcc, 0, v[2:3]
	s_and_saveexec_b64 s[34:35], vcc
	s_xor_b64 s[34:35], exec, s[34:35]
	s_cbranch_execz .LBB16_16
; %bb.15:                               ;   in Loop: Header=BB16_14 Depth=2
	s_ashr_i32 s36, s0, 31
	s_add_u32 s38, s28, s36
	s_mov_b32 s37, s36
	s_addc_u32 s39, s0, s36
	s_xor_b64 s[38:39], s[38:39], s[36:37]
	v_cvt_f32_u32_e32 v3, s38
	v_cvt_f32_u32_e32 v5, s39
	s_sub_u32 s37, 0, s38
	s_subb_u32 s40, 0, s39
	v_mac_f32_e32 v3, 0x4f800000, v5
	v_rcp_f32_e32 v3, v3
	v_mul_f32_e32 v3, 0x5f7ffffc, v3
	v_mul_f32_e32 v5, 0x2f800000, v3
	v_trunc_f32_e32 v5, v5
	v_mac_f32_e32 v3, 0xcf800000, v5
	v_cvt_u32_f32_e32 v5, v5
	v_cvt_u32_f32_e32 v3, v3
	v_readfirstlane_b32 s41, v5
	v_readfirstlane_b32 s0, v3
	s_mul_i32 s1, s37, s41
	s_mul_hi_u32 s51, s37, s0
	s_mul_i32 s50, s40, s0
	s_add_i32 s1, s51, s1
	s_add_i32 s1, s1, s50
	s_mul_i32 s52, s37, s0
	s_mul_i32 s51, s0, s1
	s_mul_hi_u32 s53, s0, s52
	s_mul_hi_u32 s50, s0, s1
	s_add_u32 s51, s53, s51
	s_addc_u32 s50, 0, s50
	s_mul_hi_u32 s54, s41, s52
	s_mul_i32 s52, s41, s52
	s_add_u32 s51, s51, s52
	s_mul_hi_u32 s53, s41, s1
	s_addc_u32 s50, s50, s54
	s_addc_u32 s51, s53, 0
	s_mul_i32 s1, s41, s1
	s_add_u32 s1, s50, s1
	s_addc_u32 s50, 0, s51
	s_add_u32 s51, s0, s1
	s_cselect_b64 s[0:1], -1, 0
	s_cmp_lg_u64 s[0:1], 0
	s_addc_u32 s41, s41, s50
	s_mul_i32 s0, s37, s41
	s_mul_hi_u32 s1, s37, s51
	s_add_i32 s0, s1, s0
	s_mul_i32 s40, s40, s51
	s_add_i32 s0, s0, s40
	s_mul_i32 s37, s37, s51
	s_mul_hi_u32 s40, s41, s37
	s_mul_i32 s50, s41, s37
	s_mul_i32 s53, s51, s0
	s_mul_hi_u32 s37, s51, s37
	s_mul_hi_u32 s52, s51, s0
	s_add_u32 s37, s37, s53
	s_addc_u32 s52, 0, s52
	s_add_u32 s37, s37, s50
	s_mul_hi_u32 s1, s41, s0
	s_addc_u32 s37, s52, s40
	s_addc_u32 s1, s1, 0
	s_mul_i32 s0, s41, s0
	s_add_u32 s0, s37, s0
	s_addc_u32 s37, 0, s1
	s_add_u32 s40, s51, s0
	s_cselect_b64 s[0:1], -1, 0
	v_ashrrev_i32_e32 v3, 31, v8
	s_cmp_lg_u64 s[0:1], 0
	v_add_co_u32_e32 v5, vcc, v7, v3
	s_addc_u32 s37, s41, s37
	v_xor_b32_e32 v5, v5, v3
	v_addc_co_u32_e32 v10, vcc, v8, v3, vcc
	v_mad_u64_u32 v[8:9], s[0:1], v5, s37, 0
	v_mul_hi_u32 v11, v5, s40
	v_xor_b32_e32 v12, v10, v3
	v_xor_b32_e32 v3, s36, v3
	v_add_co_u32_e32 v13, vcc, v11, v8
	v_addc_co_u32_e32 v14, vcc, 0, v9, vcc
	v_mad_u64_u32 v[8:9], s[0:1], v12, s40, 0
	v_mad_u64_u32 v[10:11], s[0:1], v12, s37, 0
	v_add_co_u32_e32 v8, vcc, v13, v8
	v_addc_co_u32_e32 v8, vcc, v14, v9, vcc
	v_addc_co_u32_e32 v9, vcc, 0, v11, vcc
	v_add_co_u32_e32 v10, vcc, v8, v10
	v_addc_co_u32_e32 v11, vcc, 0, v9, vcc
	v_mul_lo_u32 v13, s39, v10
	v_mul_lo_u32 v14, s38, v11
	v_mad_u64_u32 v[8:9], s[0:1], s38, v10, 0
	v_add3_u32 v9, v9, v14, v13
	v_sub_u32_e32 v13, v12, v9
	v_mov_b32_e32 v14, s39
	v_sub_co_u32_e32 v5, vcc, v5, v8
	v_subb_co_u32_e64 v8, s[0:1], v13, v14, vcc
	v_subrev_co_u32_e64 v13, s[0:1], s38, v5
	v_subbrev_co_u32_e64 v8, s[0:1], 0, v8, s[0:1]
	v_cmp_le_u32_e64 s[0:1], s39, v8
	v_cndmask_b32_e64 v14, 0, -1, s[0:1]
	v_cmp_le_u32_e64 s[0:1], s38, v13
	v_cndmask_b32_e64 v13, 0, -1, s[0:1]
	v_cmp_eq_u32_e64 s[0:1], s39, v8
	v_cndmask_b32_e64 v8, v14, v13, s[0:1]
	v_add_co_u32_e64 v13, s[0:1], 2, v10
	v_subb_co_u32_e32 v9, vcc, v12, v9, vcc
	v_addc_co_u32_e64 v14, s[0:1], 0, v11, s[0:1]
	v_cmp_le_u32_e32 vcc, s39, v9
	v_add_co_u32_e64 v15, s[0:1], 1, v10
	v_cndmask_b32_e64 v12, 0, -1, vcc
	v_cmp_le_u32_e32 vcc, s38, v5
	v_addc_co_u32_e64 v16, s[0:1], 0, v11, s[0:1]
	v_cndmask_b32_e64 v5, 0, -1, vcc
	v_cmp_eq_u32_e32 vcc, s39, v9
	v_cmp_ne_u32_e64 s[0:1], 0, v8
	v_cndmask_b32_e32 v5, v12, v5, vcc
	v_cndmask_b32_e64 v8, v16, v14, s[0:1]
	v_cmp_ne_u32_e32 vcc, 0, v5
	v_cndmask_b32_e32 v5, v11, v8, vcc
	v_cndmask_b32_e64 v8, v15, v13, s[0:1]
	v_cndmask_b32_e32 v8, v10, v8, vcc
	v_xor_b32_e32 v8, v8, v3
	v_xor_b32_e32 v5, v5, v3
	v_sub_co_u32_e32 v9, vcc, v8, v3
	v_subb_co_u32_e32 v10, vcc, v5, v3, vcc
.LBB16_16:                              ;   in Loop: Header=BB16_14 Depth=2
	s_andn2_saveexec_b64 s[0:1], s[34:35]
	s_cbranch_execz .LBB16_18
; %bb.17:                               ;   in Loop: Header=BB16_14 Depth=2
	v_cvt_f32_u32_e32 v3, s28
	s_sub_i32 s34, 0, s28
	v_mov_b32_e32 v10, v2
	v_rcp_iflag_f32_e32 v3, v3
	v_mul_f32_e32 v3, 0x4f7ffffe, v3
	v_cvt_u32_f32_e32 v3, v3
	v_mul_lo_u32 v5, s34, v3
	v_mul_hi_u32 v5, v3, v5
	v_add_u32_e32 v3, v3, v5
	v_mul_hi_u32 v3, v7, v3
	v_mul_lo_u32 v5, v3, s28
	v_add_u32_e32 v8, 1, v3
	v_sub_u32_e32 v5, v7, v5
	v_subrev_u32_e32 v9, s28, v5
	v_cmp_le_u32_e32 vcc, s28, v5
	v_cndmask_b32_e32 v5, v5, v9, vcc
	v_cndmask_b32_e32 v3, v3, v8, vcc
	v_add_u32_e32 v8, 1, v3
	v_cmp_le_u32_e32 vcc, s28, v5
	v_cndmask_b32_e32 v9, v3, v8, vcc
.LBB16_18:                              ;   in Loop: Header=BB16_14 Depth=2
	s_or_b64 exec, exec, s[0:1]
	s_add_u32 s0, s4, s30
	s_addc_u32 s1, s5, s31
	v_mul_lo_u32 v3, v9, s28
	s_load_dword s0, s[0:1], 0x6c
	s_add_i32 s16, s16, -1
	s_add_i32 s25, s25, -1
	v_sub_u32_e32 v3, v7, v3
	s_cmp_lg_u32 s25, 0
	s_waitcnt lgkmcnt(0)
	v_mad_u64_u32 v[4:5], s[0:1], s0, v3, v[4:5]
	s_cbranch_scc0 .LBB16_20
; %bb.19:                               ;   in Loop: Header=BB16_14 Depth=2
	v_mov_b32_e32 v7, v9
	v_mov_b32_e32 v8, v10
	s_branch .LBB16_14
.LBB16_20:                              ;   in Loop: Header=BB16_3 Depth=1
	v_mov_b32_e32 v7, v9
	s_mov_b32 s0, s16
	v_mov_b32_e32 v8, v10
.LBB16_21:                              ;   in Loop: Header=BB16_3 Depth=1
	s_andn2_b64 vcc, exec, s[20:21]
	s_cbranch_vccnz .LBB16_57
; %bb.22:                               ;   in Loop: Header=BB16_3 Depth=1
	s_add_i32 s30, s0, -7
.LBB16_23:                              ;   Parent Loop BB16_3 Depth=1
                                        ; =>  This Inner Loop Header: Depth=2
	s_add_i32 s16, s30, 7
	s_lshl_b64 s[34:35], s[16:17], 2
	s_add_u32 s0, s42, s34
	s_addc_u32 s1, s43, s35
	s_load_dword s25, s[0:1], 0x8
                                        ; implicit-def: $vgpr9_vgpr10
	s_waitcnt lgkmcnt(0)
	s_ashr_i32 s0, s25, 31
	v_or_b32_e32 v3, s0, v8
	v_cmp_ne_u64_e32 vcc, 0, v[2:3]
	s_and_saveexec_b64 s[36:37], vcc
	s_xor_b64 s[36:37], exec, s[36:37]
	s_cbranch_execz .LBB16_25
; %bb.24:                               ;   in Loop: Header=BB16_23 Depth=2
	s_ashr_i32 s38, s0, 31
	s_add_u32 s40, s25, s38
	s_mov_b32 s39, s38
	s_addc_u32 s41, s0, s38
	s_xor_b64 s[40:41], s[40:41], s[38:39]
	v_cvt_f32_u32_e32 v3, s40
	v_cvt_f32_u32_e32 v5, s41
	s_sub_u32 s16, 0, s40
	s_subb_u32 s28, 0, s41
	v_mac_f32_e32 v3, 0x4f800000, v5
	v_rcp_f32_e32 v3, v3
	v_mul_f32_e32 v3, 0x5f7ffffc, v3
	v_mul_f32_e32 v5, 0x2f800000, v3
	v_trunc_f32_e32 v5, v5
	v_mac_f32_e32 v3, 0xcf800000, v5
	v_cvt_u32_f32_e32 v5, v5
	v_cvt_u32_f32_e32 v3, v3
	v_readfirstlane_b32 s31, v5
	v_readfirstlane_b32 s0, v3
	s_mul_i32 s1, s16, s31
	s_mul_hi_u32 s50, s16, s0
	s_mul_i32 s39, s28, s0
	s_add_i32 s1, s50, s1
	s_add_i32 s1, s1, s39
	s_mul_i32 s51, s16, s0
	s_mul_i32 s50, s0, s1
	s_mul_hi_u32 s52, s0, s51
	s_mul_hi_u32 s39, s0, s1
	s_add_u32 s50, s52, s50
	s_addc_u32 s39, 0, s39
	s_mul_hi_u32 s53, s31, s51
	s_mul_i32 s51, s31, s51
	s_add_u32 s50, s50, s51
	s_mul_hi_u32 s52, s31, s1
	s_addc_u32 s39, s39, s53
	s_addc_u32 s50, s52, 0
	s_mul_i32 s1, s31, s1
	s_add_u32 s1, s39, s1
	s_addc_u32 s39, 0, s50
	s_add_u32 s50, s0, s1
	s_cselect_b64 s[0:1], -1, 0
	s_cmp_lg_u64 s[0:1], 0
	s_addc_u32 s31, s31, s39
	s_mul_i32 s0, s16, s31
	s_mul_hi_u32 s1, s16, s50
	s_add_i32 s0, s1, s0
	s_mul_i32 s28, s28, s50
	s_add_i32 s0, s0, s28
	s_mul_i32 s16, s16, s50
	s_mul_hi_u32 s28, s31, s16
	s_mul_i32 s39, s31, s16
	s_mul_i32 s52, s50, s0
	s_mul_hi_u32 s16, s50, s16
	s_mul_hi_u32 s51, s50, s0
	s_add_u32 s16, s16, s52
	s_addc_u32 s51, 0, s51
	s_add_u32 s16, s16, s39
	s_mul_hi_u32 s1, s31, s0
	s_addc_u32 s16, s51, s28
	s_addc_u32 s1, s1, 0
	s_mul_i32 s0, s31, s0
	s_add_u32 s0, s16, s0
	s_addc_u32 s16, 0, s1
	s_add_u32 s28, s50, s0
	s_cselect_b64 s[0:1], -1, 0
	v_ashrrev_i32_e32 v3, 31, v8
	s_cmp_lg_u64 s[0:1], 0
	v_add_co_u32_e32 v5, vcc, v7, v3
	s_addc_u32 s16, s31, s16
	v_xor_b32_e32 v5, v5, v3
	v_addc_co_u32_e32 v10, vcc, v8, v3, vcc
	v_mad_u64_u32 v[8:9], s[0:1], v5, s16, 0
	v_mul_hi_u32 v11, v5, s28
	v_xor_b32_e32 v12, v10, v3
	v_xor_b32_e32 v3, s38, v3
	v_add_co_u32_e32 v13, vcc, v11, v8
	v_addc_co_u32_e32 v14, vcc, 0, v9, vcc
	v_mad_u64_u32 v[8:9], s[0:1], v12, s28, 0
	v_mad_u64_u32 v[10:11], s[0:1], v12, s16, 0
	v_add_co_u32_e32 v8, vcc, v13, v8
	v_addc_co_u32_e32 v8, vcc, v14, v9, vcc
	v_addc_co_u32_e32 v9, vcc, 0, v11, vcc
	v_add_co_u32_e32 v10, vcc, v8, v10
	v_addc_co_u32_e32 v11, vcc, 0, v9, vcc
	v_mul_lo_u32 v13, s41, v10
	v_mul_lo_u32 v14, s40, v11
	v_mad_u64_u32 v[8:9], s[0:1], s40, v10, 0
	v_add3_u32 v9, v9, v14, v13
	v_sub_u32_e32 v13, v12, v9
	v_mov_b32_e32 v14, s41
	v_sub_co_u32_e32 v5, vcc, v5, v8
	v_subb_co_u32_e64 v8, s[0:1], v13, v14, vcc
	v_subrev_co_u32_e64 v13, s[0:1], s40, v5
	v_subbrev_co_u32_e64 v8, s[0:1], 0, v8, s[0:1]
	v_cmp_le_u32_e64 s[0:1], s41, v8
	v_cndmask_b32_e64 v14, 0, -1, s[0:1]
	v_cmp_le_u32_e64 s[0:1], s40, v13
	v_cndmask_b32_e64 v13, 0, -1, s[0:1]
	v_cmp_eq_u32_e64 s[0:1], s41, v8
	v_cndmask_b32_e64 v8, v14, v13, s[0:1]
	v_add_co_u32_e64 v13, s[0:1], 2, v10
	v_subb_co_u32_e32 v9, vcc, v12, v9, vcc
	v_addc_co_u32_e64 v14, s[0:1], 0, v11, s[0:1]
	v_cmp_le_u32_e32 vcc, s41, v9
	v_add_co_u32_e64 v15, s[0:1], 1, v10
	v_cndmask_b32_e64 v12, 0, -1, vcc
	v_cmp_le_u32_e32 vcc, s40, v5
	v_addc_co_u32_e64 v16, s[0:1], 0, v11, s[0:1]
	v_cndmask_b32_e64 v5, 0, -1, vcc
	v_cmp_eq_u32_e32 vcc, s41, v9
	v_cmp_ne_u32_e64 s[0:1], 0, v8
	v_cndmask_b32_e32 v5, v12, v5, vcc
	v_cndmask_b32_e64 v8, v16, v14, s[0:1]
	v_cmp_ne_u32_e32 vcc, 0, v5
	v_cndmask_b32_e32 v5, v11, v8, vcc
	v_cndmask_b32_e64 v8, v15, v13, s[0:1]
	v_cndmask_b32_e32 v8, v10, v8, vcc
	v_xor_b32_e32 v8, v8, v3
	v_xor_b32_e32 v5, v5, v3
	v_sub_co_u32_e32 v9, vcc, v8, v3
	v_subb_co_u32_e32 v10, vcc, v5, v3, vcc
.LBB16_25:                              ;   in Loop: Header=BB16_23 Depth=2
	s_andn2_saveexec_b64 s[0:1], s[36:37]
	s_cbranch_execz .LBB16_27
; %bb.26:                               ;   in Loop: Header=BB16_23 Depth=2
	v_cvt_f32_u32_e32 v3, s25
	s_sub_i32 s16, 0, s25
	v_mov_b32_e32 v10, v2
	v_rcp_iflag_f32_e32 v3, v3
	v_mul_f32_e32 v3, 0x4f7ffffe, v3
	v_cvt_u32_f32_e32 v3, v3
	v_mul_lo_u32 v5, s16, v3
	v_mul_hi_u32 v5, v3, v5
	v_add_u32_e32 v3, v3, v5
	v_mul_hi_u32 v3, v7, v3
	v_mul_lo_u32 v5, v3, s25
	v_add_u32_e32 v8, 1, v3
	v_sub_u32_e32 v5, v7, v5
	v_subrev_u32_e32 v9, s25, v5
	v_cmp_le_u32_e32 vcc, s25, v5
	v_cndmask_b32_e32 v5, v5, v9, vcc
	v_cndmask_b32_e32 v3, v3, v8, vcc
	v_add_u32_e32 v8, 1, v3
	v_cmp_le_u32_e32 vcc, s25, v5
	v_cndmask_b32_e32 v9, v3, v8, vcc
.LBB16_27:                              ;   in Loop: Header=BB16_23 Depth=2
	s_or_b64 exec, exec, s[0:1]
	s_add_u32 s0, s4, s34
	s_addc_u32 s1, s5, s35
	s_add_i32 s16, s30, 6
	s_lshl_b64 s[34:35], s[16:17], 2
	s_add_u32 s36, s42, s34
	s_addc_u32 s37, s43, s35
	s_load_dword s50, s[36:37], 0x8
	s_load_dword s28, s[0:1], 0x6c
                                        ; implicit-def: $vgpr11_vgpr12
	s_waitcnt lgkmcnt(0)
	s_ashr_i32 s0, s50, 31
	v_or_b32_e32 v3, s0, v10
	v_cmp_ne_u64_e32 vcc, 0, v[2:3]
	s_and_saveexec_b64 s[36:37], vcc
	s_xor_b64 s[36:37], exec, s[36:37]
	s_cbranch_execz .LBB16_29
; %bb.28:                               ;   in Loop: Header=BB16_23 Depth=2
	s_ashr_i32 s38, s0, 31
	s_add_u32 s40, s50, s38
	s_mov_b32 s39, s38
	s_addc_u32 s41, s0, s38
	s_xor_b64 s[40:41], s[40:41], s[38:39]
	v_cvt_f32_u32_e32 v3, s40
	v_cvt_f32_u32_e32 v5, s41
	s_sub_u32 s16, 0, s40
	s_subb_u32 s31, 0, s41
	v_mac_f32_e32 v3, 0x4f800000, v5
	v_rcp_f32_e32 v3, v3
	v_mul_f32_e32 v3, 0x5f7ffffc, v3
	v_mul_f32_e32 v5, 0x2f800000, v3
	v_trunc_f32_e32 v5, v5
	v_mac_f32_e32 v3, 0xcf800000, v5
	v_cvt_u32_f32_e32 v5, v5
	v_cvt_u32_f32_e32 v3, v3
	v_readfirstlane_b32 s39, v5
	v_readfirstlane_b32 s0, v3
	s_mul_i32 s1, s16, s39
	s_mul_hi_u32 s52, s16, s0
	s_mul_i32 s51, s31, s0
	s_add_i32 s1, s52, s1
	s_add_i32 s1, s1, s51
	s_mul_i32 s53, s16, s0
	s_mul_i32 s52, s0, s1
	s_mul_hi_u32 s54, s0, s53
	s_mul_hi_u32 s51, s0, s1
	s_add_u32 s52, s54, s52
	s_addc_u32 s51, 0, s51
	s_mul_hi_u32 s55, s39, s53
	s_mul_i32 s53, s39, s53
	s_add_u32 s52, s52, s53
	s_mul_hi_u32 s54, s39, s1
	s_addc_u32 s51, s51, s55
	s_addc_u32 s52, s54, 0
	s_mul_i32 s1, s39, s1
	s_add_u32 s1, s51, s1
	s_addc_u32 s51, 0, s52
	s_add_u32 s52, s0, s1
	s_cselect_b64 s[0:1], -1, 0
	s_cmp_lg_u64 s[0:1], 0
	s_addc_u32 s39, s39, s51
	s_mul_i32 s0, s16, s39
	s_mul_hi_u32 s1, s16, s52
	s_add_i32 s0, s1, s0
	s_mul_i32 s31, s31, s52
	s_add_i32 s0, s0, s31
	s_mul_i32 s16, s16, s52
	s_mul_hi_u32 s31, s39, s16
	s_mul_i32 s51, s39, s16
	s_mul_i32 s54, s52, s0
	s_mul_hi_u32 s16, s52, s16
	s_mul_hi_u32 s53, s52, s0
	s_add_u32 s16, s16, s54
	s_addc_u32 s53, 0, s53
	s_add_u32 s16, s16, s51
	s_mul_hi_u32 s1, s39, s0
	s_addc_u32 s16, s53, s31
	s_addc_u32 s1, s1, 0
	s_mul_i32 s0, s39, s0
	s_add_u32 s0, s16, s0
	s_addc_u32 s16, 0, s1
	s_add_u32 s31, s52, s0
	s_cselect_b64 s[0:1], -1, 0
	v_ashrrev_i32_e32 v3, 31, v10
	s_cmp_lg_u64 s[0:1], 0
	v_add_co_u32_e32 v5, vcc, v9, v3
	s_addc_u32 s16, s39, s16
	v_xor_b32_e32 v5, v5, v3
	v_addc_co_u32_e32 v8, vcc, v10, v3, vcc
	v_mad_u64_u32 v[10:11], s[0:1], v5, s16, 0
	v_mul_hi_u32 v12, v5, s31
	v_xor_b32_e32 v8, v8, v3
	v_xor_b32_e32 v3, s38, v3
	v_add_co_u32_e32 v14, vcc, v12, v10
	v_addc_co_u32_e32 v15, vcc, 0, v11, vcc
	v_mad_u64_u32 v[10:11], s[0:1], v8, s31, 0
	v_mad_u64_u32 v[12:13], s[0:1], v8, s16, 0
	v_add_co_u32_e32 v10, vcc, v14, v10
	v_addc_co_u32_e32 v10, vcc, v15, v11, vcc
	v_addc_co_u32_e32 v11, vcc, 0, v13, vcc
	v_add_co_u32_e32 v12, vcc, v10, v12
	v_addc_co_u32_e32 v13, vcc, 0, v11, vcc
	v_mul_lo_u32 v14, s41, v12
	v_mul_lo_u32 v15, s40, v13
	v_mad_u64_u32 v[10:11], s[0:1], s40, v12, 0
	v_add3_u32 v11, v11, v15, v14
	v_sub_u32_e32 v14, v8, v11
	v_mov_b32_e32 v15, s41
	v_sub_co_u32_e32 v5, vcc, v5, v10
	v_subb_co_u32_e64 v10, s[0:1], v14, v15, vcc
	v_subrev_co_u32_e64 v14, s[0:1], s40, v5
	v_subbrev_co_u32_e64 v10, s[0:1], 0, v10, s[0:1]
	v_cmp_le_u32_e64 s[0:1], s41, v10
	v_cndmask_b32_e64 v15, 0, -1, s[0:1]
	v_cmp_le_u32_e64 s[0:1], s40, v14
	v_cndmask_b32_e64 v14, 0, -1, s[0:1]
	v_cmp_eq_u32_e64 s[0:1], s41, v10
	v_cndmask_b32_e64 v10, v15, v14, s[0:1]
	v_add_co_u32_e64 v14, s[0:1], 2, v12
	v_subb_co_u32_e32 v8, vcc, v8, v11, vcc
	v_addc_co_u32_e64 v15, s[0:1], 0, v13, s[0:1]
	v_cmp_le_u32_e32 vcc, s41, v8
	v_add_co_u32_e64 v16, s[0:1], 1, v12
	v_cndmask_b32_e64 v11, 0, -1, vcc
	v_cmp_le_u32_e32 vcc, s40, v5
	v_addc_co_u32_e64 v17, s[0:1], 0, v13, s[0:1]
	v_cndmask_b32_e64 v5, 0, -1, vcc
	v_cmp_eq_u32_e32 vcc, s41, v8
	v_cmp_ne_u32_e64 s[0:1], 0, v10
	v_cndmask_b32_e32 v5, v11, v5, vcc
	v_cmp_ne_u32_e32 vcc, 0, v5
	v_cndmask_b32_e64 v8, v16, v14, s[0:1]
	v_cndmask_b32_e64 v10, v17, v15, s[0:1]
	v_cndmask_b32_e32 v8, v12, v8, vcc
	v_cndmask_b32_e32 v5, v13, v10, vcc
	v_xor_b32_e32 v8, v8, v3
	v_xor_b32_e32 v5, v5, v3
	v_sub_co_u32_e32 v11, vcc, v8, v3
	v_subb_co_u32_e32 v12, vcc, v5, v3, vcc
.LBB16_29:                              ;   in Loop: Header=BB16_23 Depth=2
	s_andn2_saveexec_b64 s[0:1], s[36:37]
	s_cbranch_execz .LBB16_31
; %bb.30:                               ;   in Loop: Header=BB16_23 Depth=2
	v_cvt_f32_u32_e32 v3, s50
	s_sub_i32 s16, 0, s50
	v_mov_b32_e32 v12, v2
	v_rcp_iflag_f32_e32 v3, v3
	v_mul_f32_e32 v3, 0x4f7ffffe, v3
	v_cvt_u32_f32_e32 v3, v3
	v_mul_lo_u32 v5, s16, v3
	v_mul_hi_u32 v5, v3, v5
	v_add_u32_e32 v3, v3, v5
	v_mul_hi_u32 v3, v9, v3
	v_mul_lo_u32 v5, v3, s50
	v_add_u32_e32 v8, 1, v3
	v_sub_u32_e32 v5, v9, v5
	v_subrev_u32_e32 v10, s50, v5
	v_cmp_le_u32_e32 vcc, s50, v5
	v_cndmask_b32_e32 v5, v5, v10, vcc
	v_cndmask_b32_e32 v3, v3, v8, vcc
	v_add_u32_e32 v8, 1, v3
	v_cmp_le_u32_e32 vcc, s50, v5
	v_cndmask_b32_e32 v11, v3, v8, vcc
.LBB16_31:                              ;   in Loop: Header=BB16_23 Depth=2
	s_or_b64 exec, exec, s[0:1]
	s_add_u32 s0, s4, s34
	s_addc_u32 s1, s5, s35
	s_add_i32 s16, s30, 5
	s_lshl_b64 s[34:35], s[16:17], 2
	s_add_u32 s36, s42, s34
	s_addc_u32 s37, s43, s35
	s_load_dword s52, s[36:37], 0x8
	s_load_dword s51, s[0:1], 0x6c
                                        ; implicit-def: $vgpr13_vgpr14
	s_waitcnt lgkmcnt(0)
	s_ashr_i32 s0, s52, 31
	v_or_b32_e32 v3, s0, v12
	v_cmp_ne_u64_e32 vcc, 0, v[2:3]
	s_and_saveexec_b64 s[36:37], vcc
	s_xor_b64 s[36:37], exec, s[36:37]
	s_cbranch_execz .LBB16_33
; %bb.32:                               ;   in Loop: Header=BB16_23 Depth=2
	s_ashr_i32 s38, s0, 31
	s_add_u32 s40, s52, s38
	s_mov_b32 s39, s38
	s_addc_u32 s41, s0, s38
	s_xor_b64 s[40:41], s[40:41], s[38:39]
	v_cvt_f32_u32_e32 v3, s40
	v_cvt_f32_u32_e32 v5, s41
	s_sub_u32 s16, 0, s40
	s_subb_u32 s31, 0, s41
	v_mac_f32_e32 v3, 0x4f800000, v5
	v_rcp_f32_e32 v3, v3
	v_mul_f32_e32 v3, 0x5f7ffffc, v3
	v_mul_f32_e32 v5, 0x2f800000, v3
	v_trunc_f32_e32 v5, v5
	v_mac_f32_e32 v3, 0xcf800000, v5
	v_cvt_u32_f32_e32 v5, v5
	v_cvt_u32_f32_e32 v3, v3
	v_readfirstlane_b32 s39, v5
	v_readfirstlane_b32 s0, v3
	s_mul_i32 s1, s16, s39
	s_mul_hi_u32 s54, s16, s0
	s_mul_i32 s53, s31, s0
	s_add_i32 s1, s54, s1
	s_add_i32 s1, s1, s53
	s_mul_i32 s55, s16, s0
	s_mul_i32 s54, s0, s1
	s_mul_hi_u32 s56, s0, s55
	s_mul_hi_u32 s53, s0, s1
	s_add_u32 s54, s56, s54
	s_addc_u32 s53, 0, s53
	s_mul_hi_u32 s57, s39, s55
	s_mul_i32 s55, s39, s55
	s_add_u32 s54, s54, s55
	s_mul_hi_u32 s56, s39, s1
	s_addc_u32 s53, s53, s57
	s_addc_u32 s54, s56, 0
	s_mul_i32 s1, s39, s1
	s_add_u32 s1, s53, s1
	s_addc_u32 s53, 0, s54
	s_add_u32 s54, s0, s1
	s_cselect_b64 s[0:1], -1, 0
	s_cmp_lg_u64 s[0:1], 0
	s_addc_u32 s39, s39, s53
	s_mul_i32 s0, s16, s39
	s_mul_hi_u32 s1, s16, s54
	s_add_i32 s0, s1, s0
	s_mul_i32 s31, s31, s54
	s_add_i32 s0, s0, s31
	s_mul_i32 s16, s16, s54
	s_mul_hi_u32 s31, s39, s16
	s_mul_i32 s53, s39, s16
	s_mul_i32 s56, s54, s0
	s_mul_hi_u32 s16, s54, s16
	s_mul_hi_u32 s55, s54, s0
	s_add_u32 s16, s16, s56
	s_addc_u32 s55, 0, s55
	s_add_u32 s16, s16, s53
	s_mul_hi_u32 s1, s39, s0
	s_addc_u32 s16, s55, s31
	s_addc_u32 s1, s1, 0
	s_mul_i32 s0, s39, s0
	s_add_u32 s0, s16, s0
	s_addc_u32 s16, 0, s1
	s_add_u32 s31, s54, s0
	s_cselect_b64 s[0:1], -1, 0
	v_ashrrev_i32_e32 v3, 31, v12
	s_cmp_lg_u64 s[0:1], 0
	v_add_co_u32_e32 v5, vcc, v11, v3
	s_addc_u32 s16, s39, s16
	v_xor_b32_e32 v5, v5, v3
	v_addc_co_u32_e32 v8, vcc, v12, v3, vcc
	v_mad_u64_u32 v[12:13], s[0:1], v5, s16, 0
	v_mul_hi_u32 v10, v5, s31
	v_xor_b32_e32 v8, v8, v3
	v_mad_u64_u32 v[14:15], s[0:1], v8, s16, 0
	v_add_co_u32_e32 v10, vcc, v10, v12
	v_addc_co_u32_e32 v16, vcc, 0, v13, vcc
	v_mad_u64_u32 v[12:13], s[0:1], v8, s31, 0
	v_xor_b32_e32 v3, s38, v3
	v_add_co_u32_e32 v10, vcc, v10, v12
	v_addc_co_u32_e32 v10, vcc, v16, v13, vcc
	v_addc_co_u32_e32 v12, vcc, 0, v15, vcc
	v_add_co_u32_e32 v10, vcc, v10, v14
	v_addc_co_u32_e32 v14, vcc, 0, v12, vcc
	v_mul_lo_u32 v15, s41, v10
	v_mul_lo_u32 v16, s40, v14
	v_mad_u64_u32 v[12:13], s[0:1], s40, v10, 0
	v_add3_u32 v13, v13, v16, v15
	v_sub_u32_e32 v15, v8, v13
	v_mov_b32_e32 v16, s41
	v_sub_co_u32_e32 v5, vcc, v5, v12
	v_subb_co_u32_e64 v12, s[0:1], v15, v16, vcc
	v_subrev_co_u32_e64 v15, s[0:1], s40, v5
	v_subbrev_co_u32_e64 v12, s[0:1], 0, v12, s[0:1]
	v_cmp_le_u32_e64 s[0:1], s41, v12
	v_cndmask_b32_e64 v16, 0, -1, s[0:1]
	v_cmp_le_u32_e64 s[0:1], s40, v15
	v_cndmask_b32_e64 v15, 0, -1, s[0:1]
	v_cmp_eq_u32_e64 s[0:1], s41, v12
	v_cndmask_b32_e64 v12, v16, v15, s[0:1]
	v_add_co_u32_e64 v15, s[0:1], 2, v10
	v_subb_co_u32_e32 v8, vcc, v8, v13, vcc
	v_addc_co_u32_e64 v16, s[0:1], 0, v14, s[0:1]
	v_cmp_le_u32_e32 vcc, s41, v8
	v_add_co_u32_e64 v17, s[0:1], 1, v10
	v_cndmask_b32_e64 v13, 0, -1, vcc
	v_cmp_le_u32_e32 vcc, s40, v5
	v_addc_co_u32_e64 v18, s[0:1], 0, v14, s[0:1]
	v_cndmask_b32_e64 v5, 0, -1, vcc
	v_cmp_eq_u32_e32 vcc, s41, v8
	v_cmp_ne_u32_e64 s[0:1], 0, v12
	v_cndmask_b32_e32 v5, v13, v5, vcc
	v_cmp_ne_u32_e32 vcc, 0, v5
	v_cndmask_b32_e64 v8, v17, v15, s[0:1]
	v_cndmask_b32_e64 v12, v18, v16, s[0:1]
	v_cndmask_b32_e32 v8, v10, v8, vcc
	v_cndmask_b32_e32 v5, v14, v12, vcc
	v_xor_b32_e32 v8, v8, v3
	v_xor_b32_e32 v5, v5, v3
	v_sub_co_u32_e32 v13, vcc, v8, v3
	v_subb_co_u32_e32 v14, vcc, v5, v3, vcc
.LBB16_33:                              ;   in Loop: Header=BB16_23 Depth=2
	s_andn2_saveexec_b64 s[0:1], s[36:37]
	s_cbranch_execz .LBB16_35
; %bb.34:                               ;   in Loop: Header=BB16_23 Depth=2
	v_cvt_f32_u32_e32 v3, s52
	s_sub_i32 s16, 0, s52
	v_mov_b32_e32 v14, v2
	v_rcp_iflag_f32_e32 v3, v3
	v_mul_f32_e32 v3, 0x4f7ffffe, v3
	v_cvt_u32_f32_e32 v3, v3
	v_mul_lo_u32 v5, s16, v3
	v_mul_hi_u32 v5, v3, v5
	v_add_u32_e32 v3, v3, v5
	v_mul_hi_u32 v3, v11, v3
	v_mul_lo_u32 v5, v3, s52
	v_add_u32_e32 v8, 1, v3
	v_sub_u32_e32 v5, v11, v5
	v_subrev_u32_e32 v10, s52, v5
	v_cmp_le_u32_e32 vcc, s52, v5
	v_cndmask_b32_e32 v5, v5, v10, vcc
	v_cndmask_b32_e32 v3, v3, v8, vcc
	v_add_u32_e32 v8, 1, v3
	v_cmp_le_u32_e32 vcc, s52, v5
	v_cndmask_b32_e32 v13, v3, v8, vcc
.LBB16_35:                              ;   in Loop: Header=BB16_23 Depth=2
	s_or_b64 exec, exec, s[0:1]
	s_add_u32 s0, s4, s34
	s_addc_u32 s1, s5, s35
	s_add_i32 s16, s30, 4
	s_lshl_b64 s[34:35], s[16:17], 2
	s_add_u32 s36, s42, s34
	s_addc_u32 s37, s43, s35
	s_load_dword s54, s[36:37], 0x8
	s_load_dword s53, s[0:1], 0x6c
                                        ; implicit-def: $vgpr15_vgpr16
	s_waitcnt lgkmcnt(0)
	s_ashr_i32 s0, s54, 31
	v_or_b32_e32 v3, s0, v14
	v_cmp_ne_u64_e32 vcc, 0, v[2:3]
	s_and_saveexec_b64 s[36:37], vcc
	s_xor_b64 s[36:37], exec, s[36:37]
	s_cbranch_execz .LBB16_37
; %bb.36:                               ;   in Loop: Header=BB16_23 Depth=2
	s_ashr_i32 s38, s0, 31
	s_add_u32 s40, s54, s38
	s_mov_b32 s39, s38
	s_addc_u32 s41, s0, s38
	s_xor_b64 s[40:41], s[40:41], s[38:39]
	v_cvt_f32_u32_e32 v3, s40
	v_cvt_f32_u32_e32 v5, s41
	s_sub_u32 s16, 0, s40
	s_subb_u32 s31, 0, s41
	v_mac_f32_e32 v3, 0x4f800000, v5
	v_rcp_f32_e32 v3, v3
	v_mul_f32_e32 v3, 0x5f7ffffc, v3
	v_mul_f32_e32 v5, 0x2f800000, v3
	v_trunc_f32_e32 v5, v5
	v_mac_f32_e32 v3, 0xcf800000, v5
	v_cvt_u32_f32_e32 v5, v5
	v_cvt_u32_f32_e32 v3, v3
	v_readfirstlane_b32 s39, v5
	v_readfirstlane_b32 s0, v3
	s_mul_i32 s1, s16, s39
	s_mul_hi_u32 s56, s16, s0
	s_mul_i32 s55, s31, s0
	s_add_i32 s1, s56, s1
	s_add_i32 s1, s1, s55
	s_mul_i32 s57, s16, s0
	s_mul_i32 s56, s0, s1
	s_mul_hi_u32 s58, s0, s57
	s_mul_hi_u32 s55, s0, s1
	s_add_u32 s56, s58, s56
	s_addc_u32 s55, 0, s55
	s_mul_hi_u32 s59, s39, s57
	s_mul_i32 s57, s39, s57
	s_add_u32 s56, s56, s57
	s_mul_hi_u32 s58, s39, s1
	s_addc_u32 s55, s55, s59
	s_addc_u32 s56, s58, 0
	s_mul_i32 s1, s39, s1
	s_add_u32 s1, s55, s1
	s_addc_u32 s55, 0, s56
	s_add_u32 s56, s0, s1
	s_cselect_b64 s[0:1], -1, 0
	s_cmp_lg_u64 s[0:1], 0
	s_addc_u32 s39, s39, s55
	s_mul_i32 s0, s16, s39
	s_mul_hi_u32 s1, s16, s56
	s_add_i32 s0, s1, s0
	s_mul_i32 s31, s31, s56
	s_add_i32 s0, s0, s31
	s_mul_i32 s16, s16, s56
	s_mul_hi_u32 s31, s39, s16
	s_mul_i32 s55, s39, s16
	s_mul_i32 s58, s56, s0
	s_mul_hi_u32 s16, s56, s16
	s_mul_hi_u32 s57, s56, s0
	s_add_u32 s16, s16, s58
	s_addc_u32 s57, 0, s57
	s_add_u32 s16, s16, s55
	s_mul_hi_u32 s1, s39, s0
	s_addc_u32 s16, s57, s31
	s_addc_u32 s1, s1, 0
	s_mul_i32 s0, s39, s0
	s_add_u32 s0, s16, s0
	s_addc_u32 s16, 0, s1
	s_add_u32 s31, s56, s0
	s_cselect_b64 s[0:1], -1, 0
	v_ashrrev_i32_e32 v3, 31, v14
	s_cmp_lg_u64 s[0:1], 0
	v_add_co_u32_e32 v5, vcc, v13, v3
	s_addc_u32 s16, s39, s16
	v_xor_b32_e32 v5, v5, v3
	v_addc_co_u32_e32 v8, vcc, v14, v3, vcc
	v_mad_u64_u32 v[14:15], s[0:1], v5, s16, 0
	v_mul_hi_u32 v10, v5, s31
	v_xor_b32_e32 v8, v8, v3
	v_mad_u64_u32 v[16:17], s[0:1], v8, s16, 0
	v_add_co_u32_e32 v10, vcc, v10, v14
	v_addc_co_u32_e32 v12, vcc, 0, v15, vcc
	v_mad_u64_u32 v[14:15], s[0:1], v8, s31, 0
	v_xor_b32_e32 v3, s38, v3
	v_add_co_u32_e32 v10, vcc, v10, v14
	v_addc_co_u32_e32 v10, vcc, v12, v15, vcc
	v_addc_co_u32_e32 v12, vcc, 0, v17, vcc
	v_add_co_u32_e32 v10, vcc, v10, v16
	v_addc_co_u32_e32 v12, vcc, 0, v12, vcc
	v_mul_lo_u32 v16, s41, v10
	v_mul_lo_u32 v17, s40, v12
	v_mad_u64_u32 v[14:15], s[0:1], s40, v10, 0
	v_add3_u32 v15, v15, v17, v16
	v_sub_u32_e32 v16, v8, v15
	v_mov_b32_e32 v17, s41
	v_sub_co_u32_e32 v5, vcc, v5, v14
	v_subb_co_u32_e64 v14, s[0:1], v16, v17, vcc
	v_subrev_co_u32_e64 v16, s[0:1], s40, v5
	v_subbrev_co_u32_e64 v14, s[0:1], 0, v14, s[0:1]
	v_cmp_le_u32_e64 s[0:1], s41, v14
	v_cndmask_b32_e64 v17, 0, -1, s[0:1]
	v_cmp_le_u32_e64 s[0:1], s40, v16
	v_cndmask_b32_e64 v16, 0, -1, s[0:1]
	v_cmp_eq_u32_e64 s[0:1], s41, v14
	v_cndmask_b32_e64 v14, v17, v16, s[0:1]
	v_add_co_u32_e64 v16, s[0:1], 2, v10
	v_subb_co_u32_e32 v8, vcc, v8, v15, vcc
	v_addc_co_u32_e64 v17, s[0:1], 0, v12, s[0:1]
	v_cmp_le_u32_e32 vcc, s41, v8
	v_add_co_u32_e64 v18, s[0:1], 1, v10
	v_cndmask_b32_e64 v15, 0, -1, vcc
	v_cmp_le_u32_e32 vcc, s40, v5
	v_addc_co_u32_e64 v19, s[0:1], 0, v12, s[0:1]
	v_cndmask_b32_e64 v5, 0, -1, vcc
	v_cmp_eq_u32_e32 vcc, s41, v8
	v_cmp_ne_u32_e64 s[0:1], 0, v14
	v_cndmask_b32_e32 v5, v15, v5, vcc
	v_cmp_ne_u32_e32 vcc, 0, v5
	v_cndmask_b32_e64 v8, v18, v16, s[0:1]
	v_cndmask_b32_e64 v14, v19, v17, s[0:1]
	v_cndmask_b32_e32 v8, v10, v8, vcc
	v_cndmask_b32_e32 v5, v12, v14, vcc
	v_xor_b32_e32 v8, v8, v3
	v_xor_b32_e32 v5, v5, v3
	v_sub_co_u32_e32 v15, vcc, v8, v3
	v_subb_co_u32_e32 v16, vcc, v5, v3, vcc
.LBB16_37:                              ;   in Loop: Header=BB16_23 Depth=2
	s_andn2_saveexec_b64 s[0:1], s[36:37]
	s_cbranch_execz .LBB16_39
; %bb.38:                               ;   in Loop: Header=BB16_23 Depth=2
	v_cvt_f32_u32_e32 v3, s54
	s_sub_i32 s16, 0, s54
	v_mov_b32_e32 v16, v2
	v_rcp_iflag_f32_e32 v3, v3
	v_mul_f32_e32 v3, 0x4f7ffffe, v3
	v_cvt_u32_f32_e32 v3, v3
	v_mul_lo_u32 v5, s16, v3
	v_mul_hi_u32 v5, v3, v5
	v_add_u32_e32 v3, v3, v5
	v_mul_hi_u32 v3, v13, v3
	v_mul_lo_u32 v5, v3, s54
	v_add_u32_e32 v8, 1, v3
	v_sub_u32_e32 v5, v13, v5
	v_subrev_u32_e32 v10, s54, v5
	v_cmp_le_u32_e32 vcc, s54, v5
	v_cndmask_b32_e32 v5, v5, v10, vcc
	v_cndmask_b32_e32 v3, v3, v8, vcc
	v_add_u32_e32 v8, 1, v3
	v_cmp_le_u32_e32 vcc, s54, v5
	v_cndmask_b32_e32 v15, v3, v8, vcc
.LBB16_39:                              ;   in Loop: Header=BB16_23 Depth=2
	s_or_b64 exec, exec, s[0:1]
	s_add_u32 s0, s4, s34
	s_addc_u32 s1, s5, s35
	s_add_i32 s16, s30, 3
	s_lshl_b64 s[34:35], s[16:17], 2
	s_add_u32 s36, s42, s34
	s_addc_u32 s37, s43, s35
	s_load_dword s55, s[36:37], 0x8
	s_load_dword s56, s[0:1], 0x6c
                                        ; implicit-def: $vgpr17_vgpr18
	s_waitcnt lgkmcnt(0)
	s_ashr_i32 s0, s55, 31
	v_or_b32_e32 v3, s0, v16
	v_cmp_ne_u64_e32 vcc, 0, v[2:3]
	s_and_saveexec_b64 s[36:37], vcc
	s_xor_b64 s[36:37], exec, s[36:37]
	s_cbranch_execz .LBB16_41
; %bb.40:                               ;   in Loop: Header=BB16_23 Depth=2
	s_ashr_i32 s38, s0, 31
	s_add_u32 s40, s55, s38
	s_mov_b32 s39, s38
	s_addc_u32 s41, s0, s38
	s_xor_b64 s[40:41], s[40:41], s[38:39]
	v_cvt_f32_u32_e32 v3, s40
	v_cvt_f32_u32_e32 v5, s41
	s_sub_u32 s16, 0, s40
	s_subb_u32 s31, 0, s41
	v_mac_f32_e32 v3, 0x4f800000, v5
	v_rcp_f32_e32 v3, v3
	v_mul_f32_e32 v3, 0x5f7ffffc, v3
	v_mul_f32_e32 v5, 0x2f800000, v3
	v_trunc_f32_e32 v5, v5
	v_mac_f32_e32 v3, 0xcf800000, v5
	v_cvt_u32_f32_e32 v5, v5
	v_cvt_u32_f32_e32 v3, v3
	v_readfirstlane_b32 s39, v5
	v_readfirstlane_b32 s0, v3
	s_mul_i32 s1, s16, s39
	s_mul_hi_u32 s58, s16, s0
	s_mul_i32 s57, s31, s0
	s_add_i32 s1, s58, s1
	s_add_i32 s1, s1, s57
	s_mul_i32 s59, s16, s0
	s_mul_i32 s58, s0, s1
	s_mul_hi_u32 s60, s0, s59
	s_mul_hi_u32 s57, s0, s1
	s_add_u32 s58, s60, s58
	s_addc_u32 s57, 0, s57
	s_mul_hi_u32 s61, s39, s59
	s_mul_i32 s59, s39, s59
	s_add_u32 s58, s58, s59
	s_mul_hi_u32 s60, s39, s1
	s_addc_u32 s57, s57, s61
	s_addc_u32 s58, s60, 0
	s_mul_i32 s1, s39, s1
	s_add_u32 s1, s57, s1
	s_addc_u32 s57, 0, s58
	s_add_u32 s58, s0, s1
	s_cselect_b64 s[0:1], -1, 0
	s_cmp_lg_u64 s[0:1], 0
	s_addc_u32 s39, s39, s57
	s_mul_i32 s0, s16, s39
	s_mul_hi_u32 s1, s16, s58
	s_add_i32 s0, s1, s0
	s_mul_i32 s31, s31, s58
	s_add_i32 s0, s0, s31
	s_mul_i32 s16, s16, s58
	s_mul_hi_u32 s31, s39, s16
	s_mul_i32 s57, s39, s16
	s_mul_i32 s60, s58, s0
	s_mul_hi_u32 s16, s58, s16
	s_mul_hi_u32 s59, s58, s0
	s_add_u32 s16, s16, s60
	s_addc_u32 s59, 0, s59
	s_add_u32 s16, s16, s57
	s_mul_hi_u32 s1, s39, s0
	s_addc_u32 s16, s59, s31
	s_addc_u32 s1, s1, 0
	s_mul_i32 s0, s39, s0
	s_add_u32 s0, s16, s0
	s_addc_u32 s16, 0, s1
	s_add_u32 s31, s58, s0
	s_cselect_b64 s[0:1], -1, 0
	v_ashrrev_i32_e32 v3, 31, v16
	s_cmp_lg_u64 s[0:1], 0
	v_add_co_u32_e32 v5, vcc, v15, v3
	s_addc_u32 s16, s39, s16
	v_xor_b32_e32 v5, v5, v3
	v_addc_co_u32_e32 v8, vcc, v16, v3, vcc
	v_mad_u64_u32 v[16:17], s[0:1], v5, s16, 0
	v_mul_hi_u32 v10, v5, s31
	v_xor_b32_e32 v8, v8, v3
	v_mad_u64_u32 v[18:19], s[0:1], v8, s16, 0
	v_add_co_u32_e32 v10, vcc, v10, v16
	v_addc_co_u32_e32 v12, vcc, 0, v17, vcc
	v_mad_u64_u32 v[16:17], s[0:1], v8, s31, 0
	v_xor_b32_e32 v3, s38, v3
	v_add_co_u32_e32 v10, vcc, v10, v16
	v_addc_co_u32_e32 v10, vcc, v12, v17, vcc
	v_addc_co_u32_e32 v12, vcc, 0, v19, vcc
	v_add_co_u32_e32 v10, vcc, v10, v18
	v_addc_co_u32_e32 v12, vcc, 0, v12, vcc
	v_mul_lo_u32 v14, s41, v10
	v_mul_lo_u32 v18, s40, v12
	v_mad_u64_u32 v[16:17], s[0:1], s40, v10, 0
	v_add3_u32 v14, v17, v18, v14
	v_sub_u32_e32 v17, v8, v14
	v_mov_b32_e32 v18, s41
	v_sub_co_u32_e32 v5, vcc, v5, v16
	v_subb_co_u32_e64 v16, s[0:1], v17, v18, vcc
	v_subrev_co_u32_e64 v17, s[0:1], s40, v5
	v_subbrev_co_u32_e64 v16, s[0:1], 0, v16, s[0:1]
	v_cmp_le_u32_e64 s[0:1], s41, v16
	v_cndmask_b32_e64 v18, 0, -1, s[0:1]
	v_cmp_le_u32_e64 s[0:1], s40, v17
	v_cndmask_b32_e64 v17, 0, -1, s[0:1]
	v_cmp_eq_u32_e64 s[0:1], s41, v16
	v_cndmask_b32_e64 v16, v18, v17, s[0:1]
	v_add_co_u32_e64 v17, s[0:1], 2, v10
	v_subb_co_u32_e32 v8, vcc, v8, v14, vcc
	v_addc_co_u32_e64 v18, s[0:1], 0, v12, s[0:1]
	v_cmp_le_u32_e32 vcc, s41, v8
	v_add_co_u32_e64 v19, s[0:1], 1, v10
	v_cndmask_b32_e64 v14, 0, -1, vcc
	v_cmp_le_u32_e32 vcc, s40, v5
	v_addc_co_u32_e64 v20, s[0:1], 0, v12, s[0:1]
	v_cndmask_b32_e64 v5, 0, -1, vcc
	v_cmp_eq_u32_e32 vcc, s41, v8
	v_cmp_ne_u32_e64 s[0:1], 0, v16
	v_cndmask_b32_e32 v5, v14, v5, vcc
	v_cmp_ne_u32_e32 vcc, 0, v5
	v_cndmask_b32_e64 v8, v19, v17, s[0:1]
	v_cndmask_b32_e64 v16, v20, v18, s[0:1]
	v_cndmask_b32_e32 v8, v10, v8, vcc
	v_cndmask_b32_e32 v5, v12, v16, vcc
	v_xor_b32_e32 v8, v8, v3
	v_xor_b32_e32 v5, v5, v3
	v_sub_co_u32_e32 v17, vcc, v8, v3
	v_subb_co_u32_e32 v18, vcc, v5, v3, vcc
.LBB16_41:                              ;   in Loop: Header=BB16_23 Depth=2
	s_andn2_saveexec_b64 s[0:1], s[36:37]
	s_cbranch_execz .LBB16_43
; %bb.42:                               ;   in Loop: Header=BB16_23 Depth=2
	v_cvt_f32_u32_e32 v3, s55
	s_sub_i32 s16, 0, s55
	v_mov_b32_e32 v18, v2
	v_rcp_iflag_f32_e32 v3, v3
	v_mul_f32_e32 v3, 0x4f7ffffe, v3
	v_cvt_u32_f32_e32 v3, v3
	v_mul_lo_u32 v5, s16, v3
	v_mul_hi_u32 v5, v3, v5
	v_add_u32_e32 v3, v3, v5
	v_mul_hi_u32 v3, v15, v3
	v_mul_lo_u32 v5, v3, s55
	v_add_u32_e32 v8, 1, v3
	v_sub_u32_e32 v5, v15, v5
	v_subrev_u32_e32 v10, s55, v5
	v_cmp_le_u32_e32 vcc, s55, v5
	v_cndmask_b32_e32 v5, v5, v10, vcc
	v_cndmask_b32_e32 v3, v3, v8, vcc
	v_add_u32_e32 v8, 1, v3
	v_cmp_le_u32_e32 vcc, s55, v5
	v_cndmask_b32_e32 v17, v3, v8, vcc
.LBB16_43:                              ;   in Loop: Header=BB16_23 Depth=2
	s_or_b64 exec, exec, s[0:1]
	s_add_u32 s0, s4, s34
	s_addc_u32 s1, s5, s35
	s_add_i32 s16, s30, 2
	s_lshl_b64 s[34:35], s[16:17], 2
	s_add_u32 s36, s42, s34
	s_addc_u32 s37, s43, s35
	s_load_dword s58, s[36:37], 0x8
	s_load_dword s57, s[0:1], 0x6c
                                        ; implicit-def: $vgpr19_vgpr20
	s_waitcnt lgkmcnt(0)
	s_ashr_i32 s0, s58, 31
	v_or_b32_e32 v3, s0, v18
	v_cmp_ne_u64_e32 vcc, 0, v[2:3]
	s_and_saveexec_b64 s[36:37], vcc
	s_xor_b64 s[36:37], exec, s[36:37]
	s_cbranch_execz .LBB16_45
; %bb.44:                               ;   in Loop: Header=BB16_23 Depth=2
	s_ashr_i32 s38, s0, 31
	s_add_u32 s40, s58, s38
	s_mov_b32 s39, s38
	s_addc_u32 s41, s0, s38
	s_xor_b64 s[40:41], s[40:41], s[38:39]
	v_cvt_f32_u32_e32 v3, s40
	v_cvt_f32_u32_e32 v5, s41
	s_sub_u32 s16, 0, s40
	s_subb_u32 s31, 0, s41
	v_mac_f32_e32 v3, 0x4f800000, v5
	v_rcp_f32_e32 v3, v3
	v_mul_f32_e32 v3, 0x5f7ffffc, v3
	v_mul_f32_e32 v5, 0x2f800000, v3
	v_trunc_f32_e32 v5, v5
	v_mac_f32_e32 v3, 0xcf800000, v5
	v_cvt_u32_f32_e32 v5, v5
	v_cvt_u32_f32_e32 v3, v3
	v_readfirstlane_b32 s39, v5
	v_readfirstlane_b32 s0, v3
	s_mul_i32 s1, s16, s39
	s_mul_hi_u32 s60, s16, s0
	s_mul_i32 s59, s31, s0
	s_add_i32 s1, s60, s1
	s_add_i32 s1, s1, s59
	s_mul_i32 s61, s16, s0
	s_mul_i32 s60, s0, s1
	s_mul_hi_u32 s62, s0, s61
	s_mul_hi_u32 s59, s0, s1
	s_add_u32 s60, s62, s60
	s_addc_u32 s59, 0, s59
	s_mul_hi_u32 s63, s39, s61
	s_mul_i32 s61, s39, s61
	s_add_u32 s60, s60, s61
	s_mul_hi_u32 s62, s39, s1
	s_addc_u32 s59, s59, s63
	s_addc_u32 s60, s62, 0
	s_mul_i32 s1, s39, s1
	s_add_u32 s1, s59, s1
	s_addc_u32 s59, 0, s60
	s_add_u32 s60, s0, s1
	s_cselect_b64 s[0:1], -1, 0
	s_cmp_lg_u64 s[0:1], 0
	s_addc_u32 s39, s39, s59
	s_mul_i32 s0, s16, s39
	s_mul_hi_u32 s1, s16, s60
	s_add_i32 s0, s1, s0
	s_mul_i32 s31, s31, s60
	s_add_i32 s0, s0, s31
	s_mul_i32 s16, s16, s60
	s_mul_hi_u32 s31, s39, s16
	s_mul_i32 s59, s39, s16
	s_mul_i32 s62, s60, s0
	s_mul_hi_u32 s16, s60, s16
	s_mul_hi_u32 s61, s60, s0
	s_add_u32 s16, s16, s62
	s_addc_u32 s61, 0, s61
	s_add_u32 s16, s16, s59
	s_mul_hi_u32 s1, s39, s0
	s_addc_u32 s16, s61, s31
	s_addc_u32 s1, s1, 0
	s_mul_i32 s0, s39, s0
	s_add_u32 s0, s16, s0
	s_addc_u32 s16, 0, s1
	s_add_u32 s31, s60, s0
	s_cselect_b64 s[0:1], -1, 0
	v_ashrrev_i32_e32 v3, 31, v18
	s_cmp_lg_u64 s[0:1], 0
	v_add_co_u32_e32 v5, vcc, v17, v3
	s_addc_u32 s16, s39, s16
	v_xor_b32_e32 v5, v5, v3
	v_addc_co_u32_e32 v8, vcc, v18, v3, vcc
	v_mad_u64_u32 v[18:19], s[0:1], v5, s16, 0
	v_mul_hi_u32 v10, v5, s31
	v_xor_b32_e32 v8, v8, v3
	v_mad_u64_u32 v[20:21], s[0:1], v8, s16, 0
	v_add_co_u32_e32 v10, vcc, v10, v18
	v_addc_co_u32_e32 v12, vcc, 0, v19, vcc
	v_mad_u64_u32 v[18:19], s[0:1], v8, s31, 0
	v_xor_b32_e32 v3, s38, v3
	v_add_co_u32_e32 v10, vcc, v10, v18
	v_addc_co_u32_e32 v10, vcc, v12, v19, vcc
	v_addc_co_u32_e32 v12, vcc, 0, v21, vcc
	v_add_co_u32_e32 v10, vcc, v10, v20
	v_addc_co_u32_e32 v12, vcc, 0, v12, vcc
	v_mul_lo_u32 v14, s41, v10
	v_mul_lo_u32 v16, s40, v12
	v_mad_u64_u32 v[18:19], s[0:1], s40, v10, 0
	v_add3_u32 v14, v19, v16, v14
	v_sub_u32_e32 v16, v8, v14
	v_mov_b32_e32 v19, s41
	v_sub_co_u32_e32 v5, vcc, v5, v18
	v_subb_co_u32_e64 v16, s[0:1], v16, v19, vcc
	v_subrev_co_u32_e64 v18, s[0:1], s40, v5
	v_subbrev_co_u32_e64 v16, s[0:1], 0, v16, s[0:1]
	v_cmp_le_u32_e64 s[0:1], s41, v16
	v_cndmask_b32_e64 v19, 0, -1, s[0:1]
	v_cmp_le_u32_e64 s[0:1], s40, v18
	v_cndmask_b32_e64 v18, 0, -1, s[0:1]
	v_cmp_eq_u32_e64 s[0:1], s41, v16
	v_cndmask_b32_e64 v16, v19, v18, s[0:1]
	v_add_co_u32_e64 v18, s[0:1], 2, v10
	v_subb_co_u32_e32 v8, vcc, v8, v14, vcc
	v_addc_co_u32_e64 v19, s[0:1], 0, v12, s[0:1]
	v_cmp_le_u32_e32 vcc, s41, v8
	v_add_co_u32_e64 v20, s[0:1], 1, v10
	v_cndmask_b32_e64 v14, 0, -1, vcc
	v_cmp_le_u32_e32 vcc, s40, v5
	v_addc_co_u32_e64 v21, s[0:1], 0, v12, s[0:1]
	v_cndmask_b32_e64 v5, 0, -1, vcc
	v_cmp_eq_u32_e32 vcc, s41, v8
	v_cmp_ne_u32_e64 s[0:1], 0, v16
	v_cndmask_b32_e32 v5, v14, v5, vcc
	v_cmp_ne_u32_e32 vcc, 0, v5
	v_cndmask_b32_e64 v8, v20, v18, s[0:1]
	v_cndmask_b32_e64 v16, v21, v19, s[0:1]
	v_cndmask_b32_e32 v8, v10, v8, vcc
	v_cndmask_b32_e32 v5, v12, v16, vcc
	v_xor_b32_e32 v8, v8, v3
	v_xor_b32_e32 v5, v5, v3
	v_sub_co_u32_e32 v19, vcc, v8, v3
	v_subb_co_u32_e32 v20, vcc, v5, v3, vcc
.LBB16_45:                              ;   in Loop: Header=BB16_23 Depth=2
	s_andn2_saveexec_b64 s[0:1], s[36:37]
	s_cbranch_execz .LBB16_47
; %bb.46:                               ;   in Loop: Header=BB16_23 Depth=2
	v_cvt_f32_u32_e32 v3, s58
	s_sub_i32 s16, 0, s58
	v_mov_b32_e32 v20, v2
	v_rcp_iflag_f32_e32 v3, v3
	v_mul_f32_e32 v3, 0x4f7ffffe, v3
	v_cvt_u32_f32_e32 v3, v3
	v_mul_lo_u32 v5, s16, v3
	v_mul_hi_u32 v5, v3, v5
	v_add_u32_e32 v3, v3, v5
	v_mul_hi_u32 v3, v17, v3
	v_mul_lo_u32 v5, v3, s58
	v_add_u32_e32 v8, 1, v3
	v_sub_u32_e32 v5, v17, v5
	v_subrev_u32_e32 v10, s58, v5
	v_cmp_le_u32_e32 vcc, s58, v5
	v_cndmask_b32_e32 v5, v5, v10, vcc
	v_cndmask_b32_e32 v3, v3, v8, vcc
	v_add_u32_e32 v8, 1, v3
	v_cmp_le_u32_e32 vcc, s58, v5
	v_cndmask_b32_e32 v19, v3, v8, vcc
.LBB16_47:                              ;   in Loop: Header=BB16_23 Depth=2
	s_or_b64 exec, exec, s[0:1]
	s_add_u32 s0, s4, s34
	s_addc_u32 s1, s5, s35
	s_add_i32 s16, s30, 1
	s_lshl_b64 s[34:35], s[16:17], 2
	s_add_u32 s36, s42, s34
	s_addc_u32 s37, s43, s35
	s_load_dword s59, s[36:37], 0x8
	s_load_dword s16, s[0:1], 0x6c
                                        ; implicit-def: $vgpr21_vgpr22
	s_waitcnt lgkmcnt(0)
	s_ashr_i32 s0, s59, 31
	v_or_b32_e32 v3, s0, v20
	v_cmp_ne_u64_e32 vcc, 0, v[2:3]
	s_and_saveexec_b64 s[36:37], vcc
	s_xor_b64 s[36:37], exec, s[36:37]
	s_cbranch_execz .LBB16_49
; %bb.48:                               ;   in Loop: Header=BB16_23 Depth=2
	s_ashr_i32 s38, s0, 31
	s_add_u32 s40, s59, s38
	s_mov_b32 s39, s38
	s_addc_u32 s41, s0, s38
	s_xor_b64 s[40:41], s[40:41], s[38:39]
	v_cvt_f32_u32_e32 v3, s40
	v_cvt_f32_u32_e32 v5, s41
	s_sub_u32 s31, 0, s40
	s_subb_u32 s39, 0, s41
	v_mov_b32_e32 v18, s41
	v_mac_f32_e32 v3, 0x4f800000, v5
	v_rcp_f32_e32 v3, v3
	v_mul_f32_e32 v3, 0x5f7ffffc, v3
	v_mul_f32_e32 v5, 0x2f800000, v3
	v_trunc_f32_e32 v5, v5
	v_mac_f32_e32 v3, 0xcf800000, v5
	v_cvt_u32_f32_e32 v5, v5
	v_cvt_u32_f32_e32 v3, v3
	v_readfirstlane_b32 s60, v5
	v_readfirstlane_b32 s0, v3
	s_mul_i32 s1, s31, s60
	s_mul_hi_u32 s62, s31, s0
	s_mul_i32 s61, s39, s0
	s_add_i32 s1, s62, s1
	s_add_i32 s1, s1, s61
	s_mul_i32 s63, s31, s0
	s_mul_i32 s62, s0, s1
	s_mul_hi_u32 s64, s0, s63
	s_mul_hi_u32 s61, s0, s1
	s_add_u32 s62, s64, s62
	s_addc_u32 s61, 0, s61
	s_mul_hi_u32 s65, s60, s63
	s_mul_i32 s63, s60, s63
	s_add_u32 s62, s62, s63
	s_mul_hi_u32 s64, s60, s1
	s_addc_u32 s61, s61, s65
	s_addc_u32 s62, s64, 0
	s_mul_i32 s1, s60, s1
	s_add_u32 s1, s61, s1
	s_addc_u32 s61, 0, s62
	s_add_u32 s62, s0, s1
	s_cselect_b64 s[0:1], -1, 0
	s_cmp_lg_u64 s[0:1], 0
	s_addc_u32 s60, s60, s61
	s_mul_i32 s0, s31, s60
	s_mul_hi_u32 s1, s31, s62
	s_add_i32 s0, s1, s0
	s_mul_i32 s39, s39, s62
	s_add_i32 s0, s0, s39
	s_mul_i32 s31, s31, s62
	s_mul_hi_u32 s39, s60, s31
	s_mul_i32 s61, s60, s31
	s_mul_i32 s64, s62, s0
	s_mul_hi_u32 s31, s62, s31
	s_mul_hi_u32 s63, s62, s0
	s_add_u32 s31, s31, s64
	s_addc_u32 s63, 0, s63
	s_add_u32 s31, s31, s61
	s_mul_hi_u32 s1, s60, s0
	s_addc_u32 s31, s63, s39
	s_addc_u32 s1, s1, 0
	s_mul_i32 s0, s60, s0
	s_add_u32 s0, s31, s0
	s_addc_u32 s31, 0, s1
	s_add_u32 s39, s62, s0
	s_cselect_b64 s[0:1], -1, 0
	v_ashrrev_i32_e32 v3, 31, v20
	s_cmp_lg_u64 s[0:1], 0
	v_add_co_u32_e32 v5, vcc, v19, v3
	s_addc_u32 s31, s60, s31
	v_xor_b32_e32 v5, v5, v3
	v_addc_co_u32_e32 v8, vcc, v20, v3, vcc
	v_mad_u64_u32 v[20:21], s[0:1], v5, s31, 0
	v_mul_hi_u32 v10, v5, s39
	v_xor_b32_e32 v8, v8, v3
	v_mad_u64_u32 v[22:23], s[0:1], v8, s31, 0
	v_add_co_u32_e32 v10, vcc, v10, v20
	v_addc_co_u32_e32 v12, vcc, 0, v21, vcc
	v_mad_u64_u32 v[20:21], s[0:1], v8, s39, 0
	v_xor_b32_e32 v3, s38, v3
	v_add_co_u32_e32 v10, vcc, v10, v20
	v_addc_co_u32_e32 v10, vcc, v12, v21, vcc
	v_addc_co_u32_e32 v12, vcc, 0, v23, vcc
	v_add_co_u32_e32 v10, vcc, v10, v22
	v_addc_co_u32_e32 v12, vcc, 0, v12, vcc
	v_mul_lo_u32 v14, s41, v10
	v_mul_lo_u32 v16, s40, v12
	v_mad_u64_u32 v[20:21], s[0:1], s40, v10, 0
	v_add3_u32 v14, v21, v16, v14
	v_sub_u32_e32 v16, v8, v14
	v_sub_co_u32_e32 v5, vcc, v5, v20
	v_subb_co_u32_e64 v16, s[0:1], v16, v18, vcc
	v_subrev_co_u32_e64 v18, s[0:1], s40, v5
	v_subbrev_co_u32_e64 v16, s[0:1], 0, v16, s[0:1]
	v_cmp_le_u32_e64 s[0:1], s41, v16
	v_cndmask_b32_e64 v20, 0, -1, s[0:1]
	v_cmp_le_u32_e64 s[0:1], s40, v18
	v_cndmask_b32_e64 v18, 0, -1, s[0:1]
	v_cmp_eq_u32_e64 s[0:1], s41, v16
	v_cndmask_b32_e64 v16, v20, v18, s[0:1]
	v_add_co_u32_e64 v18, s[0:1], 2, v10
	v_subb_co_u32_e32 v8, vcc, v8, v14, vcc
	v_addc_co_u32_e64 v20, s[0:1], 0, v12, s[0:1]
	v_cmp_le_u32_e32 vcc, s41, v8
	v_add_co_u32_e64 v21, s[0:1], 1, v10
	v_cndmask_b32_e64 v14, 0, -1, vcc
	v_cmp_le_u32_e32 vcc, s40, v5
	v_addc_co_u32_e64 v22, s[0:1], 0, v12, s[0:1]
	v_cndmask_b32_e64 v5, 0, -1, vcc
	v_cmp_eq_u32_e32 vcc, s41, v8
	v_cmp_ne_u32_e64 s[0:1], 0, v16
	v_cndmask_b32_e32 v5, v14, v5, vcc
	v_cmp_ne_u32_e32 vcc, 0, v5
	v_cndmask_b32_e64 v8, v21, v18, s[0:1]
	v_cndmask_b32_e64 v16, v22, v20, s[0:1]
	v_cndmask_b32_e32 v8, v10, v8, vcc
	v_cndmask_b32_e32 v5, v12, v16, vcc
	v_xor_b32_e32 v8, v8, v3
	v_xor_b32_e32 v5, v5, v3
	v_sub_co_u32_e32 v21, vcc, v8, v3
	v_subb_co_u32_e32 v22, vcc, v5, v3, vcc
.LBB16_49:                              ;   in Loop: Header=BB16_23 Depth=2
	s_andn2_saveexec_b64 s[0:1], s[36:37]
	s_cbranch_execz .LBB16_51
; %bb.50:                               ;   in Loop: Header=BB16_23 Depth=2
	v_cvt_f32_u32_e32 v3, s59
	s_sub_i32 s31, 0, s59
	v_mov_b32_e32 v22, v2
	v_rcp_iflag_f32_e32 v3, v3
	v_mul_f32_e32 v3, 0x4f7ffffe, v3
	v_cvt_u32_f32_e32 v3, v3
	v_mul_lo_u32 v5, s31, v3
	v_mul_hi_u32 v5, v3, v5
	v_add_u32_e32 v3, v3, v5
	v_mul_hi_u32 v3, v19, v3
	v_mul_lo_u32 v5, v3, s59
	v_add_u32_e32 v8, 1, v3
	v_sub_u32_e32 v5, v19, v5
	v_subrev_u32_e32 v10, s59, v5
	v_cmp_le_u32_e32 vcc, s59, v5
	v_cndmask_b32_e32 v5, v5, v10, vcc
	v_cndmask_b32_e32 v3, v3, v8, vcc
	v_add_u32_e32 v8, 1, v3
	v_cmp_le_u32_e32 vcc, s59, v5
	v_cndmask_b32_e32 v21, v3, v8, vcc
.LBB16_51:                              ;   in Loop: Header=BB16_23 Depth=2
	s_or_b64 exec, exec, s[0:1]
	s_add_u32 s0, s4, s34
	s_mov_b32 s31, s17
	s_addc_u32 s1, s5, s35
	s_lshl_b64 s[34:35], s[30:31], 2
	s_add_u32 s36, s42, s34
	s_addc_u32 s37, s43, s35
	s_load_dword s60, s[36:37], 0x8
	s_load_dword s31, s[0:1], 0x6c
                                        ; implicit-def: $vgpr23_vgpr24
	s_waitcnt lgkmcnt(0)
	s_ashr_i32 s0, s60, 31
	v_or_b32_e32 v3, s0, v22
	v_cmp_ne_u64_e32 vcc, 0, v[2:3]
	s_and_saveexec_b64 s[36:37], vcc
	s_xor_b64 s[36:37], exec, s[36:37]
	s_cbranch_execz .LBB16_53
; %bb.52:                               ;   in Loop: Header=BB16_23 Depth=2
	s_ashr_i32 s38, s0, 31
	s_add_u32 s40, s60, s38
	s_mov_b32 s39, s38
	s_addc_u32 s41, s0, s38
	s_xor_b64 s[40:41], s[40:41], s[38:39]
	v_cvt_f32_u32_e32 v3, s40
	v_cvt_f32_u32_e32 v5, s41
	s_sub_u32 s39, 0, s40
	s_subb_u32 s61, 0, s41
	v_mov_b32_e32 v18, s41
	v_mac_f32_e32 v3, 0x4f800000, v5
	v_rcp_f32_e32 v3, v3
	v_mul_f32_e32 v3, 0x5f7ffffc, v3
	v_mul_f32_e32 v5, 0x2f800000, v3
	v_trunc_f32_e32 v5, v5
	v_mac_f32_e32 v3, 0xcf800000, v5
	v_cvt_u32_f32_e32 v5, v5
	v_cvt_u32_f32_e32 v3, v3
	v_readfirstlane_b32 s62, v5
	v_readfirstlane_b32 s0, v3
	s_mul_i32 s1, s39, s62
	s_mul_hi_u32 s64, s39, s0
	s_mul_i32 s63, s61, s0
	s_add_i32 s1, s64, s1
	s_add_i32 s1, s1, s63
	s_mul_i32 s65, s39, s0
	s_mul_i32 s64, s0, s1
	s_mul_hi_u32 s66, s0, s65
	s_mul_hi_u32 s63, s0, s1
	s_add_u32 s64, s66, s64
	s_addc_u32 s63, 0, s63
	s_mul_hi_u32 s67, s62, s65
	s_mul_i32 s65, s62, s65
	s_add_u32 s64, s64, s65
	s_mul_hi_u32 s66, s62, s1
	s_addc_u32 s63, s63, s67
	s_addc_u32 s64, s66, 0
	s_mul_i32 s1, s62, s1
	s_add_u32 s1, s63, s1
	s_addc_u32 s63, 0, s64
	s_add_u32 s64, s0, s1
	s_cselect_b64 s[0:1], -1, 0
	s_cmp_lg_u64 s[0:1], 0
	s_addc_u32 s62, s62, s63
	s_mul_i32 s0, s39, s62
	s_mul_hi_u32 s1, s39, s64
	s_add_i32 s0, s1, s0
	s_mul_i32 s61, s61, s64
	s_add_i32 s0, s0, s61
	s_mul_i32 s39, s39, s64
	s_mul_hi_u32 s61, s62, s39
	s_mul_i32 s63, s62, s39
	s_mul_i32 s66, s64, s0
	s_mul_hi_u32 s39, s64, s39
	s_mul_hi_u32 s65, s64, s0
	s_add_u32 s39, s39, s66
	s_addc_u32 s65, 0, s65
	s_add_u32 s39, s39, s63
	s_mul_hi_u32 s1, s62, s0
	s_addc_u32 s39, s65, s61
	s_addc_u32 s1, s1, 0
	s_mul_i32 s0, s62, s0
	s_add_u32 s0, s39, s0
	s_addc_u32 s39, 0, s1
	s_add_u32 s61, s64, s0
	s_cselect_b64 s[0:1], -1, 0
	v_ashrrev_i32_e32 v3, 31, v22
	s_cmp_lg_u64 s[0:1], 0
	v_add_co_u32_e32 v5, vcc, v21, v3
	s_addc_u32 s39, s62, s39
	v_xor_b32_e32 v5, v5, v3
	v_addc_co_u32_e32 v8, vcc, v22, v3, vcc
	v_mad_u64_u32 v[22:23], s[0:1], v5, s39, 0
	v_mul_hi_u32 v10, v5, s61
	v_xor_b32_e32 v8, v8, v3
	v_mad_u64_u32 v[27:28], s[0:1], v8, s39, 0
	v_add_co_u32_e32 v10, vcc, v10, v22
	v_addc_co_u32_e32 v12, vcc, 0, v23, vcc
	v_mad_u64_u32 v[22:23], s[0:1], v8, s61, 0
	v_xor_b32_e32 v3, s38, v3
	v_add_co_u32_e32 v10, vcc, v10, v22
	v_addc_co_u32_e32 v10, vcc, v12, v23, vcc
	v_addc_co_u32_e32 v12, vcc, 0, v28, vcc
	v_add_co_u32_e32 v10, vcc, v10, v27
	v_addc_co_u32_e32 v12, vcc, 0, v12, vcc
	v_mul_lo_u32 v14, s41, v10
	v_mul_lo_u32 v16, s40, v12
	v_mad_u64_u32 v[22:23], s[0:1], s40, v10, 0
	v_add3_u32 v14, v23, v16, v14
	v_sub_u32_e32 v16, v8, v14
	v_sub_co_u32_e32 v5, vcc, v5, v22
	v_subb_co_u32_e64 v16, s[0:1], v16, v18, vcc
	v_subrev_co_u32_e64 v18, s[0:1], s40, v5
	v_subbrev_co_u32_e64 v16, s[0:1], 0, v16, s[0:1]
	v_cmp_le_u32_e64 s[0:1], s41, v16
	v_cndmask_b32_e64 v20, 0, -1, s[0:1]
	v_cmp_le_u32_e64 s[0:1], s40, v18
	v_cndmask_b32_e64 v18, 0, -1, s[0:1]
	v_cmp_eq_u32_e64 s[0:1], s41, v16
	v_cndmask_b32_e64 v16, v20, v18, s[0:1]
	v_add_co_u32_e64 v18, s[0:1], 2, v10
	v_subb_co_u32_e32 v8, vcc, v8, v14, vcc
	v_addc_co_u32_e64 v20, s[0:1], 0, v12, s[0:1]
	v_cmp_le_u32_e32 vcc, s41, v8
	v_add_co_u32_e64 v22, s[0:1], 1, v10
	v_cndmask_b32_e64 v14, 0, -1, vcc
	v_cmp_le_u32_e32 vcc, s40, v5
	v_addc_co_u32_e64 v23, s[0:1], 0, v12, s[0:1]
	v_cndmask_b32_e64 v5, 0, -1, vcc
	v_cmp_eq_u32_e32 vcc, s41, v8
	v_cmp_ne_u32_e64 s[0:1], 0, v16
	v_cndmask_b32_e32 v5, v14, v5, vcc
	v_cmp_ne_u32_e32 vcc, 0, v5
	v_cndmask_b32_e64 v8, v22, v18, s[0:1]
	v_cndmask_b32_e64 v16, v23, v20, s[0:1]
	v_cndmask_b32_e32 v8, v10, v8, vcc
	v_cndmask_b32_e32 v5, v12, v16, vcc
	v_xor_b32_e32 v8, v8, v3
	v_xor_b32_e32 v5, v5, v3
	v_sub_co_u32_e32 v23, vcc, v8, v3
	v_subb_co_u32_e32 v24, vcc, v5, v3, vcc
.LBB16_53:                              ;   in Loop: Header=BB16_23 Depth=2
	s_andn2_saveexec_b64 s[0:1], s[36:37]
	s_cbranch_execz .LBB16_55
; %bb.54:                               ;   in Loop: Header=BB16_23 Depth=2
	v_cvt_f32_u32_e32 v3, s60
	s_sub_i32 s36, 0, s60
	v_mov_b32_e32 v24, v2
	v_rcp_iflag_f32_e32 v3, v3
	v_mul_f32_e32 v3, 0x4f7ffffe, v3
	v_cvt_u32_f32_e32 v3, v3
	v_mul_lo_u32 v5, s36, v3
	v_mul_hi_u32 v5, v3, v5
	v_add_u32_e32 v3, v3, v5
	v_mul_hi_u32 v3, v21, v3
	v_mul_lo_u32 v5, v3, s60
	v_add_u32_e32 v8, 1, v3
	v_sub_u32_e32 v5, v21, v5
	v_subrev_u32_e32 v10, s60, v5
	v_cmp_le_u32_e32 vcc, s60, v5
	v_cndmask_b32_e32 v5, v5, v10, vcc
	v_cndmask_b32_e32 v3, v3, v8, vcc
	v_add_u32_e32 v8, 1, v3
	v_cmp_le_u32_e32 vcc, s60, v5
	v_cndmask_b32_e32 v23, v3, v8, vcc
.LBB16_55:                              ;   in Loop: Header=BB16_23 Depth=2
	s_or_b64 exec, exec, s[0:1]
	v_mul_lo_u32 v3, v9, s25
	v_mul_lo_u32 v5, v11, s50
	;; [unrolled: 1-line block ×3, first 2 shown]
	s_add_u32 s0, s4, s34
	v_sub_u32_e32 v3, v7, v3
	v_mul_lo_u32 v7, v15, s54
	v_sub_u32_e32 v5, v9, v5
	v_mul_lo_u32 v3, s28, v3
	v_mul_lo_u32 v5, s51, v5
	v_sub_u32_e32 v8, v11, v8
	v_sub_u32_e32 v7, v13, v7
	v_mul_lo_u32 v8, s53, v8
	v_mul_lo_u32 v7, s56, v7
	;; [unrolled: 1-line block ×3, first 2 shown]
	v_add3_u32 v3, v3, v4, v5
	v_mul_lo_u32 v4, v19, s58
	s_addc_u32 s1, s5, s35
	v_add3_u32 v3, v8, v3, v7
	v_mul_lo_u32 v7, v21, s59
	v_mul_lo_u32 v8, v23, s60
	s_load_dword s0, s[0:1], 0x6c
	v_sub_u32_e32 v5, v15, v9
	v_sub_u32_e32 v4, v17, v4
	v_mul_lo_u32 v5, s57, v5
	v_mul_lo_u32 v4, s16, v4
	v_sub_u32_e32 v7, v19, v7
	v_sub_u32_e32 v8, v21, v8
	v_mul_lo_u32 v7, s31, v7
	s_waitcnt lgkmcnt(0)
	v_mul_lo_u32 v8, s0, v8
	v_add3_u32 v3, v5, v3, v4
	s_add_i32 s30, s30, -8
	s_cmp_eq_u32 s30, -8
	v_add3_u32 v4, v7, v3, v8
	s_cbranch_scc1 .LBB16_57
; %bb.56:                               ;   in Loop: Header=BB16_23 Depth=2
	v_mov_b32_e32 v7, v23
	v_mov_b32_e32 v8, v24
	s_branch .LBB16_23
.LBB16_57:                              ;   in Loop: Header=BB16_3 Depth=1
	s_load_dword s16, s[2:3], 0x4
	s_waitcnt lgkmcnt(0)
	v_cmp_gt_i32_e32 vcc, s16, v26
	s_and_b64 exec, exec, vcc
	s_cbranch_execz .LBB16_2
; %bb.58:                               ;   in Loop: Header=BB16_3 Depth=1
	v_ashrrev_i32_e32 v7, 31, v6
	v_cmp_lt_i64_e32 vcc, s[8:9], v[6:7]
	s_and_saveexec_b64 s[0:1], vcc
	s_cbranch_execz .LBB16_60
; %bb.59:                               ;   in Loop: Header=BB16_3 Depth=1
	v_ashrrev_i32_e32 v5, 31, v4
	v_lshlrev_b64 v[5:6], 1, v[4:5]
	v_mov_b32_e32 v3, s13
	v_add_co_u32_e32 v5, vcc, s12, v5
	v_addc_co_u32_e32 v6, vcc, v3, v6, vcc
	global_store_short v[5:6], v2, off
.LBB16_60:                              ;   in Loop: Header=BB16_3 Depth=1
	s_or_b64 exec, exec, s[0:1]
	v_add_u32_e32 v3, 1, v26
	v_cmp_gt_i32_e32 vcc, s16, v3
	s_and_b64 exec, exec, vcc
	s_cbranch_execz .LBB16_2
; %bb.61:                               ;   in Loop: Header=BB16_3 Depth=1
	v_sub_u32_e32 v5, v3, v25
	v_ashrrev_i32_e32 v6, 31, v5
	v_cmp_lt_i64_e32 vcc, s[8:9], v[5:6]
	s_and_saveexec_b64 s[0:1], vcc
	s_cbranch_execz .LBB16_63
; %bb.62:                               ;   in Loop: Header=BB16_3 Depth=1
	v_add_u32_e32 v5, s29, v4
	v_ashrrev_i32_e32 v6, 31, v5
	v_lshlrev_b64 v[5:6], 1, v[5:6]
	v_mov_b32_e32 v3, s13
	v_add_co_u32_e32 v5, vcc, s12, v5
	v_addc_co_u32_e32 v6, vcc, v3, v6, vcc
	global_store_short v[5:6], v2, off
.LBB16_63:                              ;   in Loop: Header=BB16_3 Depth=1
	s_or_b64 exec, exec, s[0:1]
	v_add_u32_e32 v3, 2, v26
	v_cmp_gt_i32_e32 vcc, s16, v3
	s_and_b64 exec, exec, vcc
	s_cbranch_execz .LBB16_2
; %bb.64:                               ;   in Loop: Header=BB16_3 Depth=1
	v_sub_u32_e32 v5, v3, v25
	v_ashrrev_i32_e32 v6, 31, v5
	v_cmp_lt_i64_e32 vcc, s[8:9], v[5:6]
	s_and_saveexec_b64 s[0:1], vcc
	s_cbranch_execz .LBB16_66
; %bb.65:                               ;   in Loop: Header=BB16_3 Depth=1
	v_lshl_add_u32 v5, s29, 1, v4
	v_ashrrev_i32_e32 v6, 31, v5
	v_lshlrev_b64 v[5:6], 1, v[5:6]
	v_mov_b32_e32 v3, s13
	v_add_co_u32_e32 v5, vcc, s12, v5
	v_addc_co_u32_e32 v6, vcc, v3, v6, vcc
	global_store_short v[5:6], v2, off
.LBB16_66:                              ;   in Loop: Header=BB16_3 Depth=1
	s_or_b64 exec, exec, s[0:1]
	v_add_u32_e32 v3, 3, v26
	v_cmp_gt_i32_e32 vcc, s16, v3
	s_and_b64 exec, exec, vcc
	s_cbranch_execz .LBB16_2
; %bb.67:                               ;   in Loop: Header=BB16_3 Depth=1
	v_sub_u32_e32 v5, v3, v25
	v_ashrrev_i32_e32 v6, 31, v5
	v_cmp_lt_i64_e32 vcc, s[8:9], v[5:6]
	s_and_b64 exec, exec, vcc
	s_cbranch_execz .LBB16_2
; %bb.68:                               ;   in Loop: Header=BB16_3 Depth=1
	v_mad_u64_u32 v[3:4], s[0:1], s29, 3, v[4:5]
	v_mov_b32_e32 v5, s13
	v_ashrrev_i32_e32 v4, 31, v3
	v_lshlrev_b64 v[3:4], 1, v[3:4]
	v_add_co_u32_e32 v3, vcc, s12, v3
	v_addc_co_u32_e32 v4, vcc, v5, v4, vcc
	global_store_short v[3:4], v2, off
	s_branch .LBB16_2
.LBB16_69:
	s_endpgm
	.section	.rodata,"a",@progbits
	.p2align	6, 0x0
	.amdhsa_kernel _ZN2at6native16triu_tril_kernelIsiLb0ELi4ELb1EEEvNS_4cuda6detail10TensorInfoIT_T0_EENS4_IKS5_S6_EEllS6_
		.amdhsa_group_segment_fixed_size 0
		.amdhsa_private_segment_fixed_size 0
		.amdhsa_kernarg_size 712
		.amdhsa_user_sgpr_count 6
		.amdhsa_user_sgpr_private_segment_buffer 1
		.amdhsa_user_sgpr_dispatch_ptr 0
		.amdhsa_user_sgpr_queue_ptr 0
		.amdhsa_user_sgpr_kernarg_segment_ptr 1
		.amdhsa_user_sgpr_dispatch_id 0
		.amdhsa_user_sgpr_flat_scratch_init 0
		.amdhsa_user_sgpr_private_segment_size 0
		.amdhsa_uses_dynamic_stack 0
		.amdhsa_system_sgpr_private_segment_wavefront_offset 0
		.amdhsa_system_sgpr_workgroup_id_x 1
		.amdhsa_system_sgpr_workgroup_id_y 0
		.amdhsa_system_sgpr_workgroup_id_z 0
		.amdhsa_system_sgpr_workgroup_info 0
		.amdhsa_system_vgpr_workitem_id 0
		.amdhsa_next_free_vgpr 29
		.amdhsa_next_free_sgpr 68
		.amdhsa_reserve_vcc 1
		.amdhsa_reserve_flat_scratch 0
		.amdhsa_float_round_mode_32 0
		.amdhsa_float_round_mode_16_64 0
		.amdhsa_float_denorm_mode_32 3
		.amdhsa_float_denorm_mode_16_64 3
		.amdhsa_dx10_clamp 1
		.amdhsa_ieee_mode 1
		.amdhsa_fp16_overflow 0
		.amdhsa_exception_fp_ieee_invalid_op 0
		.amdhsa_exception_fp_denorm_src 0
		.amdhsa_exception_fp_ieee_div_zero 0
		.amdhsa_exception_fp_ieee_overflow 0
		.amdhsa_exception_fp_ieee_underflow 0
		.amdhsa_exception_fp_ieee_inexact 0
		.amdhsa_exception_int_div_zero 0
	.end_amdhsa_kernel
	.section	.text._ZN2at6native16triu_tril_kernelIsiLb0ELi4ELb1EEEvNS_4cuda6detail10TensorInfoIT_T0_EENS4_IKS5_S6_EEllS6_,"axG",@progbits,_ZN2at6native16triu_tril_kernelIsiLb0ELi4ELb1EEEvNS_4cuda6detail10TensorInfoIT_T0_EENS4_IKS5_S6_EEllS6_,comdat
.Lfunc_end16:
	.size	_ZN2at6native16triu_tril_kernelIsiLb0ELi4ELb1EEEvNS_4cuda6detail10TensorInfoIT_T0_EENS4_IKS5_S6_EEllS6_, .Lfunc_end16-_ZN2at6native16triu_tril_kernelIsiLb0ELi4ELb1EEEvNS_4cuda6detail10TensorInfoIT_T0_EENS4_IKS5_S6_EEllS6_
                                        ; -- End function
	.set _ZN2at6native16triu_tril_kernelIsiLb0ELi4ELb1EEEvNS_4cuda6detail10TensorInfoIT_T0_EENS4_IKS5_S6_EEllS6_.num_vgpr, 29
	.set _ZN2at6native16triu_tril_kernelIsiLb0ELi4ELb1EEEvNS_4cuda6detail10TensorInfoIT_T0_EENS4_IKS5_S6_EEllS6_.num_agpr, 0
	.set _ZN2at6native16triu_tril_kernelIsiLb0ELi4ELb1EEEvNS_4cuda6detail10TensorInfoIT_T0_EENS4_IKS5_S6_EEllS6_.numbered_sgpr, 68
	.set _ZN2at6native16triu_tril_kernelIsiLb0ELi4ELb1EEEvNS_4cuda6detail10TensorInfoIT_T0_EENS4_IKS5_S6_EEllS6_.num_named_barrier, 0
	.set _ZN2at6native16triu_tril_kernelIsiLb0ELi4ELb1EEEvNS_4cuda6detail10TensorInfoIT_T0_EENS4_IKS5_S6_EEllS6_.private_seg_size, 0
	.set _ZN2at6native16triu_tril_kernelIsiLb0ELi4ELb1EEEvNS_4cuda6detail10TensorInfoIT_T0_EENS4_IKS5_S6_EEllS6_.uses_vcc, 1
	.set _ZN2at6native16triu_tril_kernelIsiLb0ELi4ELb1EEEvNS_4cuda6detail10TensorInfoIT_T0_EENS4_IKS5_S6_EEllS6_.uses_flat_scratch, 0
	.set _ZN2at6native16triu_tril_kernelIsiLb0ELi4ELb1EEEvNS_4cuda6detail10TensorInfoIT_T0_EENS4_IKS5_S6_EEllS6_.has_dyn_sized_stack, 0
	.set _ZN2at6native16triu_tril_kernelIsiLb0ELi4ELb1EEEvNS_4cuda6detail10TensorInfoIT_T0_EENS4_IKS5_S6_EEllS6_.has_recursion, 0
	.set _ZN2at6native16triu_tril_kernelIsiLb0ELi4ELb1EEEvNS_4cuda6detail10TensorInfoIT_T0_EENS4_IKS5_S6_EEllS6_.has_indirect_call, 0
	.section	.AMDGPU.csdata,"",@progbits
; Kernel info:
; codeLenInByte = 9500
; TotalNumSgprs: 72
; NumVgprs: 29
; ScratchSize: 0
; MemoryBound: 0
; FloatMode: 240
; IeeeMode: 1
; LDSByteSize: 0 bytes/workgroup (compile time only)
; SGPRBlocks: 8
; VGPRBlocks: 7
; NumSGPRsForWavesPerEU: 72
; NumVGPRsForWavesPerEU: 29
; Occupancy: 8
; WaveLimiterHint : 0
; COMPUTE_PGM_RSRC2:SCRATCH_EN: 0
; COMPUTE_PGM_RSRC2:USER_SGPR: 6
; COMPUTE_PGM_RSRC2:TRAP_HANDLER: 0
; COMPUTE_PGM_RSRC2:TGID_X_EN: 1
; COMPUTE_PGM_RSRC2:TGID_Y_EN: 0
; COMPUTE_PGM_RSRC2:TGID_Z_EN: 0
; COMPUTE_PGM_RSRC2:TIDIG_COMP_CNT: 0
	.section	.text._ZN2at6native16triu_tril_kernelIsiLb0ELi4ELb0EEEvNS_4cuda6detail10TensorInfoIT_T0_EENS4_IKS5_S6_EEllS6_,"axG",@progbits,_ZN2at6native16triu_tril_kernelIsiLb0ELi4ELb0EEEvNS_4cuda6detail10TensorInfoIT_T0_EENS4_IKS5_S6_EEllS6_,comdat
	.protected	_ZN2at6native16triu_tril_kernelIsiLb0ELi4ELb0EEEvNS_4cuda6detail10TensorInfoIT_T0_EENS4_IKS5_S6_EEllS6_ ; -- Begin function _ZN2at6native16triu_tril_kernelIsiLb0ELi4ELb0EEEvNS_4cuda6detail10TensorInfoIT_T0_EENS4_IKS5_S6_EEllS6_
	.globl	_ZN2at6native16triu_tril_kernelIsiLb0ELi4ELb0EEEvNS_4cuda6detail10TensorInfoIT_T0_EENS4_IKS5_S6_EEllS6_
	.p2align	8
	.type	_ZN2at6native16triu_tril_kernelIsiLb0ELi4ELb0EEEvNS_4cuda6detail10TensorInfoIT_T0_EENS4_IKS5_S6_EEllS6_,@function
_ZN2at6native16triu_tril_kernelIsiLb0ELi4ELb0EEEvNS_4cuda6detail10TensorInfoIT_T0_EENS4_IKS5_S6_EEllS6_: ; @_ZN2at6native16triu_tril_kernelIsiLb0ELi4ELb0EEEvNS_4cuda6detail10TensorInfoIT_T0_EENS4_IKS5_S6_EEllS6_
; %bb.0:
	s_load_dword s2, s[4:5], 0x1d4
	s_load_dwordx4 s[8:11], s[4:5], 0x1b0
	s_add_u32 s0, s4, 0x1c8
	v_mov_b32_e32 v2, 0
	s_addc_u32 s1, s5, 0
	s_waitcnt lgkmcnt(0)
	s_and_b32 s12, s2, 0xffff
	v_mov_b32_e32 v1, v2
	v_mov_b32_e32 v3, s6
	v_mad_u64_u32 v[0:1], s[2:3], s12, v3, v[0:1]
	s_mov_b32 s33, 0xffff
	v_lshlrev_b64 v[0:1], 2, v[0:1]
	v_cmp_gt_i64_e32 vcc, s[10:11], v[0:1]
	s_and_saveexec_b64 s[2:3], vcc
	s_cbranch_execz .LBB17_54
; %bb.1:
	s_load_dword s52, s[4:5], 0x1c0
	s_load_dwordx2 s[2:3], s[4:5], 0xd8
	s_load_dwordx2 s[18:19], s[4:5], 0x0
	s_load_dword s20, s[4:5], 0x1a8
	s_load_dword s13, s[0:1], 0x0
	s_add_u32 s53, s4, 0xd8
	s_addc_u32 s54, s5, 0
	s_waitcnt lgkmcnt(0)
	s_ashr_i32 s55, s52, 31
	s_ashr_i32 s21, s20, 31
	s_lshl_b64 s[0:1], s[20:21], 2
	s_add_u32 s16, s53, s0
	s_addc_u32 s17, s54, s1
	s_load_dwordx2 s[6:7], s[16:17], 0x0
	s_load_dwordx2 s[14:15], s[16:17], 0x64
	s_mul_i32 s22, s13, s12
	v_cmp_gt_i64_e64 s[12:13], s[20:21], 2
	s_mov_b32 s21, 0
	s_waitcnt lgkmcnt(0)
	s_ashr_i32 s56, s6, 31
	s_add_u32 s0, s4, s0
	s_addc_u32 s1, s5, s1
	s_load_dwordx2 s[16:17], s[0:1], 0x64
	s_add_i32 s57, s20, -3
	s_lshl_b32 s58, s22, 2
	s_and_b32 s59, s20, 3
	s_cmp_lg_u32 s59, 2
	s_cselect_b64 s[22:23], -1, 0
	s_cmp_gt_u32 s57, 2
	s_cselect_b64 s[24:25], -1, 0
	s_mov_b32 s26, s8
	s_mov_b32 s27, s9
	;; [unrolled: 1-line block ×8, first 2 shown]
	s_ashr_i32 s37, s15, 31
	s_mov_b32 s36, s15
	s_add_i32 s15, s15, s15
	s_waitcnt lgkmcnt(0)
	s_ashr_i32 s39, s17, 31
	s_mov_b32 s38, s17
	s_add_i32 s17, s17, s17
	s_mov_b64 s[40:41], 0
	s_mov_b32 s60, 0x5040100
	s_branch .LBB17_3
.LBB17_2:                               ;   in Loop: Header=BB17_3 Depth=1
	s_or_b64 exec, exec, s[0:1]
	v_add_co_u32_e32 v0, vcc, s58, v0
	v_addc_co_u32_e32 v1, vcc, 0, v1, vcc
	v_cmp_le_i64_e32 vcc, s[10:11], v[0:1]
	s_or_b64 s[40:41], vcc, s[40:41]
	s_andn2_b64 exec, exec, s[40:41]
	s_cbranch_execz .LBB17_54
.LBB17_3:                               ; =>This Loop Header: Depth=1
                                        ;     Child Loop BB17_13 Depth 2
                                        ;     Child Loop BB17_21 Depth 2
	v_or_b32_e32 v3, s55, v1
	v_cmp_ne_u64_e32 vcc, 0, v[2:3]
                                        ; implicit-def: $vgpr4_vgpr5
	s_and_saveexec_b64 s[0:1], vcc
	s_xor_b64 s[42:43], exec, s[0:1]
	s_cbranch_execz .LBB17_5
; %bb.4:                                ;   in Loop: Header=BB17_3 Depth=1
	s_ashr_i32 s44, s55, 31
	s_add_u32 s0, s52, s44
	s_mov_b32 s45, s44
	s_addc_u32 s1, s55, s44
	s_xor_b64 s[46:47], s[0:1], s[44:45]
	v_cvt_f32_u32_e32 v3, s46
	v_cvt_f32_u32_e32 v4, s47
	s_sub_u32 s20, 0, s46
	s_subb_u32 s45, 0, s47
	v_ashrrev_i32_e32 v7, 31, v1
	v_mac_f32_e32 v3, 0x4f800000, v4
	v_rcp_f32_e32 v3, v3
	v_mul_f32_e32 v3, 0x5f7ffffc, v3
	v_mul_f32_e32 v4, 0x2f800000, v3
	v_trunc_f32_e32 v4, v4
	v_mac_f32_e32 v3, 0xcf800000, v4
	v_cvt_u32_f32_e32 v4, v4
	v_cvt_u32_f32_e32 v3, v3
	v_readfirstlane_b32 s48, v4
	v_readfirstlane_b32 s0, v3
	s_mul_i32 s1, s20, s48
	s_mul_hi_u32 s50, s20, s0
	s_mul_i32 s49, s45, s0
	s_add_i32 s1, s50, s1
	s_add_i32 s1, s1, s49
	s_mul_i32 s51, s20, s0
	s_mul_i32 s50, s0, s1
	s_mul_hi_u32 s61, s0, s51
	s_mul_hi_u32 s49, s0, s1
	s_add_u32 s50, s61, s50
	s_addc_u32 s49, 0, s49
	s_mul_hi_u32 s62, s48, s51
	s_mul_i32 s51, s48, s51
	s_add_u32 s50, s50, s51
	s_mul_hi_u32 s61, s48, s1
	s_addc_u32 s49, s49, s62
	s_addc_u32 s50, s61, 0
	s_mul_i32 s1, s48, s1
	s_add_u32 s1, s49, s1
	s_addc_u32 s49, 0, s50
	s_add_u32 s50, s0, s1
	s_cselect_b64 s[0:1], -1, 0
	s_cmp_lg_u64 s[0:1], 0
	s_addc_u32 s48, s48, s49
	s_mul_i32 s0, s20, s48
	s_mul_hi_u32 s1, s20, s50
	s_add_i32 s0, s1, s0
	s_mul_i32 s45, s45, s50
	s_add_i32 s0, s0, s45
	s_mul_i32 s20, s20, s50
	s_mul_hi_u32 s45, s48, s20
	s_mul_i32 s49, s48, s20
	s_mul_i32 s61, s50, s0
	s_mul_hi_u32 s20, s50, s20
	s_mul_hi_u32 s51, s50, s0
	s_add_u32 s20, s20, s61
	s_addc_u32 s51, 0, s51
	s_add_u32 s20, s20, s49
	s_mul_hi_u32 s1, s48, s0
	s_addc_u32 s20, s51, s45
	s_addc_u32 s1, s1, 0
	s_mul_i32 s0, s48, s0
	s_add_u32 s0, s20, s0
	s_addc_u32 s20, 0, s1
	s_add_u32 s45, s50, s0
	s_cselect_b64 s[0:1], -1, 0
	s_cmp_lg_u64 s[0:1], 0
	v_add_co_u32_e32 v3, vcc, v0, v7
	s_addc_u32 s20, s48, s20
	v_xor_b32_e32 v8, v3, v7
	v_mad_u64_u32 v[3:4], s[0:1], v8, s20, 0
	v_mul_hi_u32 v6, v8, s45
	v_addc_co_u32_e32 v5, vcc, v1, v7, vcc
	v_xor_b32_e32 v9, v5, v7
	v_add_co_u32_e32 v10, vcc, v6, v3
	v_addc_co_u32_e32 v11, vcc, 0, v4, vcc
	v_mad_u64_u32 v[3:4], s[0:1], v9, s45, 0
	v_mad_u64_u32 v[5:6], s[0:1], v9, s20, 0
	v_add_co_u32_e32 v3, vcc, v10, v3
	v_addc_co_u32_e32 v3, vcc, v11, v4, vcc
	v_addc_co_u32_e32 v4, vcc, 0, v6, vcc
	v_add_co_u32_e32 v5, vcc, v3, v5
	v_addc_co_u32_e32 v6, vcc, 0, v4, vcc
	v_mul_lo_u32 v10, s47, v5
	v_mul_lo_u32 v11, s46, v6
	v_mad_u64_u32 v[3:4], s[0:1], s46, v5, 0
	v_add3_u32 v4, v4, v11, v10
	v_sub_u32_e32 v10, v9, v4
	v_mov_b32_e32 v11, s47
	v_sub_co_u32_e32 v3, vcc, v8, v3
	v_subb_co_u32_e64 v8, s[0:1], v10, v11, vcc
	v_subrev_co_u32_e64 v10, s[0:1], s46, v3
	v_subbrev_co_u32_e64 v8, s[0:1], 0, v8, s[0:1]
	v_cmp_le_u32_e64 s[0:1], s47, v8
	v_cndmask_b32_e64 v11, 0, -1, s[0:1]
	v_cmp_le_u32_e64 s[0:1], s46, v10
	v_cndmask_b32_e64 v10, 0, -1, s[0:1]
	v_cmp_eq_u32_e64 s[0:1], s47, v8
	v_cndmask_b32_e64 v8, v11, v10, s[0:1]
	v_add_co_u32_e64 v10, s[0:1], 2, v5
	v_subb_co_u32_e32 v4, vcc, v9, v4, vcc
	v_addc_co_u32_e64 v11, s[0:1], 0, v6, s[0:1]
	v_cmp_le_u32_e32 vcc, s47, v4
	v_add_co_u32_e64 v12, s[0:1], 1, v5
	v_cndmask_b32_e64 v9, 0, -1, vcc
	v_cmp_le_u32_e32 vcc, s46, v3
	v_addc_co_u32_e64 v13, s[0:1], 0, v6, s[0:1]
	v_cndmask_b32_e64 v3, 0, -1, vcc
	v_cmp_eq_u32_e32 vcc, s47, v4
	v_cmp_ne_u32_e64 s[0:1], 0, v8
	v_cndmask_b32_e32 v3, v9, v3, vcc
	v_cmp_ne_u32_e32 vcc, 0, v3
	v_cndmask_b32_e64 v4, v12, v10, s[0:1]
	v_cndmask_b32_e64 v8, v13, v11, s[0:1]
	v_cndmask_b32_e32 v4, v5, v4, vcc
	v_xor_b32_e32 v5, s44, v7
	v_cndmask_b32_e32 v3, v6, v8, vcc
	v_xor_b32_e32 v4, v4, v5
	v_xor_b32_e32 v3, v3, v5
	v_sub_co_u32_e32 v4, vcc, v4, v5
	v_subb_co_u32_e32 v5, vcc, v3, v5, vcc
.LBB17_5:                               ;   in Loop: Header=BB17_3 Depth=1
	s_andn2_saveexec_b64 s[0:1], s[42:43]
	s_cbranch_execz .LBB17_7
; %bb.6:                                ;   in Loop: Header=BB17_3 Depth=1
	v_cvt_f32_u32_e32 v3, s52
	s_sub_i32 s20, 0, s52
	v_rcp_iflag_f32_e32 v3, v3
	v_mul_f32_e32 v3, 0x4f7ffffe, v3
	v_cvt_u32_f32_e32 v3, v3
	v_mul_lo_u32 v4, s20, v3
	v_mul_hi_u32 v4, v3, v4
	v_add_u32_e32 v3, v3, v4
	v_mul_hi_u32 v3, v0, v3
	v_mul_lo_u32 v4, v3, s52
	v_add_u32_e32 v5, 1, v3
	v_sub_u32_e32 v4, v0, v4
	v_subrev_u32_e32 v6, s52, v4
	v_cmp_le_u32_e32 vcc, s52, v4
	v_cndmask_b32_e32 v4, v4, v6, vcc
	v_cndmask_b32_e32 v3, v3, v5, vcc
	v_add_u32_e32 v5, 1, v3
	v_cmp_le_u32_e32 vcc, s52, v4
	v_cndmask_b32_e32 v4, v3, v5, vcc
	v_mov_b32_e32 v5, v2
.LBB17_7:                               ;   in Loop: Header=BB17_3 Depth=1
	s_or_b64 exec, exec, s[0:1]
	v_or_b32_e32 v3, s56, v5
	v_cmp_ne_u64_e32 vcc, 0, v[2:3]
                                        ; implicit-def: $vgpr8_vgpr9
	s_and_saveexec_b64 s[0:1], vcc
	s_xor_b64 s[42:43], exec, s[0:1]
	s_cbranch_execz .LBB17_9
; %bb.8:                                ;   in Loop: Header=BB17_3 Depth=1
	s_ashr_i32 s44, s56, 31
	s_add_u32 s0, s6, s44
	s_mov_b32 s45, s44
	s_addc_u32 s1, s56, s44
	s_xor_b64 s[46:47], s[0:1], s[44:45]
	v_cvt_f32_u32_e32 v3, s46
	v_cvt_f32_u32_e32 v6, s47
	s_sub_u32 s20, 0, s46
	s_subb_u32 s45, 0, s47
	v_mac_f32_e32 v3, 0x4f800000, v6
	v_rcp_f32_e32 v3, v3
	v_mul_f32_e32 v3, 0x5f7ffffc, v3
	v_mul_f32_e32 v6, 0x2f800000, v3
	v_trunc_f32_e32 v6, v6
	v_mac_f32_e32 v3, 0xcf800000, v6
	v_cvt_u32_f32_e32 v6, v6
	v_cvt_u32_f32_e32 v3, v3
	v_readfirstlane_b32 s48, v6
	v_readfirstlane_b32 s0, v3
	s_mul_i32 s1, s20, s48
	s_mul_hi_u32 s50, s20, s0
	s_mul_i32 s49, s45, s0
	s_add_i32 s1, s50, s1
	s_add_i32 s1, s1, s49
	s_mul_i32 s51, s20, s0
	s_mul_i32 s50, s0, s1
	s_mul_hi_u32 s61, s0, s51
	s_mul_hi_u32 s49, s0, s1
	s_add_u32 s50, s61, s50
	s_addc_u32 s49, 0, s49
	s_mul_hi_u32 s62, s48, s51
	s_mul_i32 s51, s48, s51
	s_add_u32 s50, s50, s51
	s_mul_hi_u32 s61, s48, s1
	s_addc_u32 s49, s49, s62
	s_addc_u32 s50, s61, 0
	s_mul_i32 s1, s48, s1
	s_add_u32 s1, s49, s1
	s_addc_u32 s49, 0, s50
	s_add_u32 s50, s0, s1
	s_cselect_b64 s[0:1], -1, 0
	s_cmp_lg_u64 s[0:1], 0
	s_addc_u32 s48, s48, s49
	s_mul_i32 s0, s20, s48
	s_mul_hi_u32 s1, s20, s50
	s_add_i32 s0, s1, s0
	s_mul_i32 s45, s45, s50
	s_add_i32 s0, s0, s45
	s_mul_i32 s20, s20, s50
	s_mul_hi_u32 s45, s48, s20
	s_mul_i32 s49, s48, s20
	s_mul_i32 s61, s50, s0
	s_mul_hi_u32 s20, s50, s20
	s_mul_hi_u32 s51, s50, s0
	s_add_u32 s20, s20, s61
	s_addc_u32 s51, 0, s51
	s_add_u32 s20, s20, s49
	s_mul_hi_u32 s1, s48, s0
	s_addc_u32 s20, s51, s45
	s_addc_u32 s1, s1, 0
	s_mul_i32 s0, s48, s0
	s_add_u32 s0, s20, s0
	s_addc_u32 s20, 0, s1
	s_add_u32 s45, s50, s0
	s_cselect_b64 s[0:1], -1, 0
	v_ashrrev_i32_e32 v3, 31, v5
	s_cmp_lg_u64 s[0:1], 0
	v_add_co_u32_e32 v6, vcc, v4, v3
	s_addc_u32 s20, s48, s20
	v_xor_b32_e32 v9, v6, v3
	v_addc_co_u32_e32 v7, vcc, v5, v3, vcc
	v_mad_u64_u32 v[5:6], s[0:1], v9, s20, 0
	v_mul_hi_u32 v8, v9, s45
	v_xor_b32_e32 v10, v7, v3
	v_xor_b32_e32 v3, s44, v3
	v_add_co_u32_e32 v11, vcc, v8, v5
	v_addc_co_u32_e32 v12, vcc, 0, v6, vcc
	v_mad_u64_u32 v[5:6], s[0:1], v10, s45, 0
	v_mad_u64_u32 v[7:8], s[0:1], v10, s20, 0
	v_add_co_u32_e32 v5, vcc, v11, v5
	v_addc_co_u32_e32 v5, vcc, v12, v6, vcc
	v_addc_co_u32_e32 v6, vcc, 0, v8, vcc
	v_add_co_u32_e32 v7, vcc, v5, v7
	v_addc_co_u32_e32 v8, vcc, 0, v6, vcc
	v_mul_lo_u32 v11, s47, v7
	v_mul_lo_u32 v12, s46, v8
	v_mad_u64_u32 v[5:6], s[0:1], s46, v7, 0
	v_add3_u32 v6, v6, v12, v11
	v_sub_u32_e32 v11, v10, v6
	v_mov_b32_e32 v12, s47
	v_sub_co_u32_e32 v5, vcc, v9, v5
	v_subb_co_u32_e64 v9, s[0:1], v11, v12, vcc
	v_subrev_co_u32_e64 v11, s[0:1], s46, v5
	v_subbrev_co_u32_e64 v9, s[0:1], 0, v9, s[0:1]
	v_cmp_le_u32_e64 s[0:1], s47, v9
	v_cndmask_b32_e64 v12, 0, -1, s[0:1]
	v_cmp_le_u32_e64 s[0:1], s46, v11
	v_cndmask_b32_e64 v11, 0, -1, s[0:1]
	v_cmp_eq_u32_e64 s[0:1], s47, v9
	v_cndmask_b32_e64 v9, v12, v11, s[0:1]
	v_add_co_u32_e64 v11, s[0:1], 2, v7
	v_subb_co_u32_e32 v6, vcc, v10, v6, vcc
	v_addc_co_u32_e64 v12, s[0:1], 0, v8, s[0:1]
	v_cmp_le_u32_e32 vcc, s47, v6
	v_add_co_u32_e64 v13, s[0:1], 1, v7
	v_cndmask_b32_e64 v10, 0, -1, vcc
	v_cmp_le_u32_e32 vcc, s46, v5
	v_addc_co_u32_e64 v14, s[0:1], 0, v8, s[0:1]
	v_cndmask_b32_e64 v5, 0, -1, vcc
	v_cmp_eq_u32_e32 vcc, s47, v6
	v_cmp_ne_u32_e64 s[0:1], 0, v9
	v_cndmask_b32_e32 v5, v10, v5, vcc
	v_cmp_ne_u32_e32 vcc, 0, v5
	v_cndmask_b32_e64 v6, v13, v11, s[0:1]
	v_cndmask_b32_e64 v9, v14, v12, s[0:1]
	v_cndmask_b32_e32 v6, v7, v6, vcc
	v_cndmask_b32_e32 v5, v8, v9, vcc
	v_xor_b32_e32 v6, v6, v3
	v_xor_b32_e32 v5, v5, v3
	v_sub_co_u32_e32 v8, vcc, v6, v3
	v_subb_co_u32_e32 v9, vcc, v5, v3, vcc
.LBB17_9:                               ;   in Loop: Header=BB17_3 Depth=1
	s_andn2_saveexec_b64 s[0:1], s[42:43]
	s_cbranch_execz .LBB17_11
; %bb.10:                               ;   in Loop: Header=BB17_3 Depth=1
	v_cvt_f32_u32_e32 v3, s6
	s_sub_i32 s20, 0, s6
	v_mov_b32_e32 v9, v2
	v_rcp_iflag_f32_e32 v3, v3
	v_mul_f32_e32 v3, 0x4f7ffffe, v3
	v_cvt_u32_f32_e32 v3, v3
	v_mul_lo_u32 v5, s20, v3
	v_mul_hi_u32 v5, v3, v5
	v_add_u32_e32 v3, v3, v5
	v_mul_hi_u32 v3, v4, v3
	v_mul_lo_u32 v5, v3, s6
	v_add_u32_e32 v6, 1, v3
	v_sub_u32_e32 v5, v4, v5
	v_subrev_u32_e32 v7, s6, v5
	v_cmp_le_u32_e32 vcc, s6, v5
	v_cndmask_b32_e32 v5, v5, v7, vcc
	v_cndmask_b32_e32 v3, v3, v6, vcc
	v_add_u32_e32 v6, 1, v3
	v_cmp_le_u32_e32 vcc, s6, v5
	v_cndmask_b32_e32 v8, v3, v6, vcc
.LBB17_11:                              ;   in Loop: Header=BB17_3 Depth=1
	s_or_b64 exec, exec, s[0:1]
	v_mad_u64_u32 v[5:6], s[0:1], v4, s52, 0
	v_mad_u64_u32 v[6:7], s[0:1], v8, s6, 0
	v_sub_co_u32_e32 v18, vcc, v0, v5
	v_mul_lo_u32 v3, s36, v18
	v_sub_co_u32_e32 v19, vcc, v4, v6
	v_mul_lo_u32 v4, s38, v18
	s_andn2_b64 vcc, exec, s[12:13]
	v_mad_u64_u32 v[6:7], s[0:1], s14, v19, v[3:4]
	v_mad_u64_u32 v[4:5], s[0:1], s16, v19, v[4:5]
	s_cbranch_vccnz .LBB17_39
; %bb.12:                               ;   in Loop: Header=BB17_3 Depth=1
	s_mov_b32 s61, 1
	s_andn2_b64 vcc, exec, s[22:23]
	s_mov_b32 s20, s57
	s_mov_b32 s0, s57
	s_cbranch_vccnz .LBB17_20
.LBB17_13:                              ;   Parent Loop BB17_3 Depth=1
                                        ; =>  This Inner Loop Header: Depth=2
	s_lshl_b64 s[42:43], s[20:21], 2
	s_add_u32 s44, s53, s42
	s_addc_u32 s45, s54, s43
	s_load_dword s62, s[44:45], 0x8
                                        ; implicit-def: $vgpr10_vgpr11
	s_waitcnt lgkmcnt(0)
	s_ashr_i32 s0, s62, 31
	v_or_b32_e32 v3, s0, v9
	v_cmp_ne_u64_e32 vcc, 0, v[2:3]
	s_and_saveexec_b64 s[46:47], vcc
	s_xor_b64 s[46:47], exec, s[46:47]
	s_cbranch_execz .LBB17_15
; %bb.14:                               ;   in Loop: Header=BB17_13 Depth=2
	s_ashr_i32 s48, s0, 31
	s_add_u32 s50, s62, s48
	s_mov_b32 s49, s48
	s_addc_u32 s51, s0, s48
	s_xor_b64 s[50:51], s[50:51], s[48:49]
	v_cvt_f32_u32_e32 v3, s50
	v_cvt_f32_u32_e32 v5, s51
	s_sub_u32 s49, 0, s50
	s_subb_u32 s63, 0, s51
	v_mac_f32_e32 v3, 0x4f800000, v5
	v_rcp_f32_e32 v3, v3
	v_mul_f32_e32 v3, 0x5f7ffffc, v3
	v_mul_f32_e32 v5, 0x2f800000, v3
	v_trunc_f32_e32 v5, v5
	v_mac_f32_e32 v3, 0xcf800000, v5
	v_cvt_u32_f32_e32 v5, v5
	v_cvt_u32_f32_e32 v3, v3
	v_readfirstlane_b32 s64, v5
	v_readfirstlane_b32 s0, v3
	s_mul_i32 s1, s49, s64
	s_mul_hi_u32 s66, s49, s0
	s_mul_i32 s65, s63, s0
	s_add_i32 s1, s66, s1
	s_add_i32 s1, s1, s65
	s_mul_i32 s67, s49, s0
	s_mul_i32 s66, s0, s1
	s_mul_hi_u32 s68, s0, s67
	s_mul_hi_u32 s65, s0, s1
	s_add_u32 s66, s68, s66
	s_addc_u32 s65, 0, s65
	s_mul_hi_u32 s69, s64, s67
	s_mul_i32 s67, s64, s67
	s_add_u32 s66, s66, s67
	s_mul_hi_u32 s68, s64, s1
	s_addc_u32 s65, s65, s69
	s_addc_u32 s66, s68, 0
	s_mul_i32 s1, s64, s1
	s_add_u32 s1, s65, s1
	s_addc_u32 s65, 0, s66
	s_add_u32 s66, s0, s1
	s_cselect_b64 s[0:1], -1, 0
	s_cmp_lg_u64 s[0:1], 0
	s_addc_u32 s64, s64, s65
	s_mul_i32 s0, s49, s64
	s_mul_hi_u32 s1, s49, s66
	s_add_i32 s0, s1, s0
	s_mul_i32 s63, s63, s66
	s_add_i32 s0, s0, s63
	s_mul_i32 s49, s49, s66
	s_mul_hi_u32 s63, s64, s49
	s_mul_i32 s65, s64, s49
	s_mul_i32 s68, s66, s0
	s_mul_hi_u32 s49, s66, s49
	s_mul_hi_u32 s67, s66, s0
	s_add_u32 s49, s49, s68
	s_addc_u32 s67, 0, s67
	s_add_u32 s49, s49, s65
	s_mul_hi_u32 s1, s64, s0
	s_addc_u32 s49, s67, s63
	s_addc_u32 s1, s1, 0
	s_mul_i32 s0, s64, s0
	s_add_u32 s0, s49, s0
	s_addc_u32 s49, 0, s1
	s_add_u32 s63, s66, s0
	s_cselect_b64 s[0:1], -1, 0
	v_ashrrev_i32_e32 v3, 31, v9
	s_cmp_lg_u64 s[0:1], 0
	v_add_co_u32_e32 v5, vcc, v8, v3
	s_addc_u32 s49, s64, s49
	v_xor_b32_e32 v5, v5, v3
	v_addc_co_u32_e32 v7, vcc, v9, v3, vcc
	v_mad_u64_u32 v[9:10], s[0:1], v5, s49, 0
	v_mul_hi_u32 v11, v5, s63
	v_xor_b32_e32 v7, v7, v3
	v_xor_b32_e32 v3, s48, v3
	v_add_co_u32_e32 v13, vcc, v11, v9
	v_addc_co_u32_e32 v14, vcc, 0, v10, vcc
	v_mad_u64_u32 v[9:10], s[0:1], v7, s63, 0
	v_mad_u64_u32 v[11:12], s[0:1], v7, s49, 0
	v_add_co_u32_e32 v9, vcc, v13, v9
	v_addc_co_u32_e32 v9, vcc, v14, v10, vcc
	v_addc_co_u32_e32 v10, vcc, 0, v12, vcc
	v_add_co_u32_e32 v11, vcc, v9, v11
	v_addc_co_u32_e32 v12, vcc, 0, v10, vcc
	v_mul_lo_u32 v13, s51, v11
	v_mul_lo_u32 v14, s50, v12
	v_mad_u64_u32 v[9:10], s[0:1], s50, v11, 0
	v_add3_u32 v10, v10, v14, v13
	v_sub_u32_e32 v13, v7, v10
	v_mov_b32_e32 v14, s51
	v_sub_co_u32_e32 v5, vcc, v5, v9
	v_subb_co_u32_e64 v9, s[0:1], v13, v14, vcc
	v_subrev_co_u32_e64 v13, s[0:1], s50, v5
	v_subbrev_co_u32_e64 v9, s[0:1], 0, v9, s[0:1]
	v_cmp_le_u32_e64 s[0:1], s51, v9
	v_cndmask_b32_e64 v14, 0, -1, s[0:1]
	v_cmp_le_u32_e64 s[0:1], s50, v13
	v_cndmask_b32_e64 v13, 0, -1, s[0:1]
	v_cmp_eq_u32_e64 s[0:1], s51, v9
	v_cndmask_b32_e64 v9, v14, v13, s[0:1]
	v_add_co_u32_e64 v13, s[0:1], 2, v11
	v_subb_co_u32_e32 v7, vcc, v7, v10, vcc
	v_addc_co_u32_e64 v14, s[0:1], 0, v12, s[0:1]
	v_cmp_le_u32_e32 vcc, s51, v7
	v_add_co_u32_e64 v15, s[0:1], 1, v11
	v_cndmask_b32_e64 v10, 0, -1, vcc
	v_cmp_le_u32_e32 vcc, s50, v5
	v_addc_co_u32_e64 v16, s[0:1], 0, v12, s[0:1]
	v_cndmask_b32_e64 v5, 0, -1, vcc
	v_cmp_eq_u32_e32 vcc, s51, v7
	v_cmp_ne_u32_e64 s[0:1], 0, v9
	v_cndmask_b32_e32 v5, v10, v5, vcc
	v_cmp_ne_u32_e32 vcc, 0, v5
	v_cndmask_b32_e64 v7, v15, v13, s[0:1]
	v_cndmask_b32_e64 v9, v16, v14, s[0:1]
	v_cndmask_b32_e32 v7, v11, v7, vcc
	v_cndmask_b32_e32 v5, v12, v9, vcc
	v_xor_b32_e32 v7, v7, v3
	v_xor_b32_e32 v5, v5, v3
	v_sub_co_u32_e32 v10, vcc, v7, v3
	v_subb_co_u32_e32 v11, vcc, v5, v3, vcc
.LBB17_15:                              ;   in Loop: Header=BB17_13 Depth=2
	s_andn2_saveexec_b64 s[0:1], s[46:47]
	s_cbranch_execz .LBB17_17
; %bb.16:                               ;   in Loop: Header=BB17_13 Depth=2
	v_cvt_f32_u32_e32 v3, s62
	s_sub_i32 s46, 0, s62
	v_mov_b32_e32 v11, v2
	v_rcp_iflag_f32_e32 v3, v3
	v_mul_f32_e32 v3, 0x4f7ffffe, v3
	v_cvt_u32_f32_e32 v3, v3
	v_mul_lo_u32 v5, s46, v3
	v_mul_hi_u32 v5, v3, v5
	v_add_u32_e32 v3, v3, v5
	v_mul_hi_u32 v3, v8, v3
	v_mul_lo_u32 v5, v3, s62
	v_add_u32_e32 v7, 1, v3
	v_sub_u32_e32 v5, v8, v5
	v_subrev_u32_e32 v9, s62, v5
	v_cmp_le_u32_e32 vcc, s62, v5
	v_cndmask_b32_e32 v5, v5, v9, vcc
	v_cndmask_b32_e32 v3, v3, v7, vcc
	v_add_u32_e32 v7, 1, v3
	v_cmp_le_u32_e32 vcc, s62, v5
	v_cndmask_b32_e32 v10, v3, v7, vcc
.LBB17_17:                              ;   in Loop: Header=BB17_13 Depth=2
	s_or_b64 exec, exec, s[0:1]
	s_add_u32 s0, s4, s42
	s_addc_u32 s1, s5, s43
	v_mul_lo_u32 v3, v10, s62
	s_load_dword s44, s[44:45], 0x6c
	s_add_i32 s20, s20, -1
	s_load_dword s42, s[0:1], 0x6c
	v_sub_u32_e32 v3, v8, v3
	s_waitcnt lgkmcnt(0)
	v_mad_u64_u32 v[6:7], s[0:1], s44, v3, v[6:7]
	v_mad_u64_u32 v[4:5], s[0:1], s42, v3, v[4:5]
	s_xor_b32 s0, s59, s61
	s_add_i32 s61, s61, 1
	s_cmp_lg_u32 s0, 2
	s_cbranch_scc0 .LBB17_19
; %bb.18:                               ;   in Loop: Header=BB17_13 Depth=2
	v_mov_b32_e32 v8, v10
	v_mov_b32_e32 v9, v11
	s_branch .LBB17_13
.LBB17_19:                              ;   in Loop: Header=BB17_3 Depth=1
	v_mov_b32_e32 v8, v10
	s_mov_b32 s0, s20
	v_mov_b32_e32 v9, v11
.LBB17_20:                              ;   in Loop: Header=BB17_3 Depth=1
	s_and_b64 vcc, exec, s[24:25]
	s_mov_b32 s20, s0
	s_cbranch_vccz .LBB17_39
.LBB17_21:                              ;   Parent Loop BB17_3 Depth=1
                                        ; =>  This Inner Loop Header: Depth=2
	s_lshl_b64 s[42:43], s[20:21], 2
	s_add_u32 s44, s53, s42
	s_addc_u32 s45, s54, s43
	s_load_dword s61, s[44:45], 0x8
                                        ; implicit-def: $vgpr10_vgpr11
	s_waitcnt lgkmcnt(0)
	s_ashr_i32 s0, s61, 31
	v_or_b32_e32 v3, s0, v9
	v_cmp_ne_u64_e32 vcc, 0, v[2:3]
	s_and_saveexec_b64 s[46:47], vcc
	s_xor_b64 s[46:47], exec, s[46:47]
	s_cbranch_execz .LBB17_23
; %bb.22:                               ;   in Loop: Header=BB17_21 Depth=2
	s_ashr_i32 s48, s0, 31
	s_add_u32 s50, s61, s48
	s_mov_b32 s49, s48
	s_addc_u32 s51, s0, s48
	s_xor_b64 s[50:51], s[50:51], s[48:49]
	v_cvt_f32_u32_e32 v3, s50
	v_cvt_f32_u32_e32 v5, s51
	s_sub_u32 s49, 0, s50
	s_subb_u32 s62, 0, s51
	v_mac_f32_e32 v3, 0x4f800000, v5
	v_rcp_f32_e32 v3, v3
	v_mul_f32_e32 v3, 0x5f7ffffc, v3
	v_mul_f32_e32 v5, 0x2f800000, v3
	v_trunc_f32_e32 v5, v5
	v_mac_f32_e32 v3, 0xcf800000, v5
	v_cvt_u32_f32_e32 v5, v5
	v_cvt_u32_f32_e32 v3, v3
	v_readfirstlane_b32 s63, v5
	v_readfirstlane_b32 s0, v3
	s_mul_i32 s1, s49, s63
	s_mul_hi_u32 s65, s49, s0
	s_mul_i32 s64, s62, s0
	s_add_i32 s1, s65, s1
	s_add_i32 s1, s1, s64
	s_mul_i32 s66, s49, s0
	s_mul_i32 s65, s0, s1
	s_mul_hi_u32 s67, s0, s66
	s_mul_hi_u32 s64, s0, s1
	s_add_u32 s65, s67, s65
	s_addc_u32 s64, 0, s64
	s_mul_hi_u32 s68, s63, s66
	s_mul_i32 s66, s63, s66
	s_add_u32 s65, s65, s66
	s_mul_hi_u32 s67, s63, s1
	s_addc_u32 s64, s64, s68
	s_addc_u32 s65, s67, 0
	s_mul_i32 s1, s63, s1
	s_add_u32 s1, s64, s1
	s_addc_u32 s64, 0, s65
	s_add_u32 s65, s0, s1
	s_cselect_b64 s[0:1], -1, 0
	s_cmp_lg_u64 s[0:1], 0
	s_addc_u32 s63, s63, s64
	s_mul_i32 s0, s49, s63
	s_mul_hi_u32 s1, s49, s65
	s_add_i32 s0, s1, s0
	s_mul_i32 s62, s62, s65
	s_add_i32 s0, s0, s62
	s_mul_i32 s49, s49, s65
	s_mul_hi_u32 s62, s63, s49
	s_mul_i32 s64, s63, s49
	s_mul_i32 s67, s65, s0
	s_mul_hi_u32 s49, s65, s49
	s_mul_hi_u32 s66, s65, s0
	s_add_u32 s49, s49, s67
	s_addc_u32 s66, 0, s66
	s_add_u32 s49, s49, s64
	s_mul_hi_u32 s1, s63, s0
	s_addc_u32 s49, s66, s62
	s_addc_u32 s1, s1, 0
	s_mul_i32 s0, s63, s0
	s_add_u32 s0, s49, s0
	s_addc_u32 s49, 0, s1
	s_add_u32 s62, s65, s0
	s_cselect_b64 s[0:1], -1, 0
	v_ashrrev_i32_e32 v3, 31, v9
	s_cmp_lg_u64 s[0:1], 0
	v_add_co_u32_e32 v5, vcc, v8, v3
	s_addc_u32 s49, s63, s49
	v_xor_b32_e32 v5, v5, v3
	v_addc_co_u32_e32 v7, vcc, v9, v3, vcc
	v_mad_u64_u32 v[9:10], s[0:1], v5, s49, 0
	v_mul_hi_u32 v11, v5, s62
	v_xor_b32_e32 v7, v7, v3
	v_xor_b32_e32 v3, s48, v3
	v_add_co_u32_e32 v13, vcc, v11, v9
	v_addc_co_u32_e32 v14, vcc, 0, v10, vcc
	v_mad_u64_u32 v[9:10], s[0:1], v7, s62, 0
	v_mad_u64_u32 v[11:12], s[0:1], v7, s49, 0
	v_add_co_u32_e32 v9, vcc, v13, v9
	v_addc_co_u32_e32 v9, vcc, v14, v10, vcc
	v_addc_co_u32_e32 v10, vcc, 0, v12, vcc
	v_add_co_u32_e32 v11, vcc, v9, v11
	v_addc_co_u32_e32 v12, vcc, 0, v10, vcc
	v_mul_lo_u32 v13, s51, v11
	v_mul_lo_u32 v14, s50, v12
	v_mad_u64_u32 v[9:10], s[0:1], s50, v11, 0
	v_add3_u32 v10, v10, v14, v13
	v_sub_u32_e32 v13, v7, v10
	v_mov_b32_e32 v14, s51
	v_sub_co_u32_e32 v5, vcc, v5, v9
	v_subb_co_u32_e64 v9, s[0:1], v13, v14, vcc
	v_subrev_co_u32_e64 v13, s[0:1], s50, v5
	v_subbrev_co_u32_e64 v9, s[0:1], 0, v9, s[0:1]
	v_cmp_le_u32_e64 s[0:1], s51, v9
	v_cndmask_b32_e64 v14, 0, -1, s[0:1]
	v_cmp_le_u32_e64 s[0:1], s50, v13
	v_cndmask_b32_e64 v13, 0, -1, s[0:1]
	v_cmp_eq_u32_e64 s[0:1], s51, v9
	v_cndmask_b32_e64 v9, v14, v13, s[0:1]
	v_add_co_u32_e64 v13, s[0:1], 2, v11
	v_subb_co_u32_e32 v7, vcc, v7, v10, vcc
	v_addc_co_u32_e64 v14, s[0:1], 0, v12, s[0:1]
	v_cmp_le_u32_e32 vcc, s51, v7
	v_add_co_u32_e64 v15, s[0:1], 1, v11
	v_cndmask_b32_e64 v10, 0, -1, vcc
	v_cmp_le_u32_e32 vcc, s50, v5
	v_addc_co_u32_e64 v16, s[0:1], 0, v12, s[0:1]
	v_cndmask_b32_e64 v5, 0, -1, vcc
	v_cmp_eq_u32_e32 vcc, s51, v7
	v_cmp_ne_u32_e64 s[0:1], 0, v9
	v_cndmask_b32_e32 v5, v10, v5, vcc
	v_cmp_ne_u32_e32 vcc, 0, v5
	v_cndmask_b32_e64 v7, v15, v13, s[0:1]
	v_cndmask_b32_e64 v9, v16, v14, s[0:1]
	v_cndmask_b32_e32 v7, v11, v7, vcc
	v_cndmask_b32_e32 v5, v12, v9, vcc
	v_xor_b32_e32 v7, v7, v3
	v_xor_b32_e32 v5, v5, v3
	v_sub_co_u32_e32 v10, vcc, v7, v3
	v_subb_co_u32_e32 v11, vcc, v5, v3, vcc
.LBB17_23:                              ;   in Loop: Header=BB17_21 Depth=2
	s_andn2_saveexec_b64 s[0:1], s[46:47]
	s_cbranch_execz .LBB17_25
; %bb.24:                               ;   in Loop: Header=BB17_21 Depth=2
	v_cvt_f32_u32_e32 v3, s61
	s_sub_i32 s46, 0, s61
	v_mov_b32_e32 v11, v2
	v_rcp_iflag_f32_e32 v3, v3
	v_mul_f32_e32 v3, 0x4f7ffffe, v3
	v_cvt_u32_f32_e32 v3, v3
	v_mul_lo_u32 v5, s46, v3
	v_mul_hi_u32 v5, v3, v5
	v_add_u32_e32 v3, v3, v5
	v_mul_hi_u32 v3, v8, v3
	v_mul_lo_u32 v5, v3, s61
	v_add_u32_e32 v7, 1, v3
	v_sub_u32_e32 v5, v8, v5
	v_subrev_u32_e32 v9, s61, v5
	v_cmp_le_u32_e32 vcc, s61, v5
	v_cndmask_b32_e32 v5, v5, v9, vcc
	v_cndmask_b32_e32 v3, v3, v7, vcc
	v_add_u32_e32 v7, 1, v3
	v_cmp_le_u32_e32 vcc, s61, v5
	v_cndmask_b32_e32 v10, v3, v7, vcc
.LBB17_25:                              ;   in Loop: Header=BB17_21 Depth=2
	s_or_b64 exec, exec, s[0:1]
	s_add_u32 s0, s4, s42
	s_addc_u32 s1, s5, s43
	s_add_i32 s42, s20, -1
	s_mov_b32 s43, s21
	s_lshl_b64 s[46:47], s[42:43], 2
	s_add_u32 s42, s53, s46
	s_addc_u32 s43, s54, s47
	s_load_dword s64, s[42:43], 0x8
	s_load_dword s63, s[44:45], 0x6c
	s_load_dword s62, s[0:1], 0x6c
                                        ; implicit-def: $vgpr12_vgpr13
	s_waitcnt lgkmcnt(0)
	s_ashr_i32 s0, s64, 31
	v_or_b32_e32 v3, s0, v11
	v_cmp_ne_u64_e32 vcc, 0, v[2:3]
	s_and_saveexec_b64 s[44:45], vcc
	s_xor_b64 s[44:45], exec, s[44:45]
	s_cbranch_execz .LBB17_27
; %bb.26:                               ;   in Loop: Header=BB17_21 Depth=2
	s_ashr_i32 s48, s0, 31
	s_add_u32 s50, s64, s48
	s_mov_b32 s49, s48
	s_addc_u32 s51, s0, s48
	s_xor_b64 s[50:51], s[50:51], s[48:49]
	v_cvt_f32_u32_e32 v3, s50
	v_cvt_f32_u32_e32 v5, s51
	s_sub_u32 s49, 0, s50
	s_subb_u32 s65, 0, s51
	v_mac_f32_e32 v3, 0x4f800000, v5
	v_rcp_f32_e32 v3, v3
	v_mul_f32_e32 v3, 0x5f7ffffc, v3
	v_mul_f32_e32 v5, 0x2f800000, v3
	v_trunc_f32_e32 v5, v5
	v_mac_f32_e32 v3, 0xcf800000, v5
	v_cvt_u32_f32_e32 v5, v5
	v_cvt_u32_f32_e32 v3, v3
	v_readfirstlane_b32 s66, v5
	v_readfirstlane_b32 s0, v3
	s_mul_i32 s1, s49, s66
	s_mul_hi_u32 s68, s49, s0
	s_mul_i32 s67, s65, s0
	s_add_i32 s1, s68, s1
	s_add_i32 s1, s1, s67
	s_mul_i32 s69, s49, s0
	s_mul_i32 s68, s0, s1
	s_mul_hi_u32 s70, s0, s69
	s_mul_hi_u32 s67, s0, s1
	s_add_u32 s68, s70, s68
	s_addc_u32 s67, 0, s67
	s_mul_hi_u32 s71, s66, s69
	s_mul_i32 s69, s66, s69
	s_add_u32 s68, s68, s69
	s_mul_hi_u32 s70, s66, s1
	s_addc_u32 s67, s67, s71
	s_addc_u32 s68, s70, 0
	s_mul_i32 s1, s66, s1
	s_add_u32 s1, s67, s1
	s_addc_u32 s67, 0, s68
	s_add_u32 s68, s0, s1
	s_cselect_b64 s[0:1], -1, 0
	s_cmp_lg_u64 s[0:1], 0
	s_addc_u32 s66, s66, s67
	s_mul_i32 s0, s49, s66
	s_mul_hi_u32 s1, s49, s68
	s_add_i32 s0, s1, s0
	s_mul_i32 s65, s65, s68
	s_add_i32 s0, s0, s65
	s_mul_i32 s49, s49, s68
	s_mul_hi_u32 s65, s66, s49
	s_mul_i32 s67, s66, s49
	s_mul_i32 s70, s68, s0
	s_mul_hi_u32 s49, s68, s49
	s_mul_hi_u32 s69, s68, s0
	s_add_u32 s49, s49, s70
	s_addc_u32 s69, 0, s69
	s_add_u32 s49, s49, s67
	s_mul_hi_u32 s1, s66, s0
	s_addc_u32 s49, s69, s65
	s_addc_u32 s1, s1, 0
	s_mul_i32 s0, s66, s0
	s_add_u32 s0, s49, s0
	s_addc_u32 s49, 0, s1
	s_add_u32 s65, s68, s0
	s_cselect_b64 s[0:1], -1, 0
	v_ashrrev_i32_e32 v3, 31, v11
	s_cmp_lg_u64 s[0:1], 0
	v_add_co_u32_e32 v5, vcc, v10, v3
	s_addc_u32 s49, s66, s49
	v_xor_b32_e32 v5, v5, v3
	v_addc_co_u32_e32 v7, vcc, v11, v3, vcc
	v_mad_u64_u32 v[11:12], s[0:1], v5, s49, 0
	v_mul_hi_u32 v9, v5, s65
	v_xor_b32_e32 v7, v7, v3
	v_mad_u64_u32 v[13:14], s[0:1], v7, s49, 0
	v_add_co_u32_e32 v9, vcc, v9, v11
	v_addc_co_u32_e32 v15, vcc, 0, v12, vcc
	v_mad_u64_u32 v[11:12], s[0:1], v7, s65, 0
	v_xor_b32_e32 v3, s48, v3
	v_add_co_u32_e32 v9, vcc, v9, v11
	v_addc_co_u32_e32 v9, vcc, v15, v12, vcc
	v_addc_co_u32_e32 v11, vcc, 0, v14, vcc
	v_add_co_u32_e32 v9, vcc, v9, v13
	v_addc_co_u32_e32 v13, vcc, 0, v11, vcc
	v_mul_lo_u32 v14, s51, v9
	v_mul_lo_u32 v15, s50, v13
	v_mad_u64_u32 v[11:12], s[0:1], s50, v9, 0
	v_add3_u32 v12, v12, v15, v14
	v_sub_u32_e32 v14, v7, v12
	v_mov_b32_e32 v15, s51
	v_sub_co_u32_e32 v5, vcc, v5, v11
	v_subb_co_u32_e64 v11, s[0:1], v14, v15, vcc
	v_subrev_co_u32_e64 v14, s[0:1], s50, v5
	v_subbrev_co_u32_e64 v11, s[0:1], 0, v11, s[0:1]
	v_cmp_le_u32_e64 s[0:1], s51, v11
	v_cndmask_b32_e64 v15, 0, -1, s[0:1]
	v_cmp_le_u32_e64 s[0:1], s50, v14
	v_cndmask_b32_e64 v14, 0, -1, s[0:1]
	v_cmp_eq_u32_e64 s[0:1], s51, v11
	v_cndmask_b32_e64 v11, v15, v14, s[0:1]
	v_add_co_u32_e64 v14, s[0:1], 2, v9
	v_subb_co_u32_e32 v7, vcc, v7, v12, vcc
	v_addc_co_u32_e64 v15, s[0:1], 0, v13, s[0:1]
	v_cmp_le_u32_e32 vcc, s51, v7
	v_add_co_u32_e64 v16, s[0:1], 1, v9
	v_cndmask_b32_e64 v12, 0, -1, vcc
	v_cmp_le_u32_e32 vcc, s50, v5
	v_addc_co_u32_e64 v17, s[0:1], 0, v13, s[0:1]
	v_cndmask_b32_e64 v5, 0, -1, vcc
	v_cmp_eq_u32_e32 vcc, s51, v7
	v_cmp_ne_u32_e64 s[0:1], 0, v11
	v_cndmask_b32_e32 v5, v12, v5, vcc
	v_cmp_ne_u32_e32 vcc, 0, v5
	v_cndmask_b32_e64 v7, v16, v14, s[0:1]
	v_cndmask_b32_e64 v11, v17, v15, s[0:1]
	v_cndmask_b32_e32 v7, v9, v7, vcc
	v_cndmask_b32_e32 v5, v13, v11, vcc
	v_xor_b32_e32 v7, v7, v3
	v_xor_b32_e32 v5, v5, v3
	v_sub_co_u32_e32 v12, vcc, v7, v3
	v_subb_co_u32_e32 v13, vcc, v5, v3, vcc
.LBB17_27:                              ;   in Loop: Header=BB17_21 Depth=2
	s_andn2_saveexec_b64 s[0:1], s[44:45]
	s_cbranch_execz .LBB17_29
; %bb.28:                               ;   in Loop: Header=BB17_21 Depth=2
	v_cvt_f32_u32_e32 v3, s64
	s_sub_i32 s44, 0, s64
	v_mov_b32_e32 v13, v2
	v_rcp_iflag_f32_e32 v3, v3
	v_mul_f32_e32 v3, 0x4f7ffffe, v3
	v_cvt_u32_f32_e32 v3, v3
	v_mul_lo_u32 v5, s44, v3
	v_mul_hi_u32 v5, v3, v5
	v_add_u32_e32 v3, v3, v5
	v_mul_hi_u32 v3, v10, v3
	v_mul_lo_u32 v5, v3, s64
	v_add_u32_e32 v7, 1, v3
	v_sub_u32_e32 v5, v10, v5
	v_subrev_u32_e32 v9, s64, v5
	v_cmp_le_u32_e32 vcc, s64, v5
	v_cndmask_b32_e32 v5, v5, v9, vcc
	v_cndmask_b32_e32 v3, v3, v7, vcc
	v_add_u32_e32 v7, 1, v3
	v_cmp_le_u32_e32 vcc, s64, v5
	v_cndmask_b32_e32 v12, v3, v7, vcc
.LBB17_29:                              ;   in Loop: Header=BB17_21 Depth=2
	s_or_b64 exec, exec, s[0:1]
	s_add_u32 s0, s4, s46
	s_addc_u32 s1, s5, s47
	s_add_i32 s44, s20, -2
	s_mov_b32 s45, s21
	s_lshl_b64 s[44:45], s[44:45], 2
	s_add_u32 s46, s53, s44
	s_addc_u32 s47, s54, s45
	s_load_dword s66, s[46:47], 0x8
	s_load_dword s67, s[42:43], 0x6c
	;; [unrolled: 1-line block ×3, first 2 shown]
                                        ; implicit-def: $vgpr14_vgpr15
	s_waitcnt lgkmcnt(0)
	s_ashr_i32 s0, s66, 31
	v_or_b32_e32 v3, s0, v13
	v_cmp_ne_u64_e32 vcc, 0, v[2:3]
	s_and_saveexec_b64 s[42:43], vcc
	s_xor_b64 s[42:43], exec, s[42:43]
	s_cbranch_execz .LBB17_31
; %bb.30:                               ;   in Loop: Header=BB17_21 Depth=2
	s_ashr_i32 s48, s0, 31
	s_add_u32 s50, s66, s48
	s_mov_b32 s49, s48
	s_addc_u32 s51, s0, s48
	s_xor_b64 s[50:51], s[50:51], s[48:49]
	v_cvt_f32_u32_e32 v3, s50
	v_cvt_f32_u32_e32 v5, s51
	s_sub_u32 s49, 0, s50
	s_subb_u32 s68, 0, s51
	v_mac_f32_e32 v3, 0x4f800000, v5
	v_rcp_f32_e32 v3, v3
	v_mul_f32_e32 v3, 0x5f7ffffc, v3
	v_mul_f32_e32 v5, 0x2f800000, v3
	v_trunc_f32_e32 v5, v5
	v_mac_f32_e32 v3, 0xcf800000, v5
	v_cvt_u32_f32_e32 v5, v5
	v_cvt_u32_f32_e32 v3, v3
	v_readfirstlane_b32 s69, v5
	v_readfirstlane_b32 s0, v3
	s_mul_i32 s1, s49, s69
	s_mul_hi_u32 s71, s49, s0
	s_mul_i32 s70, s68, s0
	s_add_i32 s1, s71, s1
	s_add_i32 s1, s1, s70
	s_mul_i32 s72, s49, s0
	s_mul_i32 s71, s0, s1
	s_mul_hi_u32 s73, s0, s72
	s_mul_hi_u32 s70, s0, s1
	s_add_u32 s71, s73, s71
	s_addc_u32 s70, 0, s70
	s_mul_hi_u32 s74, s69, s72
	s_mul_i32 s72, s69, s72
	s_add_u32 s71, s71, s72
	s_mul_hi_u32 s73, s69, s1
	s_addc_u32 s70, s70, s74
	s_addc_u32 s71, s73, 0
	s_mul_i32 s1, s69, s1
	s_add_u32 s1, s70, s1
	s_addc_u32 s70, 0, s71
	s_add_u32 s71, s0, s1
	s_cselect_b64 s[0:1], -1, 0
	s_cmp_lg_u64 s[0:1], 0
	s_addc_u32 s69, s69, s70
	s_mul_i32 s0, s49, s69
	s_mul_hi_u32 s1, s49, s71
	s_add_i32 s0, s1, s0
	s_mul_i32 s68, s68, s71
	s_add_i32 s0, s0, s68
	s_mul_i32 s49, s49, s71
	s_mul_hi_u32 s68, s69, s49
	s_mul_i32 s70, s69, s49
	s_mul_i32 s73, s71, s0
	s_mul_hi_u32 s49, s71, s49
	s_mul_hi_u32 s72, s71, s0
	s_add_u32 s49, s49, s73
	s_addc_u32 s72, 0, s72
	s_add_u32 s49, s49, s70
	s_mul_hi_u32 s1, s69, s0
	s_addc_u32 s49, s72, s68
	s_addc_u32 s1, s1, 0
	s_mul_i32 s0, s69, s0
	s_add_u32 s0, s49, s0
	s_addc_u32 s49, 0, s1
	s_add_u32 s68, s71, s0
	s_cselect_b64 s[0:1], -1, 0
	v_ashrrev_i32_e32 v3, 31, v13
	s_cmp_lg_u64 s[0:1], 0
	v_add_co_u32_e32 v5, vcc, v12, v3
	s_addc_u32 s49, s69, s49
	v_xor_b32_e32 v5, v5, v3
	v_addc_co_u32_e32 v7, vcc, v13, v3, vcc
	v_mad_u64_u32 v[13:14], s[0:1], v5, s49, 0
	v_mul_hi_u32 v9, v5, s68
	v_xor_b32_e32 v7, v7, v3
	v_mad_u64_u32 v[15:16], s[0:1], v7, s49, 0
	v_add_co_u32_e32 v9, vcc, v9, v13
	v_addc_co_u32_e32 v11, vcc, 0, v14, vcc
	v_mad_u64_u32 v[13:14], s[0:1], v7, s68, 0
	v_xor_b32_e32 v3, s48, v3
	v_add_co_u32_e32 v9, vcc, v9, v13
	v_addc_co_u32_e32 v9, vcc, v11, v14, vcc
	v_addc_co_u32_e32 v11, vcc, 0, v16, vcc
	v_add_co_u32_e32 v9, vcc, v9, v15
	v_addc_co_u32_e32 v11, vcc, 0, v11, vcc
	v_mul_lo_u32 v15, s51, v9
	v_mul_lo_u32 v16, s50, v11
	v_mad_u64_u32 v[13:14], s[0:1], s50, v9, 0
	v_add3_u32 v14, v14, v16, v15
	v_sub_u32_e32 v15, v7, v14
	v_mov_b32_e32 v16, s51
	v_sub_co_u32_e32 v5, vcc, v5, v13
	v_subb_co_u32_e64 v13, s[0:1], v15, v16, vcc
	v_subrev_co_u32_e64 v15, s[0:1], s50, v5
	v_subbrev_co_u32_e64 v13, s[0:1], 0, v13, s[0:1]
	v_cmp_le_u32_e64 s[0:1], s51, v13
	v_cndmask_b32_e64 v16, 0, -1, s[0:1]
	v_cmp_le_u32_e64 s[0:1], s50, v15
	v_cndmask_b32_e64 v15, 0, -1, s[0:1]
	v_cmp_eq_u32_e64 s[0:1], s51, v13
	v_cndmask_b32_e64 v13, v16, v15, s[0:1]
	v_add_co_u32_e64 v15, s[0:1], 2, v9
	v_subb_co_u32_e32 v7, vcc, v7, v14, vcc
	v_addc_co_u32_e64 v16, s[0:1], 0, v11, s[0:1]
	v_cmp_le_u32_e32 vcc, s51, v7
	v_add_co_u32_e64 v17, s[0:1], 1, v9
	v_cndmask_b32_e64 v14, 0, -1, vcc
	v_cmp_le_u32_e32 vcc, s50, v5
	v_addc_co_u32_e64 v20, s[0:1], 0, v11, s[0:1]
	v_cndmask_b32_e64 v5, 0, -1, vcc
	v_cmp_eq_u32_e32 vcc, s51, v7
	v_cmp_ne_u32_e64 s[0:1], 0, v13
	v_cndmask_b32_e32 v5, v14, v5, vcc
	v_cmp_ne_u32_e32 vcc, 0, v5
	v_cndmask_b32_e64 v7, v17, v15, s[0:1]
	v_cndmask_b32_e64 v13, v20, v16, s[0:1]
	v_cndmask_b32_e32 v7, v9, v7, vcc
	v_cndmask_b32_e32 v5, v11, v13, vcc
	v_xor_b32_e32 v7, v7, v3
	v_xor_b32_e32 v5, v5, v3
	v_sub_co_u32_e32 v14, vcc, v7, v3
	v_subb_co_u32_e32 v15, vcc, v5, v3, vcc
.LBB17_31:                              ;   in Loop: Header=BB17_21 Depth=2
	s_andn2_saveexec_b64 s[0:1], s[42:43]
	s_cbranch_execz .LBB17_33
; %bb.32:                               ;   in Loop: Header=BB17_21 Depth=2
	v_cvt_f32_u32_e32 v3, s66
	s_sub_i32 s42, 0, s66
	v_mov_b32_e32 v15, v2
	v_rcp_iflag_f32_e32 v3, v3
	v_mul_f32_e32 v3, 0x4f7ffffe, v3
	v_cvt_u32_f32_e32 v3, v3
	v_mul_lo_u32 v5, s42, v3
	v_mul_hi_u32 v5, v3, v5
	v_add_u32_e32 v3, v3, v5
	v_mul_hi_u32 v3, v12, v3
	v_mul_lo_u32 v5, v3, s66
	v_add_u32_e32 v7, 1, v3
	v_sub_u32_e32 v5, v12, v5
	v_subrev_u32_e32 v9, s66, v5
	v_cmp_le_u32_e32 vcc, s66, v5
	v_cndmask_b32_e32 v5, v5, v9, vcc
	v_cndmask_b32_e32 v3, v3, v7, vcc
	v_add_u32_e32 v7, 1, v3
	v_cmp_le_u32_e32 vcc, s66, v5
	v_cndmask_b32_e32 v14, v3, v7, vcc
.LBB17_33:                              ;   in Loop: Header=BB17_21 Depth=2
	s_or_b64 exec, exec, s[0:1]
	s_add_u32 s0, s4, s44
	s_addc_u32 s1, s5, s45
	s_add_i32 s42, s20, -3
	s_mov_b32 s43, s21
	s_lshl_b64 s[42:43], s[42:43], 2
	s_add_u32 s44, s53, s42
	s_addc_u32 s45, s54, s43
	s_load_dword s69, s[44:45], 0x8
	s_load_dword s70, s[46:47], 0x6c
	;; [unrolled: 1-line block ×3, first 2 shown]
                                        ; implicit-def: $vgpr16_vgpr17
	s_waitcnt lgkmcnt(0)
	s_ashr_i32 s0, s69, 31
	v_or_b32_e32 v3, s0, v15
	v_cmp_ne_u64_e32 vcc, 0, v[2:3]
	s_and_saveexec_b64 s[46:47], vcc
	s_xor_b64 s[46:47], exec, s[46:47]
	s_cbranch_execz .LBB17_35
; %bb.34:                               ;   in Loop: Header=BB17_21 Depth=2
	s_ashr_i32 s48, s0, 31
	s_add_u32 s50, s69, s48
	s_mov_b32 s49, s48
	s_addc_u32 s51, s0, s48
	s_xor_b64 s[50:51], s[50:51], s[48:49]
	v_cvt_f32_u32_e32 v3, s50
	v_cvt_f32_u32_e32 v5, s51
	s_sub_u32 s49, 0, s50
	s_subb_u32 s71, 0, s51
	v_mac_f32_e32 v3, 0x4f800000, v5
	v_rcp_f32_e32 v3, v3
	v_mul_f32_e32 v3, 0x5f7ffffc, v3
	v_mul_f32_e32 v5, 0x2f800000, v3
	v_trunc_f32_e32 v5, v5
	v_mac_f32_e32 v3, 0xcf800000, v5
	v_cvt_u32_f32_e32 v5, v5
	v_cvt_u32_f32_e32 v3, v3
	v_readfirstlane_b32 s72, v5
	v_readfirstlane_b32 s0, v3
	s_mul_i32 s1, s49, s72
	s_mul_hi_u32 s74, s49, s0
	s_mul_i32 s73, s71, s0
	s_add_i32 s1, s74, s1
	s_add_i32 s1, s1, s73
	s_mul_i32 s75, s49, s0
	s_mul_i32 s74, s0, s1
	s_mul_hi_u32 s76, s0, s75
	s_mul_hi_u32 s73, s0, s1
	s_add_u32 s74, s76, s74
	s_addc_u32 s73, 0, s73
	s_mul_hi_u32 s77, s72, s75
	s_mul_i32 s75, s72, s75
	s_add_u32 s74, s74, s75
	s_mul_hi_u32 s76, s72, s1
	s_addc_u32 s73, s73, s77
	s_addc_u32 s74, s76, 0
	s_mul_i32 s1, s72, s1
	s_add_u32 s1, s73, s1
	s_addc_u32 s73, 0, s74
	s_add_u32 s74, s0, s1
	s_cselect_b64 s[0:1], -1, 0
	s_cmp_lg_u64 s[0:1], 0
	s_addc_u32 s72, s72, s73
	s_mul_i32 s0, s49, s72
	s_mul_hi_u32 s1, s49, s74
	s_add_i32 s0, s1, s0
	s_mul_i32 s71, s71, s74
	s_add_i32 s0, s0, s71
	s_mul_i32 s49, s49, s74
	s_mul_hi_u32 s71, s72, s49
	s_mul_i32 s73, s72, s49
	s_mul_i32 s76, s74, s0
	s_mul_hi_u32 s49, s74, s49
	s_mul_hi_u32 s75, s74, s0
	s_add_u32 s49, s49, s76
	s_addc_u32 s75, 0, s75
	s_add_u32 s49, s49, s73
	s_mul_hi_u32 s1, s72, s0
	s_addc_u32 s49, s75, s71
	s_addc_u32 s1, s1, 0
	s_mul_i32 s0, s72, s0
	s_add_u32 s0, s49, s0
	s_addc_u32 s49, 0, s1
	s_add_u32 s71, s74, s0
	s_cselect_b64 s[0:1], -1, 0
	v_ashrrev_i32_e32 v3, 31, v15
	s_cmp_lg_u64 s[0:1], 0
	v_add_co_u32_e32 v5, vcc, v14, v3
	s_addc_u32 s49, s72, s49
	v_xor_b32_e32 v5, v5, v3
	v_addc_co_u32_e32 v7, vcc, v15, v3, vcc
	v_mad_u64_u32 v[15:16], s[0:1], v5, s49, 0
	v_mul_hi_u32 v9, v5, s71
	v_xor_b32_e32 v7, v7, v3
	v_mad_u64_u32 v[20:21], s[0:1], v7, s49, 0
	v_add_co_u32_e32 v9, vcc, v9, v15
	v_addc_co_u32_e32 v11, vcc, 0, v16, vcc
	v_mad_u64_u32 v[15:16], s[0:1], v7, s71, 0
	v_xor_b32_e32 v3, s48, v3
	v_add_co_u32_e32 v9, vcc, v9, v15
	v_addc_co_u32_e32 v9, vcc, v11, v16, vcc
	v_addc_co_u32_e32 v11, vcc, 0, v21, vcc
	v_add_co_u32_e32 v9, vcc, v9, v20
	v_addc_co_u32_e32 v11, vcc, 0, v11, vcc
	v_mul_lo_u32 v13, s51, v9
	v_mul_lo_u32 v17, s50, v11
	v_mad_u64_u32 v[15:16], s[0:1], s50, v9, 0
	v_add3_u32 v13, v16, v17, v13
	v_sub_u32_e32 v16, v7, v13
	v_mov_b32_e32 v17, s51
	v_sub_co_u32_e32 v5, vcc, v5, v15
	v_subb_co_u32_e64 v15, s[0:1], v16, v17, vcc
	v_subrev_co_u32_e64 v16, s[0:1], s50, v5
	v_subbrev_co_u32_e64 v15, s[0:1], 0, v15, s[0:1]
	v_cmp_le_u32_e64 s[0:1], s51, v15
	v_cndmask_b32_e64 v17, 0, -1, s[0:1]
	v_cmp_le_u32_e64 s[0:1], s50, v16
	v_cndmask_b32_e64 v16, 0, -1, s[0:1]
	v_cmp_eq_u32_e64 s[0:1], s51, v15
	v_cndmask_b32_e64 v15, v17, v16, s[0:1]
	v_add_co_u32_e64 v16, s[0:1], 2, v9
	v_subb_co_u32_e32 v7, vcc, v7, v13, vcc
	v_addc_co_u32_e64 v17, s[0:1], 0, v11, s[0:1]
	v_cmp_le_u32_e32 vcc, s51, v7
	v_add_co_u32_e64 v20, s[0:1], 1, v9
	v_cndmask_b32_e64 v13, 0, -1, vcc
	v_cmp_le_u32_e32 vcc, s50, v5
	v_addc_co_u32_e64 v21, s[0:1], 0, v11, s[0:1]
	v_cndmask_b32_e64 v5, 0, -1, vcc
	v_cmp_eq_u32_e32 vcc, s51, v7
	v_cmp_ne_u32_e64 s[0:1], 0, v15
	v_cndmask_b32_e32 v5, v13, v5, vcc
	v_cmp_ne_u32_e32 vcc, 0, v5
	v_cndmask_b32_e64 v7, v20, v16, s[0:1]
	v_cndmask_b32_e64 v15, v21, v17, s[0:1]
	v_cndmask_b32_e32 v7, v9, v7, vcc
	v_cndmask_b32_e32 v5, v11, v15, vcc
	v_xor_b32_e32 v7, v7, v3
	v_xor_b32_e32 v5, v5, v3
	v_sub_co_u32_e32 v16, vcc, v7, v3
	v_subb_co_u32_e32 v17, vcc, v5, v3, vcc
.LBB17_35:                              ;   in Loop: Header=BB17_21 Depth=2
	s_andn2_saveexec_b64 s[0:1], s[46:47]
	s_cbranch_execz .LBB17_37
; %bb.36:                               ;   in Loop: Header=BB17_21 Depth=2
	v_cvt_f32_u32_e32 v3, s69
	s_sub_i32 s46, 0, s69
	v_mov_b32_e32 v17, v2
	v_rcp_iflag_f32_e32 v3, v3
	v_mul_f32_e32 v3, 0x4f7ffffe, v3
	v_cvt_u32_f32_e32 v3, v3
	v_mul_lo_u32 v5, s46, v3
	v_mul_hi_u32 v5, v3, v5
	v_add_u32_e32 v3, v3, v5
	v_mul_hi_u32 v3, v14, v3
	v_mul_lo_u32 v5, v3, s69
	v_add_u32_e32 v7, 1, v3
	v_sub_u32_e32 v5, v14, v5
	v_subrev_u32_e32 v9, s69, v5
	v_cmp_le_u32_e32 vcc, s69, v5
	v_cndmask_b32_e32 v5, v5, v9, vcc
	v_cndmask_b32_e32 v3, v3, v7, vcc
	v_add_u32_e32 v7, 1, v3
	v_cmp_le_u32_e32 vcc, s69, v5
	v_cndmask_b32_e32 v16, v3, v7, vcc
.LBB17_37:                              ;   in Loop: Header=BB17_21 Depth=2
	s_or_b64 exec, exec, s[0:1]
	v_mul_lo_u32 v3, v10, s61
	v_mul_lo_u32 v5, v12, s64
	;; [unrolled: 1-line block ×3, first 2 shown]
	s_add_u32 s0, s4, s42
	v_sub_u32_e32 v3, v8, v3
	v_sub_u32_e32 v5, v10, v5
	v_mul_lo_u32 v7, s63, v3
	v_mul_lo_u32 v8, s67, v5
	s_addc_u32 s1, s5, s43
	s_load_dword s44, s[44:45], 0x6c
	v_mul_lo_u32 v3, s62, v3
	v_add3_u32 v6, v7, v6, v8
	v_sub_u32_e32 v7, v12, v9
	v_mul_lo_u32 v9, v16, s69
	s_load_dword s0, s[0:1], 0x6c
	v_mul_lo_u32 v5, s65, v5
	v_mul_lo_u32 v8, s70, v7
	v_sub_u32_e32 v9, v14, v9
	s_waitcnt lgkmcnt(0)
	v_mul_lo_u32 v10, s44, v9
	v_add3_u32 v3, v3, v4, v5
	v_mul_lo_u32 v4, s68, v7
	v_mul_lo_u32 v5, s0, v9
	s_add_i32 s20, s20, -4
	v_add3_u32 v6, v8, v6, v10
	s_cmp_eq_u32 s20, -1
	v_add3_u32 v4, v4, v3, v5
	s_cbranch_scc1 .LBB17_39
; %bb.38:                               ;   in Loop: Header=BB17_21 Depth=2
	v_mov_b32_e32 v8, v16
	v_mov_b32_e32 v9, v17
	s_branch .LBB17_21
.LBB17_39:                              ;   in Loop: Header=BB17_3 Depth=1
	v_sub_u32_e32 v8, v18, v19
	v_ashrrev_i32_e32 v9, 31, v8
	v_cmp_ge_i64_e32 vcc, s[8:9], v[8:9]
	v_mov_b32_e32 v7, 0
	v_mov_b32_e32 v3, 0
	s_and_saveexec_b64 s[42:43], vcc
	s_cbranch_execz .LBB17_49
; %bb.40:                               ;   in Loop: Header=BB17_3 Depth=1
	v_cmp_gt_i32_e32 vcc, s7, v18
	v_mov_b32_e32 v3, 0
	v_mov_b32_e32 v7, 0
	s_and_saveexec_b64 s[0:1], vcc
	s_cbranch_execz .LBB17_48
; %bb.41:                               ;   in Loop: Header=BB17_3 Depth=1
	v_ashrrev_i32_e32 v7, 31, v6
	v_lshlrev_b64 v[10:11], 1, v[6:7]
	v_mov_b32_e32 v3, s3
	v_add_co_u32_e32 v10, vcc, s2, v10
	v_addc_co_u32_e32 v11, vcc, v3, v11, vcc
	global_load_ushort v3, v[10:11], off
	v_add_u32_e32 v5, 1, v18
	v_cmp_gt_i32_e32 vcc, s7, v5
	v_mov_b32_e32 v7, 0
	s_waitcnt vmcnt(0)
	v_and_b32_e32 v3, 0xffff, v3
	s_and_saveexec_b64 s[44:45], vcc
	s_xor_b64 s[44:45], exec, s[44:45]
	s_cbranch_execz .LBB17_47
; %bb.42:                               ;   in Loop: Header=BB17_3 Depth=1
	s_lshl_b64 s[46:47], s[36:37], 1
	v_mov_b32_e32 v5, s47
	v_add_co_u32_e32 v10, vcc, s46, v10
	v_addc_co_u32_e32 v11, vcc, v11, v5, vcc
	global_load_ushort v5, v[10:11], off
	v_add_u32_e32 v10, 2, v18
	v_mov_b32_e32 v7, 0
	v_cmp_gt_i32_e32 vcc, s7, v10
	s_waitcnt vmcnt(0)
	v_perm_b32 v3, v5, v3, s60
	s_and_saveexec_b64 s[46:47], vcc
	s_xor_b64 s[46:47], exec, s[46:47]
	s_cbranch_execz .LBB17_46
; %bb.43:                               ;   in Loop: Header=BB17_3 Depth=1
	v_add_u32_e32 v5, s15, v6
	v_ashrrev_i32_e32 v6, 31, v5
	v_lshlrev_b64 v[6:7], 1, v[5:6]
	v_mov_b32_e32 v10, s3
	v_add_co_u32_e32 v6, vcc, s2, v6
	v_addc_co_u32_e32 v7, vcc, v10, v7, vcc
	global_load_ushort v6, v[6:7], off
	v_add_u32_e32 v10, 3, v18
	v_cmp_gt_i32_e32 vcc, s7, v10
	s_waitcnt vmcnt(0)
	v_bfi_b32 v7, s33, v6, 0
	s_and_saveexec_b64 s[48:49], vcc
	s_xor_b64 s[48:49], exec, s[48:49]
	s_cbranch_execz .LBB17_45
; %bb.44:                               ;   in Loop: Header=BB17_3 Depth=1
	v_add_u32_e32 v5, s36, v5
	v_ashrrev_i32_e32 v6, 31, v5
	v_lshlrev_b64 v[5:6], 1, v[5:6]
	v_mov_b32_e32 v10, s3
	v_add_co_u32_e32 v5, vcc, s2, v5
	v_addc_co_u32_e32 v6, vcc, v10, v6, vcc
	global_load_ushort v5, v[5:6], off
	s_waitcnt vmcnt(0)
	v_perm_b32 v7, v5, v7, s60
.LBB17_45:                              ;   in Loop: Header=BB17_3 Depth=1
	s_or_b64 exec, exec, s[48:49]
.LBB17_46:                              ;   in Loop: Header=BB17_3 Depth=1
	s_or_b64 exec, exec, s[46:47]
.LBB17_47:                              ;   in Loop: Header=BB17_3 Depth=1
	s_or_b64 exec, exec, s[44:45]
.LBB17_48:                              ;   in Loop: Header=BB17_3 Depth=1
	s_or_b64 exec, exec, s[0:1]
	v_add_u32_e32 v10, 2, v8
	v_add_u32_e32 v12, 3, v8
	v_ashrrev_i32_e32 v13, 31, v12
	v_ashrrev_i32_e32 v11, 31, v10
	v_add_u32_e32 v5, 1, v8
	v_cmp_ge_i64_e32 vcc, s[34:35], v[12:13]
	v_cmp_ge_i64_e64 s[0:1], s[30:31], v[10:11]
	v_ashrrev_i32_e32 v6, 31, v5
	v_cndmask_b32_e64 v10, 0, v7, s[0:1]
	v_cndmask_b32_sdwa v7, v2, v7, vcc dst_sel:DWORD dst_unused:UNUSED_PAD src0_sel:DWORD src1_sel:WORD_1
	v_cmp_ge_i64_e32 vcc, s[28:29], v[5:6]
	v_cmp_ge_i64_e64 s[0:1], s[26:27], v[8:9]
	v_perm_b32 v7, v7, v10, s60
	v_cndmask_b32_e64 v5, 0, v3, s[0:1]
	v_cndmask_b32_sdwa v3, v2, v3, vcc dst_sel:DWORD dst_unused:UNUSED_PAD src0_sel:DWORD src1_sel:WORD_1
	v_perm_b32 v3, v3, v5, s60
.LBB17_49:                              ;   in Loop: Header=BB17_3 Depth=1
	s_or_b64 exec, exec, s[42:43]
	v_cmp_gt_i32_e32 vcc, s7, v18
	s_and_saveexec_b64 s[0:1], vcc
	s_cbranch_execz .LBB17_2
; %bb.50:                               ;   in Loop: Header=BB17_3 Depth=1
	v_ashrrev_i32_e32 v5, 31, v4
	v_lshlrev_b64 v[5:6], 1, v[4:5]
	v_mov_b32_e32 v8, s19
	v_add_co_u32_e32 v5, vcc, s18, v5
	v_addc_co_u32_e32 v6, vcc, v8, v6, vcc
	v_add_u32_e32 v8, 1, v18
	v_cmp_gt_i32_e32 vcc, s7, v8
	global_store_short v[5:6], v3, off
	s_and_saveexec_b64 s[42:43], vcc
	s_xor_b64 s[42:43], exec, s[42:43]
	s_cbranch_execz .LBB17_2
; %bb.51:                               ;   in Loop: Header=BB17_3 Depth=1
	s_lshl_b64 s[42:43], s[38:39], 1
	v_mov_b32_e32 v8, s43
	v_add_co_u32_e32 v5, vcc, s42, v5
	v_addc_co_u32_e32 v6, vcc, v6, v8, vcc
	global_store_short_d16_hi v[5:6], v3, off
	v_add_u32_e32 v3, 2, v18
	v_cmp_gt_i32_e32 vcc, s7, v3
	s_and_saveexec_b64 s[42:43], vcc
	s_xor_b64 s[42:43], exec, s[42:43]
	s_cbranch_execz .LBB17_2
; %bb.52:                               ;   in Loop: Header=BB17_3 Depth=1
	v_add_u32_e32 v3, s17, v4
	v_ashrrev_i32_e32 v4, 31, v3
	v_lshlrev_b64 v[4:5], 1, v[3:4]
	v_mov_b32_e32 v6, s19
	v_add_co_u32_e32 v4, vcc, s18, v4
	v_addc_co_u32_e32 v5, vcc, v6, v5, vcc
	global_store_short v[4:5], v7, off
	v_add_u32_e32 v4, 3, v18
	v_cmp_gt_i32_e32 vcc, s7, v4
	s_and_saveexec_b64 s[42:43], vcc
	s_xor_b64 s[42:43], exec, s[42:43]
	s_cbranch_execz .LBB17_2
; %bb.53:                               ;   in Loop: Header=BB17_3 Depth=1
	v_add_u32_e32 v3, s38, v3
	v_ashrrev_i32_e32 v4, 31, v3
	v_lshlrev_b64 v[3:4], 1, v[3:4]
	v_mov_b32_e32 v5, s19
	v_add_co_u32_e32 v3, vcc, s18, v3
	v_addc_co_u32_e32 v4, vcc, v5, v4, vcc
	global_store_short_d16_hi v[3:4], v7, off
	s_branch .LBB17_2
.LBB17_54:
	s_endpgm
	.section	.rodata,"a",@progbits
	.p2align	6, 0x0
	.amdhsa_kernel _ZN2at6native16triu_tril_kernelIsiLb0ELi4ELb0EEEvNS_4cuda6detail10TensorInfoIT_T0_EENS4_IKS5_S6_EEllS6_
		.amdhsa_group_segment_fixed_size 0
		.amdhsa_private_segment_fixed_size 0
		.amdhsa_kernarg_size 712
		.amdhsa_user_sgpr_count 6
		.amdhsa_user_sgpr_private_segment_buffer 1
		.amdhsa_user_sgpr_dispatch_ptr 0
		.amdhsa_user_sgpr_queue_ptr 0
		.amdhsa_user_sgpr_kernarg_segment_ptr 1
		.amdhsa_user_sgpr_dispatch_id 0
		.amdhsa_user_sgpr_flat_scratch_init 0
		.amdhsa_user_sgpr_private_segment_size 0
		.amdhsa_uses_dynamic_stack 0
		.amdhsa_system_sgpr_private_segment_wavefront_offset 0
		.amdhsa_system_sgpr_workgroup_id_x 1
		.amdhsa_system_sgpr_workgroup_id_y 0
		.amdhsa_system_sgpr_workgroup_id_z 0
		.amdhsa_system_sgpr_workgroup_info 0
		.amdhsa_system_vgpr_workitem_id 0
		.amdhsa_next_free_vgpr 22
		.amdhsa_next_free_sgpr 78
		.amdhsa_reserve_vcc 1
		.amdhsa_reserve_flat_scratch 0
		.amdhsa_float_round_mode_32 0
		.amdhsa_float_round_mode_16_64 0
		.amdhsa_float_denorm_mode_32 3
		.amdhsa_float_denorm_mode_16_64 3
		.amdhsa_dx10_clamp 1
		.amdhsa_ieee_mode 1
		.amdhsa_fp16_overflow 0
		.amdhsa_exception_fp_ieee_invalid_op 0
		.amdhsa_exception_fp_denorm_src 0
		.amdhsa_exception_fp_ieee_div_zero 0
		.amdhsa_exception_fp_ieee_overflow 0
		.amdhsa_exception_fp_ieee_underflow 0
		.amdhsa_exception_fp_ieee_inexact 0
		.amdhsa_exception_int_div_zero 0
	.end_amdhsa_kernel
	.section	.text._ZN2at6native16triu_tril_kernelIsiLb0ELi4ELb0EEEvNS_4cuda6detail10TensorInfoIT_T0_EENS4_IKS5_S6_EEllS6_,"axG",@progbits,_ZN2at6native16triu_tril_kernelIsiLb0ELi4ELb0EEEvNS_4cuda6detail10TensorInfoIT_T0_EENS4_IKS5_S6_EEllS6_,comdat
.Lfunc_end17:
	.size	_ZN2at6native16triu_tril_kernelIsiLb0ELi4ELb0EEEvNS_4cuda6detail10TensorInfoIT_T0_EENS4_IKS5_S6_EEllS6_, .Lfunc_end17-_ZN2at6native16triu_tril_kernelIsiLb0ELi4ELb0EEEvNS_4cuda6detail10TensorInfoIT_T0_EENS4_IKS5_S6_EEllS6_
                                        ; -- End function
	.set _ZN2at6native16triu_tril_kernelIsiLb0ELi4ELb0EEEvNS_4cuda6detail10TensorInfoIT_T0_EENS4_IKS5_S6_EEllS6_.num_vgpr, 22
	.set _ZN2at6native16triu_tril_kernelIsiLb0ELi4ELb0EEEvNS_4cuda6detail10TensorInfoIT_T0_EENS4_IKS5_S6_EEllS6_.num_agpr, 0
	.set _ZN2at6native16triu_tril_kernelIsiLb0ELi4ELb0EEEvNS_4cuda6detail10TensorInfoIT_T0_EENS4_IKS5_S6_EEllS6_.numbered_sgpr, 78
	.set _ZN2at6native16triu_tril_kernelIsiLb0ELi4ELb0EEEvNS_4cuda6detail10TensorInfoIT_T0_EENS4_IKS5_S6_EEllS6_.num_named_barrier, 0
	.set _ZN2at6native16triu_tril_kernelIsiLb0ELi4ELb0EEEvNS_4cuda6detail10TensorInfoIT_T0_EENS4_IKS5_S6_EEllS6_.private_seg_size, 0
	.set _ZN2at6native16triu_tril_kernelIsiLb0ELi4ELb0EEEvNS_4cuda6detail10TensorInfoIT_T0_EENS4_IKS5_S6_EEllS6_.uses_vcc, 1
	.set _ZN2at6native16triu_tril_kernelIsiLb0ELi4ELb0EEEvNS_4cuda6detail10TensorInfoIT_T0_EENS4_IKS5_S6_EEllS6_.uses_flat_scratch, 0
	.set _ZN2at6native16triu_tril_kernelIsiLb0ELi4ELb0EEEvNS_4cuda6detail10TensorInfoIT_T0_EENS4_IKS5_S6_EEllS6_.has_dyn_sized_stack, 0
	.set _ZN2at6native16triu_tril_kernelIsiLb0ELi4ELb0EEEvNS_4cuda6detail10TensorInfoIT_T0_EENS4_IKS5_S6_EEllS6_.has_recursion, 0
	.set _ZN2at6native16triu_tril_kernelIsiLb0ELi4ELb0EEEvNS_4cuda6detail10TensorInfoIT_T0_EENS4_IKS5_S6_EEllS6_.has_indirect_call, 0
	.section	.AMDGPU.csdata,"",@progbits
; Kernel info:
; codeLenInByte = 6748
; TotalNumSgprs: 82
; NumVgprs: 22
; ScratchSize: 0
; MemoryBound: 0
; FloatMode: 240
; IeeeMode: 1
; LDSByteSize: 0 bytes/workgroup (compile time only)
; SGPRBlocks: 10
; VGPRBlocks: 5
; NumSGPRsForWavesPerEU: 82
; NumVGPRsForWavesPerEU: 22
; Occupancy: 9
; WaveLimiterHint : 1
; COMPUTE_PGM_RSRC2:SCRATCH_EN: 0
; COMPUTE_PGM_RSRC2:USER_SGPR: 6
; COMPUTE_PGM_RSRC2:TRAP_HANDLER: 0
; COMPUTE_PGM_RSRC2:TGID_X_EN: 1
; COMPUTE_PGM_RSRC2:TGID_Y_EN: 0
; COMPUTE_PGM_RSRC2:TGID_Z_EN: 0
; COMPUTE_PGM_RSRC2:TIDIG_COMP_CNT: 0
	.section	.text._ZN2at6native16triu_tril_kernelIslLb0ELi4ELb1EEEvNS_4cuda6detail10TensorInfoIT_T0_EENS4_IKS5_S6_EEllS6_,"axG",@progbits,_ZN2at6native16triu_tril_kernelIslLb0ELi4ELb1EEEvNS_4cuda6detail10TensorInfoIT_T0_EENS4_IKS5_S6_EEllS6_,comdat
	.protected	_ZN2at6native16triu_tril_kernelIslLb0ELi4ELb1EEEvNS_4cuda6detail10TensorInfoIT_T0_EENS4_IKS5_S6_EEllS6_ ; -- Begin function _ZN2at6native16triu_tril_kernelIslLb0ELi4ELb1EEEvNS_4cuda6detail10TensorInfoIT_T0_EENS4_IKS5_S6_EEllS6_
	.globl	_ZN2at6native16triu_tril_kernelIslLb0ELi4ELb1EEEvNS_4cuda6detail10TensorInfoIT_T0_EENS4_IKS5_S6_EEllS6_
	.p2align	8
	.type	_ZN2at6native16triu_tril_kernelIslLb0ELi4ELb1EEEvNS_4cuda6detail10TensorInfoIT_T0_EENS4_IKS5_S6_EEllS6_,@function
_ZN2at6native16triu_tril_kernelIslLb0ELi4ELb1EEEvNS_4cuda6detail10TensorInfoIT_T0_EENS4_IKS5_S6_EEllS6_: ; @_ZN2at6native16triu_tril_kernelIslLb0ELi4ELb1EEEvNS_4cuda6detail10TensorInfoIT_T0_EENS4_IKS5_S6_EEllS6_
; %bb.0:
	s_load_dword s2, s[4:5], 0x364
	s_load_dwordx4 s[8:11], s[4:5], 0x340
	s_add_u32 s0, s4, 0x358
	v_mov_b32_e32 v2, 0
	s_addc_u32 s1, s5, 0
	s_waitcnt lgkmcnt(0)
	s_and_b32 s2, s2, 0xffff
	v_mov_b32_e32 v1, v2
	v_mov_b32_e32 v3, s6
	v_mad_u64_u32 v[0:1], s[6:7], s2, v3, v[0:1]
	v_lshlrev_b64 v[0:1], 2, v[0:1]
	v_cmp_gt_i64_e32 vcc, s[10:11], v[0:1]
	s_and_saveexec_b64 s[6:7], vcc
	s_cbranch_execz .LBB18_49
; %bb.1:
	s_load_dword s1, s[0:1], 0x0
	s_add_u32 s34, s4, 0x1a0
	s_load_dword s0, s[4:5], 0x338
	s_addc_u32 s35, s5, 0
	s_load_dwordx2 s[6:7], s[4:5], 0x350
	s_load_dwordx2 s[12:13], s[4:5], 0x0
	s_waitcnt lgkmcnt(0)
	s_mul_i32 s24, s1, s2
	s_mov_b32 s25, 0
	s_add_i32 s2, s0, -2
	s_ashr_i32 s3, s2, 31
	s_ashr_i32 s1, s0, 31
	s_lshl_b64 s[16:17], s[2:3], 3
	s_add_u32 s16, s34, s16
	s_addc_u32 s17, s35, s17
	s_lshl_b64 s[22:23], s[0:1], 3
	s_add_u32 s18, s4, s22
	s_addc_u32 s19, s5, s23
	s_add_i32 s20, s0, -3
	s_ashr_i32 s21, s20, 31
	s_add_u32 s22, s34, s22
	v_cmp_gt_i64_e64 s[14:15], s[0:1], 2
	s_addc_u32 s23, s35, s23
	s_lshl_b32 s33, s24, 2
	s_and_b32 s24, s2, 3
	s_and_b32 s0, s20, 3
	s_cmp_lg_u32 s0, 3
	s_cselect_b64 s[26:27], -1, 0
	s_cmp_gt_u32 s20, 2
	s_cselect_b64 s[28:29], -1, 0
	s_lshl_b64 s[0:1], s[20:21], 3
	s_add_u32 s2, s4, s0
	s_addc_u32 s3, s5, s1
	s_add_u32 s30, s2, 0xd0
	s_addc_u32 s31, s3, 0
	;; [unrolled: 2-line block ×3, first 2 shown]
	s_add_u32 s34, s0, 8
	s_load_dwordx2 s[16:17], s[16:17], 0x8
	s_addc_u32 s35, s1, 0
	s_add_u32 s64, s4, 0xb8
	s_addc_u32 s65, s5, 0
	s_add_u32 s66, s4, 0x190
	s_addc_u32 s67, s5, 0
	s_mov_b64 s[4:5], 0
	s_branch .LBB18_3
.LBB18_2:                               ;   in Loop: Header=BB18_3 Depth=1
	s_or_b64 exec, exec, s[36:37]
	v_add_co_u32_e32 v0, vcc, s33, v0
	v_addc_co_u32_e32 v1, vcc, 0, v1, vcc
	v_cmp_le_i64_e32 vcc, s[10:11], v[0:1]
	s_or_b64 s[4:5], vcc, s[4:5]
	s_andn2_b64 exec, exec, s[4:5]
	s_cbranch_execz .LBB18_49
.LBB18_3:                               ; =>This Loop Header: Depth=1
                                        ;     Child Loop BB18_17 Depth 2
                                        ;     Child Loop BB18_22 Depth 2
	v_or_b32_e32 v3, s7, v1
	v_cmp_ne_u64_e32 vcc, 0, v[2:3]
                                        ; implicit-def: $vgpr6_vgpr7
	s_and_saveexec_b64 s[0:1], vcc
	s_xor_b64 s[2:3], exec, s[0:1]
	s_cbranch_execz .LBB18_5
; %bb.4:                                ;   in Loop: Header=BB18_3 Depth=1
	s_ashr_i32 s36, s7, 31
	s_add_u32 s0, s6, s36
	s_mov_b32 s37, s36
	s_addc_u32 s1, s7, s36
	s_xor_b64 s[38:39], s[0:1], s[36:37]
	v_cvt_f32_u32_e32 v3, s38
	v_cvt_f32_u32_e32 v4, s39
	s_sub_u32 s37, 0, s38
	s_subb_u32 s40, 0, s39
	v_ashrrev_i32_e32 v7, 31, v1
	v_mac_f32_e32 v3, 0x4f800000, v4
	v_rcp_f32_e32 v3, v3
	v_mul_f32_e32 v3, 0x5f7ffffc, v3
	v_mul_f32_e32 v4, 0x2f800000, v3
	v_trunc_f32_e32 v4, v4
	v_mac_f32_e32 v3, 0xcf800000, v4
	v_cvt_u32_f32_e32 v4, v4
	v_cvt_u32_f32_e32 v3, v3
	v_readfirstlane_b32 s41, v4
	v_readfirstlane_b32 s0, v3
	s_mul_i32 s1, s37, s41
	s_mul_hi_u32 s43, s37, s0
	s_mul_i32 s42, s40, s0
	s_add_i32 s1, s43, s1
	s_add_i32 s1, s1, s42
	s_mul_i32 s44, s37, s0
	s_mul_i32 s43, s0, s1
	s_mul_hi_u32 s45, s0, s44
	s_mul_hi_u32 s42, s0, s1
	s_add_u32 s43, s45, s43
	s_addc_u32 s42, 0, s42
	s_mul_hi_u32 s46, s41, s44
	s_mul_i32 s44, s41, s44
	s_add_u32 s43, s43, s44
	s_mul_hi_u32 s45, s41, s1
	s_addc_u32 s42, s42, s46
	s_addc_u32 s43, s45, 0
	s_mul_i32 s1, s41, s1
	s_add_u32 s1, s42, s1
	s_addc_u32 s42, 0, s43
	s_add_u32 s43, s0, s1
	s_cselect_b64 s[0:1], -1, 0
	s_cmp_lg_u64 s[0:1], 0
	s_addc_u32 s41, s41, s42
	s_mul_i32 s0, s37, s41
	s_mul_hi_u32 s1, s37, s43
	s_add_i32 s0, s1, s0
	s_mul_i32 s40, s40, s43
	s_add_i32 s0, s0, s40
	s_mul_i32 s37, s37, s43
	s_mul_hi_u32 s40, s41, s37
	s_mul_i32 s42, s41, s37
	s_mul_i32 s45, s43, s0
	s_mul_hi_u32 s37, s43, s37
	s_mul_hi_u32 s44, s43, s0
	s_add_u32 s37, s37, s45
	s_addc_u32 s44, 0, s44
	s_add_u32 s37, s37, s42
	s_mul_hi_u32 s1, s41, s0
	s_addc_u32 s37, s44, s40
	s_addc_u32 s1, s1, 0
	s_mul_i32 s0, s41, s0
	s_add_u32 s0, s37, s0
	s_addc_u32 s37, 0, s1
	s_add_u32 s40, s43, s0
	s_cselect_b64 s[0:1], -1, 0
	s_cmp_lg_u64 s[0:1], 0
	v_add_co_u32_e32 v3, vcc, v0, v7
	s_addc_u32 s37, s41, s37
	v_xor_b32_e32 v8, v3, v7
	v_mad_u64_u32 v[3:4], s[0:1], v8, s37, 0
	v_mul_hi_u32 v6, v8, s40
	v_addc_co_u32_e32 v5, vcc, v1, v7, vcc
	v_xor_b32_e32 v9, v5, v7
	v_add_co_u32_e32 v10, vcc, v6, v3
	v_addc_co_u32_e32 v11, vcc, 0, v4, vcc
	v_mad_u64_u32 v[3:4], s[0:1], v9, s40, 0
	v_mad_u64_u32 v[5:6], s[0:1], v9, s37, 0
	v_add_co_u32_e32 v3, vcc, v10, v3
	v_addc_co_u32_e32 v3, vcc, v11, v4, vcc
	v_addc_co_u32_e32 v4, vcc, 0, v6, vcc
	v_add_co_u32_e32 v5, vcc, v3, v5
	v_addc_co_u32_e32 v6, vcc, 0, v4, vcc
	v_mul_lo_u32 v10, s39, v5
	v_mul_lo_u32 v11, s38, v6
	v_mad_u64_u32 v[3:4], s[0:1], s38, v5, 0
	v_add3_u32 v4, v4, v11, v10
	v_sub_u32_e32 v10, v9, v4
	v_mov_b32_e32 v11, s39
	v_sub_co_u32_e32 v3, vcc, v8, v3
	v_subb_co_u32_e64 v8, s[0:1], v10, v11, vcc
	v_subrev_co_u32_e64 v10, s[0:1], s38, v3
	v_subbrev_co_u32_e64 v8, s[0:1], 0, v8, s[0:1]
	v_cmp_le_u32_e64 s[0:1], s39, v8
	v_cndmask_b32_e64 v11, 0, -1, s[0:1]
	v_cmp_le_u32_e64 s[0:1], s38, v10
	v_cndmask_b32_e64 v10, 0, -1, s[0:1]
	v_cmp_eq_u32_e64 s[0:1], s39, v8
	v_cndmask_b32_e64 v8, v11, v10, s[0:1]
	v_add_co_u32_e64 v10, s[0:1], 2, v5
	v_subb_co_u32_e32 v4, vcc, v9, v4, vcc
	v_addc_co_u32_e64 v11, s[0:1], 0, v6, s[0:1]
	v_cmp_le_u32_e32 vcc, s39, v4
	v_add_co_u32_e64 v12, s[0:1], 1, v5
	v_cndmask_b32_e64 v9, 0, -1, vcc
	v_cmp_le_u32_e32 vcc, s38, v3
	v_addc_co_u32_e64 v13, s[0:1], 0, v6, s[0:1]
	v_cndmask_b32_e64 v3, 0, -1, vcc
	v_cmp_eq_u32_e32 vcc, s39, v4
	v_cmp_ne_u32_e64 s[0:1], 0, v8
	v_cndmask_b32_e32 v3, v9, v3, vcc
	v_cmp_ne_u32_e32 vcc, 0, v3
	v_cndmask_b32_e64 v4, v12, v10, s[0:1]
	v_cndmask_b32_e64 v8, v13, v11, s[0:1]
	v_cndmask_b32_e32 v4, v5, v4, vcc
	v_xor_b32_e32 v5, s36, v7
	v_cndmask_b32_e32 v3, v6, v8, vcc
	v_xor_b32_e32 v4, v4, v5
	v_xor_b32_e32 v3, v3, v5
	v_sub_co_u32_e32 v6, vcc, v4, v5
	v_subb_co_u32_e32 v7, vcc, v3, v5, vcc
.LBB18_5:                               ;   in Loop: Header=BB18_3 Depth=1
	s_andn2_saveexec_b64 s[0:1], s[2:3]
	s_cbranch_execz .LBB18_7
; %bb.6:                                ;   in Loop: Header=BB18_3 Depth=1
	v_cvt_f32_u32_e32 v3, s6
	s_sub_i32 s2, 0, s6
	v_mov_b32_e32 v7, v2
	v_rcp_iflag_f32_e32 v3, v3
	v_mul_f32_e32 v3, 0x4f7ffffe, v3
	v_cvt_u32_f32_e32 v3, v3
	v_mul_lo_u32 v4, s2, v3
	v_mul_hi_u32 v4, v3, v4
	v_add_u32_e32 v3, v3, v4
	v_mul_hi_u32 v3, v0, v3
	v_mul_lo_u32 v4, v3, s6
	v_add_u32_e32 v5, 1, v3
	v_sub_u32_e32 v4, v0, v4
	v_subrev_u32_e32 v6, s6, v4
	v_cmp_le_u32_e32 vcc, s6, v4
	v_cndmask_b32_e32 v4, v4, v6, vcc
	v_cndmask_b32_e32 v3, v3, v5, vcc
	v_add_u32_e32 v5, 1, v3
	v_cmp_le_u32_e32 vcc, s6, v4
	v_cndmask_b32_e32 v6, v3, v5, vcc
.LBB18_7:                               ;   in Loop: Header=BB18_3 Depth=1
	s_or_b64 exec, exec, s[0:1]
	s_waitcnt lgkmcnt(0)
	v_or_b32_e32 v3, s17, v7
	v_cmp_ne_u64_e32 vcc, 0, v[2:3]
                                        ; implicit-def: $vgpr10_vgpr11
	s_and_saveexec_b64 s[0:1], vcc
	s_xor_b64 s[2:3], exec, s[0:1]
	s_cbranch_execz .LBB18_9
; %bb.8:                                ;   in Loop: Header=BB18_3 Depth=1
	s_ashr_i32 s36, s17, 31
	s_add_u32 s0, s16, s36
	s_mov_b32 s37, s36
	s_addc_u32 s1, s17, s36
	s_xor_b64 s[38:39], s[0:1], s[36:37]
	v_cvt_f32_u32_e32 v3, s38
	v_cvt_f32_u32_e32 v4, s39
	s_sub_u32 s37, 0, s38
	s_subb_u32 s40, 0, s39
	v_ashrrev_i32_e32 v5, 31, v7
	v_mac_f32_e32 v3, 0x4f800000, v4
	v_rcp_f32_e32 v3, v3
	v_mul_f32_e32 v3, 0x5f7ffffc, v3
	v_mul_f32_e32 v4, 0x2f800000, v3
	v_trunc_f32_e32 v4, v4
	v_mac_f32_e32 v3, 0xcf800000, v4
	v_cvt_u32_f32_e32 v4, v4
	v_cvt_u32_f32_e32 v3, v3
	v_readfirstlane_b32 s41, v4
	v_readfirstlane_b32 s0, v3
	s_mul_i32 s1, s37, s41
	s_mul_hi_u32 s43, s37, s0
	s_mul_i32 s42, s40, s0
	s_add_i32 s1, s43, s1
	s_add_i32 s1, s1, s42
	s_mul_i32 s44, s37, s0
	s_mul_i32 s43, s0, s1
	s_mul_hi_u32 s45, s0, s44
	s_mul_hi_u32 s42, s0, s1
	s_add_u32 s43, s45, s43
	s_addc_u32 s42, 0, s42
	s_mul_hi_u32 s46, s41, s44
	s_mul_i32 s44, s41, s44
	s_add_u32 s43, s43, s44
	s_mul_hi_u32 s45, s41, s1
	s_addc_u32 s42, s42, s46
	s_addc_u32 s43, s45, 0
	s_mul_i32 s1, s41, s1
	s_add_u32 s1, s42, s1
	s_addc_u32 s42, 0, s43
	s_add_u32 s43, s0, s1
	s_cselect_b64 s[0:1], -1, 0
	s_cmp_lg_u64 s[0:1], 0
	s_addc_u32 s41, s41, s42
	s_mul_i32 s0, s37, s41
	s_mul_hi_u32 s1, s37, s43
	s_add_i32 s0, s1, s0
	s_mul_i32 s40, s40, s43
	s_add_i32 s0, s0, s40
	s_mul_i32 s37, s37, s43
	s_mul_hi_u32 s40, s41, s37
	s_mul_i32 s42, s41, s37
	s_mul_i32 s45, s43, s0
	s_mul_hi_u32 s37, s43, s37
	s_mul_hi_u32 s44, s43, s0
	s_add_u32 s37, s37, s45
	s_addc_u32 s44, 0, s44
	s_add_u32 s37, s37, s42
	s_mul_hi_u32 s1, s41, s0
	s_addc_u32 s37, s44, s40
	s_addc_u32 s1, s1, 0
	s_mul_i32 s0, s41, s0
	s_add_u32 s0, s37, s0
	s_addc_u32 s37, 0, s1
	s_add_u32 s40, s43, s0
	s_cselect_b64 s[0:1], -1, 0
	s_cmp_lg_u64 s[0:1], 0
	v_add_co_u32_e32 v3, vcc, v6, v5
	s_addc_u32 s37, s41, s37
	v_xor_b32_e32 v10, v3, v5
	v_mad_u64_u32 v[3:4], s[0:1], v10, s37, 0
	v_mul_hi_u32 v9, v10, s40
	v_addc_co_u32_e32 v8, vcc, v7, v5, vcc
	v_xor_b32_e32 v11, v8, v5
	v_add_co_u32_e32 v12, vcc, v9, v3
	v_addc_co_u32_e32 v13, vcc, 0, v4, vcc
	v_mad_u64_u32 v[3:4], s[0:1], v11, s40, 0
	v_mad_u64_u32 v[8:9], s[0:1], v11, s37, 0
	v_add_co_u32_e32 v3, vcc, v12, v3
	v_addc_co_u32_e32 v3, vcc, v13, v4, vcc
	v_addc_co_u32_e32 v4, vcc, 0, v9, vcc
	v_add_co_u32_e32 v8, vcc, v3, v8
	v_addc_co_u32_e32 v9, vcc, 0, v4, vcc
	v_mul_lo_u32 v12, s39, v8
	v_mul_lo_u32 v13, s38, v9
	v_mad_u64_u32 v[3:4], s[0:1], s38, v8, 0
	v_xor_b32_e32 v5, s36, v5
	v_add3_u32 v4, v4, v13, v12
	v_sub_u32_e32 v12, v11, v4
	v_mov_b32_e32 v13, s39
	v_sub_co_u32_e32 v3, vcc, v10, v3
	v_subb_co_u32_e64 v10, s[0:1], v12, v13, vcc
	v_subrev_co_u32_e64 v12, s[0:1], s38, v3
	v_subbrev_co_u32_e64 v10, s[0:1], 0, v10, s[0:1]
	v_cmp_le_u32_e64 s[0:1], s39, v10
	v_cndmask_b32_e64 v13, 0, -1, s[0:1]
	v_cmp_le_u32_e64 s[0:1], s38, v12
	v_cndmask_b32_e64 v12, 0, -1, s[0:1]
	v_cmp_eq_u32_e64 s[0:1], s39, v10
	v_cndmask_b32_e64 v10, v13, v12, s[0:1]
	v_add_co_u32_e64 v12, s[0:1], 2, v8
	v_subb_co_u32_e32 v4, vcc, v11, v4, vcc
	v_addc_co_u32_e64 v13, s[0:1], 0, v9, s[0:1]
	v_cmp_le_u32_e32 vcc, s39, v4
	v_add_co_u32_e64 v14, s[0:1], 1, v8
	v_cndmask_b32_e64 v11, 0, -1, vcc
	v_cmp_le_u32_e32 vcc, s38, v3
	v_addc_co_u32_e64 v15, s[0:1], 0, v9, s[0:1]
	v_cndmask_b32_e64 v3, 0, -1, vcc
	v_cmp_eq_u32_e32 vcc, s39, v4
	v_cmp_ne_u32_e64 s[0:1], 0, v10
	v_cndmask_b32_e32 v3, v11, v3, vcc
	v_cmp_ne_u32_e32 vcc, 0, v3
	v_cndmask_b32_e64 v4, v14, v12, s[0:1]
	v_cndmask_b32_e64 v10, v15, v13, s[0:1]
	v_cndmask_b32_e32 v4, v8, v4, vcc
	v_cndmask_b32_e32 v3, v9, v10, vcc
	v_xor_b32_e32 v4, v4, v5
	v_xor_b32_e32 v3, v3, v5
	v_sub_co_u32_e32 v10, vcc, v4, v5
	v_subb_co_u32_e32 v11, vcc, v3, v5, vcc
.LBB18_9:                               ;   in Loop: Header=BB18_3 Depth=1
	s_andn2_saveexec_b64 s[0:1], s[2:3]
	s_cbranch_execz .LBB18_11
; %bb.10:                               ;   in Loop: Header=BB18_3 Depth=1
	v_cvt_f32_u32_e32 v3, s16
	s_sub_i32 s2, 0, s16
	v_mov_b32_e32 v11, v2
	v_rcp_iflag_f32_e32 v3, v3
	v_mul_f32_e32 v3, 0x4f7ffffe, v3
	v_cvt_u32_f32_e32 v3, v3
	v_mul_lo_u32 v4, s2, v3
	v_mul_hi_u32 v4, v3, v4
	v_add_u32_e32 v3, v3, v4
	v_mul_hi_u32 v3, v6, v3
	v_mul_lo_u32 v4, v3, s16
	v_add_u32_e32 v5, 1, v3
	v_sub_u32_e32 v4, v6, v4
	v_subrev_u32_e32 v8, s16, v4
	v_cmp_le_u32_e32 vcc, s16, v4
	v_cndmask_b32_e32 v4, v4, v8, vcc
	v_cndmask_b32_e32 v3, v3, v5, vcc
	v_add_u32_e32 v5, 1, v3
	v_cmp_le_u32_e32 vcc, s16, v4
	v_cndmask_b32_e32 v10, v3, v5, vcc
.LBB18_11:                              ;   in Loop: Header=BB18_3 Depth=1
	s_or_b64 exec, exec, s[0:1]
	v_mul_lo_u32 v5, v7, s6
	v_mul_lo_u32 v8, v6, s7
	v_mad_u64_u32 v[3:4], s[0:1], v6, s6, 0
	v_mul_lo_u32 v12, v11, s16
	v_mul_lo_u32 v13, v10, s17
	v_add3_u32 v5, v4, v8, v5
	v_mad_u64_u32 v[8:9], s[0:1], v10, s16, 0
	v_sub_co_u32_e32 v4, vcc, v0, v3
	v_subb_co_u32_e32 v5, vcc, v1, v5, vcc
	v_add3_u32 v3, v9, v13, v12
	v_sub_co_u32_e32 v20, vcc, v6, v8
	v_subb_co_u32_e32 v21, vcc, v7, v3, vcc
	v_sub_co_u32_e32 v6, vcc, v4, v20
	v_subb_co_u32_e32 v7, vcc, v5, v21, vcc
	v_add_co_u32_e32 v8, vcc, 4, v6
	v_addc_co_u32_e32 v9, vcc, 0, v7, vcc
	v_cmp_lt_i64_e32 vcc, s[8:9], v[8:9]
	s_and_saveexec_b64 s[36:37], vcc
	s_cbranch_execz .LBB18_2
; %bb.12:                               ;   in Loop: Header=BB18_3 Depth=1
	s_load_dwordx4 s[0:3], s[18:19], 0xc0
	s_andn2_b64 vcc, exec, s[14:15]
	s_waitcnt lgkmcnt(0)
	v_mul_lo_u32 v3, s3, v4
	v_mul_lo_u32 v12, s2, v5
	v_mad_u64_u32 v[8:9], s[38:39], s2, v4, 0
	v_mul_lo_u32 v13, s0, v21
	v_add3_u32 v9, v9, v12, v3
	v_mad_u64_u32 v[8:9], s[38:39], s0, v20, v[8:9]
	v_mul_lo_u32 v3, s1, v20
	v_add3_u32 v9, v3, v9, v13
	s_cbranch_vccnz .LBB18_38
; %bb.13:                               ;   in Loop: Header=BB18_3 Depth=1
	s_andn2_b64 vcc, exec, s[26:27]
	s_mov_b64 s[38:39], s[24:25]
	s_mov_b64 s[40:41], s[34:35]
	;; [unrolled: 1-line block ×4, first 2 shown]
	s_cbranch_vccz .LBB18_17
.LBB18_14:                              ;   in Loop: Header=BB18_3 Depth=1
	s_andn2_b64 vcc, exec, s[28:29]
	s_cbranch_vccnz .LBB18_38
; %bb.15:                               ;   in Loop: Header=BB18_3 Depth=1
	s_lshl_b64 s[0:1], s[42:43], 3
	s_add_u32 s38, s64, s0
	s_addc_u32 s39, s65, s1
	s_add_u32 s40, s66, s0
	s_addc_u32 s41, s67, s1
	s_add_u32 s42, s42, 1
	s_addc_u32 s43, s43, 0
	s_branch .LBB18_22
.LBB18_16:                              ;   in Loop: Header=BB18_17 Depth=2
	s_or_b64 exec, exec, s[0:1]
	v_mul_lo_u32 v3, v13, s46
	v_mul_lo_u32 v16, v12, s47
	v_mad_u64_u32 v[14:15], s[0:1], v12, s46, 0
	s_load_dwordx2 s[0:1], s[44:45], 0x0
	s_add_u32 s42, s42, -1
	v_add3_u32 v3, v15, v16, v3
	v_sub_co_u32_e32 v10, vcc, v10, v14
	s_addc_u32 s43, s43, -1
	v_subb_co_u32_e32 v3, vcc, v11, v3, vcc
	s_add_u32 s44, s44, -8
	s_waitcnt lgkmcnt(0)
	v_mul_lo_u32 v3, s0, v3
	v_mul_lo_u32 v11, s1, v10
	v_mad_u64_u32 v[8:9], s[0:1], s0, v10, v[8:9]
	s_addc_u32 s45, s45, -1
	s_add_u32 s40, s40, -8
	s_addc_u32 s41, s41, -1
	s_add_u32 s38, s38, -1
	s_addc_u32 s39, s39, -1
	v_add3_u32 v9, v11, v9, v3
	v_mov_b32_e32 v10, v12
	s_cmp_lg_u64 s[38:39], 0
	v_mov_b32_e32 v11, v13
	s_cbranch_scc0 .LBB18_14
.LBB18_17:                              ;   Parent Loop BB18_3 Depth=1
                                        ; =>  This Inner Loop Header: Depth=2
	s_load_dwordx2 s[46:47], s[40:41], 0x0
                                        ; implicit-def: $vgpr12_vgpr13
	s_waitcnt lgkmcnt(0)
	v_or_b32_e32 v3, s47, v11
	v_cmp_ne_u64_e32 vcc, 0, v[2:3]
	s_and_saveexec_b64 s[0:1], vcc
	s_xor_b64 s[48:49], exec, s[0:1]
	s_cbranch_execz .LBB18_19
; %bb.18:                               ;   in Loop: Header=BB18_17 Depth=2
	s_ashr_i32 s50, s47, 31
	s_add_u32 s0, s46, s50
	s_mov_b32 s51, s50
	s_addc_u32 s1, s47, s50
	s_xor_b64 s[52:53], s[0:1], s[50:51]
	v_cvt_f32_u32_e32 v3, s52
	v_cvt_f32_u32_e32 v12, s53
	s_sub_u32 s51, 0, s52
	s_subb_u32 s54, 0, s53
	v_mac_f32_e32 v3, 0x4f800000, v12
	v_rcp_f32_e32 v3, v3
	v_mul_f32_e32 v3, 0x5f7ffffc, v3
	v_mul_f32_e32 v12, 0x2f800000, v3
	v_trunc_f32_e32 v12, v12
	v_mac_f32_e32 v3, 0xcf800000, v12
	v_cvt_u32_f32_e32 v12, v12
	v_cvt_u32_f32_e32 v3, v3
	v_readfirstlane_b32 s55, v12
	v_readfirstlane_b32 s0, v3
	s_mul_i32 s1, s51, s55
	s_mul_hi_u32 s57, s51, s0
	s_mul_i32 s56, s54, s0
	s_add_i32 s1, s57, s1
	s_add_i32 s1, s1, s56
	s_mul_i32 s58, s51, s0
	s_mul_i32 s57, s0, s1
	s_mul_hi_u32 s59, s0, s58
	s_mul_hi_u32 s56, s0, s1
	s_add_u32 s57, s59, s57
	s_addc_u32 s56, 0, s56
	s_mul_hi_u32 s60, s55, s58
	s_mul_i32 s58, s55, s58
	s_add_u32 s57, s57, s58
	s_mul_hi_u32 s59, s55, s1
	s_addc_u32 s56, s56, s60
	s_addc_u32 s57, s59, 0
	s_mul_i32 s1, s55, s1
	s_add_u32 s1, s56, s1
	s_addc_u32 s56, 0, s57
	s_add_u32 s57, s0, s1
	s_cselect_b64 s[0:1], -1, 0
	s_cmp_lg_u64 s[0:1], 0
	s_addc_u32 s55, s55, s56
	s_mul_i32 s0, s51, s55
	s_mul_hi_u32 s1, s51, s57
	s_add_i32 s0, s1, s0
	s_mul_i32 s54, s54, s57
	s_add_i32 s0, s0, s54
	s_mul_i32 s51, s51, s57
	s_mul_hi_u32 s54, s55, s51
	s_mul_i32 s56, s55, s51
	s_mul_i32 s59, s57, s0
	s_mul_hi_u32 s51, s57, s51
	s_mul_hi_u32 s58, s57, s0
	s_add_u32 s51, s51, s59
	s_addc_u32 s58, 0, s58
	s_add_u32 s51, s51, s56
	s_mul_hi_u32 s1, s55, s0
	s_addc_u32 s51, s58, s54
	s_addc_u32 s1, s1, 0
	s_mul_i32 s0, s55, s0
	s_add_u32 s0, s51, s0
	s_addc_u32 s51, 0, s1
	s_add_u32 s54, s57, s0
	s_cselect_b64 s[0:1], -1, 0
	v_ashrrev_i32_e32 v3, 31, v11
	s_cmp_lg_u64 s[0:1], 0
	v_add_co_u32_e32 v12, vcc, v10, v3
	s_addc_u32 s51, s55, s51
	v_xor_b32_e32 v16, v12, v3
	v_mad_u64_u32 v[12:13], s[0:1], v16, s51, 0
	v_mul_hi_u32 v15, v16, s54
	v_addc_co_u32_e32 v14, vcc, v11, v3, vcc
	v_xor_b32_e32 v17, v14, v3
	v_add_co_u32_e32 v18, vcc, v15, v12
	v_addc_co_u32_e32 v19, vcc, 0, v13, vcc
	v_mad_u64_u32 v[12:13], s[0:1], v17, s54, 0
	v_mad_u64_u32 v[14:15], s[0:1], v17, s51, 0
	v_add_co_u32_e32 v12, vcc, v18, v12
	v_addc_co_u32_e32 v12, vcc, v19, v13, vcc
	v_addc_co_u32_e32 v13, vcc, 0, v15, vcc
	v_add_co_u32_e32 v14, vcc, v12, v14
	v_addc_co_u32_e32 v15, vcc, 0, v13, vcc
	v_mul_lo_u32 v18, s53, v14
	v_mul_lo_u32 v19, s52, v15
	v_mad_u64_u32 v[12:13], s[0:1], s52, v14, 0
	v_xor_b32_e32 v3, s50, v3
	v_add3_u32 v13, v13, v19, v18
	v_sub_u32_e32 v18, v17, v13
	v_mov_b32_e32 v19, s53
	v_sub_co_u32_e32 v12, vcc, v16, v12
	v_subb_co_u32_e64 v16, s[0:1], v18, v19, vcc
	v_subrev_co_u32_e64 v18, s[0:1], s52, v12
	v_subbrev_co_u32_e64 v16, s[0:1], 0, v16, s[0:1]
	v_cmp_le_u32_e64 s[0:1], s53, v16
	v_cndmask_b32_e64 v19, 0, -1, s[0:1]
	v_cmp_le_u32_e64 s[0:1], s52, v18
	v_cndmask_b32_e64 v18, 0, -1, s[0:1]
	v_cmp_eq_u32_e64 s[0:1], s53, v16
	v_cndmask_b32_e64 v16, v19, v18, s[0:1]
	v_add_co_u32_e64 v18, s[0:1], 2, v14
	v_subb_co_u32_e32 v13, vcc, v17, v13, vcc
	v_addc_co_u32_e64 v19, s[0:1], 0, v15, s[0:1]
	v_cmp_le_u32_e32 vcc, s53, v13
	v_add_co_u32_e64 v22, s[0:1], 1, v14
	v_cndmask_b32_e64 v17, 0, -1, vcc
	v_cmp_le_u32_e32 vcc, s52, v12
	v_addc_co_u32_e64 v23, s[0:1], 0, v15, s[0:1]
	v_cndmask_b32_e64 v12, 0, -1, vcc
	v_cmp_eq_u32_e32 vcc, s53, v13
	v_cmp_ne_u32_e64 s[0:1], 0, v16
	v_cndmask_b32_e32 v12, v17, v12, vcc
	v_cndmask_b32_e64 v16, v23, v19, s[0:1]
	v_cmp_ne_u32_e32 vcc, 0, v12
	v_cndmask_b32_e64 v13, v22, v18, s[0:1]
	v_cndmask_b32_e32 v12, v15, v16, vcc
	v_cndmask_b32_e32 v13, v14, v13, vcc
	v_xor_b32_e32 v14, v12, v3
	v_xor_b32_e32 v12, v13, v3
	v_sub_co_u32_e32 v12, vcc, v12, v3
	v_subb_co_u32_e32 v13, vcc, v14, v3, vcc
.LBB18_19:                              ;   in Loop: Header=BB18_17 Depth=2
	s_andn2_saveexec_b64 s[0:1], s[48:49]
	s_cbranch_execz .LBB18_16
; %bb.20:                               ;   in Loop: Header=BB18_17 Depth=2
	v_cvt_f32_u32_e32 v3, s46
	s_sub_i32 s48, 0, s46
	v_rcp_iflag_f32_e32 v3, v3
	v_mul_f32_e32 v3, 0x4f7ffffe, v3
	v_cvt_u32_f32_e32 v3, v3
	v_mul_lo_u32 v12, s48, v3
	v_mul_hi_u32 v12, v3, v12
	v_add_u32_e32 v3, v3, v12
	v_mul_hi_u32 v3, v10, v3
	v_mul_lo_u32 v12, v3, s46
	v_add_u32_e32 v13, 1, v3
	v_sub_u32_e32 v12, v10, v12
	v_subrev_u32_e32 v14, s46, v12
	v_cmp_le_u32_e32 vcc, s46, v12
	v_cndmask_b32_e32 v12, v12, v14, vcc
	v_cndmask_b32_e32 v3, v3, v13, vcc
	v_add_u32_e32 v13, 1, v3
	v_cmp_le_u32_e32 vcc, s46, v12
	v_cndmask_b32_e32 v12, v3, v13, vcc
	v_mov_b32_e32 v13, v2
	s_branch .LBB18_16
.LBB18_21:                              ;   in Loop: Header=BB18_22 Depth=2
	s_or_b64 exec, exec, s[0:1]
	v_mul_lo_u32 v3, v13, s44
	v_mul_lo_u32 v24, v12, s45
	v_mad_u64_u32 v[22:23], s[0:1], v12, s44, 0
	v_add3_u32 v3, v23, v24, v3
	v_sub_co_u32_e32 v10, vcc, v10, v22
	v_subb_co_u32_e32 v3, vcc, v11, v3, vcc
	v_mul_lo_u32 v3, s48, v3
	v_mul_lo_u32 v22, s49, v10
	v_mad_u64_u32 v[8:9], s[0:1], s48, v10, v[8:9]
	v_mul_lo_u32 v23, v15, s46
	v_mul_lo_u32 v24, v14, s47
	v_mad_u64_u32 v[10:11], s[0:1], v14, s46, 0
	v_add3_u32 v9, v22, v9, v3
	v_mul_lo_u32 v22, v16, s51
	v_add3_u32 v3, v11, v24, v23
	v_sub_co_u32_e32 v10, vcc, v12, v10
	v_subb_co_u32_e32 v3, vcc, v13, v3, vcc
	v_mad_u64_u32 v[8:9], s[0:1], s52, v10, v[8:9]
	v_mul_lo_u32 v3, s52, v3
	v_mul_lo_u32 v12, s53, v10
	;; [unrolled: 1-line block ×3, first 2 shown]
	v_mad_u64_u32 v[10:11], s[0:1], v16, s50, 0
	v_add3_u32 v9, v12, v9, v3
	v_add3_u32 v3, v11, v22, v13
	v_sub_co_u32_e32 v10, vcc, v14, v10
	v_subb_co_u32_e32 v3, vcc, v15, v3, vcc
	v_mad_u64_u32 v[8:9], s[0:1], s56, v10, v[8:9]
	v_mul_lo_u32 v3, s56, v3
	v_mul_lo_u32 v12, s57, v10
	;; [unrolled: 1-line block ×4, first 2 shown]
	v_mad_u64_u32 v[10:11], s[0:1], v18, s54, 0
	s_load_dwordx2 s[0:1], s[38:39], 0x0
	v_add3_u32 v9, v12, v9, v3
	v_add3_u32 v3, v11, v14, v13
	v_sub_co_u32_e32 v10, vcc, v16, v10
	v_subb_co_u32_e32 v3, vcc, v17, v3, vcc
	s_add_u32 s38, s38, 0xffffffe0
	s_waitcnt lgkmcnt(0)
	v_mad_u64_u32 v[8:9], s[44:45], s0, v10, v[8:9]
	v_mul_lo_u32 v3, s0, v3
	v_mul_lo_u32 v10, s1, v10
	s_addc_u32 s39, s39, -1
	s_add_u32 s40, s40, 0xffffffe0
	s_addc_u32 s41, s41, -1
	s_add_u32 s42, s42, -4
	v_add3_u32 v9, v10, v9, v3
	s_addc_u32 s43, s43, -1
	v_mov_b32_e32 v10, v18
	s_cmp_eq_u64 s[42:43], 0
	v_mov_b32_e32 v11, v19
	s_cbranch_scc1 .LBB18_38
.LBB18_22:                              ;   Parent Loop BB18_3 Depth=1
                                        ; =>  This Inner Loop Header: Depth=2
	s_load_dwordx2 s[44:45], s[40:41], 0x18
                                        ; implicit-def: $vgpr12_vgpr13
	s_waitcnt lgkmcnt(0)
	v_or_b32_e32 v3, s45, v11
	v_cmp_ne_u64_e32 vcc, 0, v[2:3]
	s_and_saveexec_b64 s[0:1], vcc
	s_xor_b64 s[46:47], exec, s[0:1]
	s_cbranch_execz .LBB18_24
; %bb.23:                               ;   in Loop: Header=BB18_22 Depth=2
	s_ashr_i32 s48, s45, 31
	s_add_u32 s0, s44, s48
	s_mov_b32 s49, s48
	s_addc_u32 s1, s45, s48
	s_xor_b64 s[50:51], s[0:1], s[48:49]
	v_cvt_f32_u32_e32 v3, s50
	v_cvt_f32_u32_e32 v12, s51
	s_sub_u32 s49, 0, s50
	s_subb_u32 s52, 0, s51
	v_mac_f32_e32 v3, 0x4f800000, v12
	v_rcp_f32_e32 v3, v3
	v_mul_f32_e32 v3, 0x5f7ffffc, v3
	v_mul_f32_e32 v12, 0x2f800000, v3
	v_trunc_f32_e32 v12, v12
	v_mac_f32_e32 v3, 0xcf800000, v12
	v_cvt_u32_f32_e32 v12, v12
	v_cvt_u32_f32_e32 v3, v3
	v_readfirstlane_b32 s53, v12
	v_readfirstlane_b32 s0, v3
	s_mul_i32 s1, s49, s53
	s_mul_hi_u32 s55, s49, s0
	s_mul_i32 s54, s52, s0
	s_add_i32 s1, s55, s1
	s_add_i32 s1, s1, s54
	s_mul_i32 s56, s49, s0
	s_mul_i32 s55, s0, s1
	s_mul_hi_u32 s57, s0, s56
	s_mul_hi_u32 s54, s0, s1
	s_add_u32 s55, s57, s55
	s_addc_u32 s54, 0, s54
	s_mul_hi_u32 s58, s53, s56
	s_mul_i32 s56, s53, s56
	s_add_u32 s55, s55, s56
	s_mul_hi_u32 s57, s53, s1
	s_addc_u32 s54, s54, s58
	s_addc_u32 s55, s57, 0
	s_mul_i32 s1, s53, s1
	s_add_u32 s1, s54, s1
	s_addc_u32 s54, 0, s55
	s_add_u32 s55, s0, s1
	s_cselect_b64 s[0:1], -1, 0
	s_cmp_lg_u64 s[0:1], 0
	s_addc_u32 s53, s53, s54
	s_mul_i32 s0, s49, s53
	s_mul_hi_u32 s1, s49, s55
	s_add_i32 s0, s1, s0
	s_mul_i32 s52, s52, s55
	s_add_i32 s0, s0, s52
	s_mul_i32 s49, s49, s55
	s_mul_hi_u32 s52, s53, s49
	s_mul_i32 s54, s53, s49
	s_mul_i32 s57, s55, s0
	s_mul_hi_u32 s49, s55, s49
	s_mul_hi_u32 s56, s55, s0
	s_add_u32 s49, s49, s57
	s_addc_u32 s56, 0, s56
	s_add_u32 s49, s49, s54
	s_mul_hi_u32 s1, s53, s0
	s_addc_u32 s49, s56, s52
	s_addc_u32 s1, s1, 0
	s_mul_i32 s0, s53, s0
	s_add_u32 s0, s49, s0
	s_addc_u32 s49, 0, s1
	s_add_u32 s52, s55, s0
	s_cselect_b64 s[0:1], -1, 0
	v_ashrrev_i32_e32 v3, 31, v11
	s_cmp_lg_u64 s[0:1], 0
	v_add_co_u32_e32 v12, vcc, v10, v3
	s_addc_u32 s49, s53, s49
	v_xor_b32_e32 v16, v12, v3
	v_mad_u64_u32 v[12:13], s[0:1], v16, s49, 0
	v_mul_hi_u32 v15, v16, s52
	v_addc_co_u32_e32 v14, vcc, v11, v3, vcc
	v_xor_b32_e32 v17, v14, v3
	v_add_co_u32_e32 v18, vcc, v15, v12
	v_addc_co_u32_e32 v19, vcc, 0, v13, vcc
	v_mad_u64_u32 v[12:13], s[0:1], v17, s52, 0
	v_mad_u64_u32 v[14:15], s[0:1], v17, s49, 0
	v_add_co_u32_e32 v12, vcc, v18, v12
	v_addc_co_u32_e32 v12, vcc, v19, v13, vcc
	v_addc_co_u32_e32 v13, vcc, 0, v15, vcc
	v_add_co_u32_e32 v14, vcc, v12, v14
	v_addc_co_u32_e32 v15, vcc, 0, v13, vcc
	v_mul_lo_u32 v18, s51, v14
	v_mul_lo_u32 v19, s50, v15
	v_mad_u64_u32 v[12:13], s[0:1], s50, v14, 0
	v_xor_b32_e32 v3, s48, v3
	v_add3_u32 v13, v13, v19, v18
	v_sub_u32_e32 v18, v17, v13
	v_mov_b32_e32 v19, s51
	v_sub_co_u32_e32 v12, vcc, v16, v12
	v_subb_co_u32_e64 v16, s[0:1], v18, v19, vcc
	v_subrev_co_u32_e64 v18, s[0:1], s50, v12
	v_subbrev_co_u32_e64 v16, s[0:1], 0, v16, s[0:1]
	v_cmp_le_u32_e64 s[0:1], s51, v16
	v_cndmask_b32_e64 v19, 0, -1, s[0:1]
	v_cmp_le_u32_e64 s[0:1], s50, v18
	v_cndmask_b32_e64 v18, 0, -1, s[0:1]
	v_cmp_eq_u32_e64 s[0:1], s51, v16
	v_cndmask_b32_e64 v16, v19, v18, s[0:1]
	v_add_co_u32_e64 v18, s[0:1], 2, v14
	v_subb_co_u32_e32 v13, vcc, v17, v13, vcc
	v_addc_co_u32_e64 v19, s[0:1], 0, v15, s[0:1]
	v_cmp_le_u32_e32 vcc, s51, v13
	v_add_co_u32_e64 v22, s[0:1], 1, v14
	v_cndmask_b32_e64 v17, 0, -1, vcc
	v_cmp_le_u32_e32 vcc, s50, v12
	v_addc_co_u32_e64 v23, s[0:1], 0, v15, s[0:1]
	v_cndmask_b32_e64 v12, 0, -1, vcc
	v_cmp_eq_u32_e32 vcc, s51, v13
	v_cmp_ne_u32_e64 s[0:1], 0, v16
	v_cndmask_b32_e32 v12, v17, v12, vcc
	v_cndmask_b32_e64 v16, v23, v19, s[0:1]
	v_cmp_ne_u32_e32 vcc, 0, v12
	v_cndmask_b32_e64 v13, v22, v18, s[0:1]
	v_cndmask_b32_e32 v12, v15, v16, vcc
	v_cndmask_b32_e32 v13, v14, v13, vcc
	v_xor_b32_e32 v14, v12, v3
	v_xor_b32_e32 v12, v13, v3
	v_sub_co_u32_e32 v12, vcc, v12, v3
	v_subb_co_u32_e32 v13, vcc, v14, v3, vcc
.LBB18_24:                              ;   in Loop: Header=BB18_22 Depth=2
	s_andn2_saveexec_b64 s[0:1], s[46:47]
	s_cbranch_execz .LBB18_26
; %bb.25:                               ;   in Loop: Header=BB18_22 Depth=2
	v_cvt_f32_u32_e32 v3, s44
	s_sub_i32 s46, 0, s44
	v_rcp_iflag_f32_e32 v3, v3
	v_mul_f32_e32 v3, 0x4f7ffffe, v3
	v_cvt_u32_f32_e32 v3, v3
	v_mul_lo_u32 v12, s46, v3
	v_mul_hi_u32 v12, v3, v12
	v_add_u32_e32 v3, v3, v12
	v_mul_hi_u32 v3, v10, v3
	v_mul_lo_u32 v12, v3, s44
	v_add_u32_e32 v13, 1, v3
	v_sub_u32_e32 v12, v10, v12
	v_subrev_u32_e32 v14, s44, v12
	v_cmp_le_u32_e32 vcc, s44, v12
	v_cndmask_b32_e32 v12, v12, v14, vcc
	v_cndmask_b32_e32 v3, v3, v13, vcc
	v_add_u32_e32 v13, 1, v3
	v_cmp_le_u32_e32 vcc, s44, v12
	v_cndmask_b32_e32 v12, v3, v13, vcc
	v_mov_b32_e32 v13, v2
.LBB18_26:                              ;   in Loop: Header=BB18_22 Depth=2
	s_or_b64 exec, exec, s[0:1]
	s_load_dwordx2 s[46:47], s[40:41], 0x10
	s_load_dwordx2 s[48:49], s[38:39], 0x18
                                        ; implicit-def: $vgpr14_vgpr15
	s_waitcnt lgkmcnt(0)
	v_or_b32_e32 v3, s47, v13
	v_cmp_ne_u64_e32 vcc, 0, v[2:3]
	s_and_saveexec_b64 s[0:1], vcc
	s_xor_b64 s[50:51], exec, s[0:1]
	s_cbranch_execz .LBB18_28
; %bb.27:                               ;   in Loop: Header=BB18_22 Depth=2
	s_ashr_i32 s52, s47, 31
	s_add_u32 s0, s46, s52
	s_mov_b32 s53, s52
	s_addc_u32 s1, s47, s52
	s_xor_b64 s[54:55], s[0:1], s[52:53]
	v_cvt_f32_u32_e32 v3, s54
	v_cvt_f32_u32_e32 v14, s55
	s_sub_u32 s53, 0, s54
	s_subb_u32 s56, 0, s55
	v_mac_f32_e32 v3, 0x4f800000, v14
	v_rcp_f32_e32 v3, v3
	v_mul_f32_e32 v3, 0x5f7ffffc, v3
	v_mul_f32_e32 v14, 0x2f800000, v3
	v_trunc_f32_e32 v14, v14
	v_mac_f32_e32 v3, 0xcf800000, v14
	v_cvt_u32_f32_e32 v14, v14
	v_cvt_u32_f32_e32 v3, v3
	v_readfirstlane_b32 s57, v14
	v_readfirstlane_b32 s0, v3
	s_mul_i32 s1, s53, s57
	s_mul_hi_u32 s59, s53, s0
	s_mul_i32 s58, s56, s0
	s_add_i32 s1, s59, s1
	s_add_i32 s1, s1, s58
	s_mul_i32 s60, s53, s0
	s_mul_i32 s59, s0, s1
	s_mul_hi_u32 s61, s0, s60
	s_mul_hi_u32 s58, s0, s1
	s_add_u32 s59, s61, s59
	s_addc_u32 s58, 0, s58
	s_mul_hi_u32 s62, s57, s60
	s_mul_i32 s60, s57, s60
	s_add_u32 s59, s59, s60
	s_mul_hi_u32 s61, s57, s1
	s_addc_u32 s58, s58, s62
	s_addc_u32 s59, s61, 0
	s_mul_i32 s1, s57, s1
	s_add_u32 s1, s58, s1
	s_addc_u32 s58, 0, s59
	s_add_u32 s59, s0, s1
	s_cselect_b64 s[0:1], -1, 0
	s_cmp_lg_u64 s[0:1], 0
	s_addc_u32 s57, s57, s58
	s_mul_i32 s0, s53, s57
	s_mul_hi_u32 s1, s53, s59
	s_add_i32 s0, s1, s0
	s_mul_i32 s56, s56, s59
	s_add_i32 s0, s0, s56
	s_mul_i32 s53, s53, s59
	s_mul_hi_u32 s56, s57, s53
	s_mul_i32 s58, s57, s53
	s_mul_i32 s61, s59, s0
	s_mul_hi_u32 s53, s59, s53
	s_mul_hi_u32 s60, s59, s0
	s_add_u32 s53, s53, s61
	s_addc_u32 s60, 0, s60
	s_add_u32 s53, s53, s58
	s_mul_hi_u32 s1, s57, s0
	s_addc_u32 s53, s60, s56
	s_addc_u32 s1, s1, 0
	s_mul_i32 s0, s57, s0
	s_add_u32 s0, s53, s0
	s_addc_u32 s53, 0, s1
	s_add_u32 s56, s59, s0
	s_cselect_b64 s[0:1], -1, 0
	v_ashrrev_i32_e32 v3, 31, v13
	s_cmp_lg_u64 s[0:1], 0
	v_add_co_u32_e32 v14, vcc, v12, v3
	s_addc_u32 s53, s57, s53
	v_xor_b32_e32 v18, v14, v3
	v_mad_u64_u32 v[14:15], s[0:1], v18, s53, 0
	v_mul_hi_u32 v17, v18, s56
	v_addc_co_u32_e32 v16, vcc, v13, v3, vcc
	v_xor_b32_e32 v19, v16, v3
	v_add_co_u32_e32 v22, vcc, v17, v14
	v_addc_co_u32_e32 v23, vcc, 0, v15, vcc
	v_mad_u64_u32 v[14:15], s[0:1], v19, s56, 0
	v_mad_u64_u32 v[16:17], s[0:1], v19, s53, 0
	v_add_co_u32_e32 v14, vcc, v22, v14
	v_addc_co_u32_e32 v14, vcc, v23, v15, vcc
	v_addc_co_u32_e32 v15, vcc, 0, v17, vcc
	v_add_co_u32_e32 v16, vcc, v14, v16
	v_addc_co_u32_e32 v17, vcc, 0, v15, vcc
	v_mul_lo_u32 v22, s55, v16
	v_mul_lo_u32 v23, s54, v17
	v_mad_u64_u32 v[14:15], s[0:1], s54, v16, 0
	v_xor_b32_e32 v3, s52, v3
	v_add3_u32 v15, v15, v23, v22
	v_sub_u32_e32 v22, v19, v15
	v_mov_b32_e32 v23, s55
	v_sub_co_u32_e32 v14, vcc, v18, v14
	v_subb_co_u32_e64 v18, s[0:1], v22, v23, vcc
	v_subrev_co_u32_e64 v22, s[0:1], s54, v14
	v_subbrev_co_u32_e64 v18, s[0:1], 0, v18, s[0:1]
	v_cmp_le_u32_e64 s[0:1], s55, v18
	v_cndmask_b32_e64 v23, 0, -1, s[0:1]
	v_cmp_le_u32_e64 s[0:1], s54, v22
	v_cndmask_b32_e64 v22, 0, -1, s[0:1]
	v_cmp_eq_u32_e64 s[0:1], s55, v18
	v_cndmask_b32_e64 v18, v23, v22, s[0:1]
	v_add_co_u32_e64 v22, s[0:1], 2, v16
	v_subb_co_u32_e32 v15, vcc, v19, v15, vcc
	v_addc_co_u32_e64 v23, s[0:1], 0, v17, s[0:1]
	v_cmp_le_u32_e32 vcc, s55, v15
	v_add_co_u32_e64 v24, s[0:1], 1, v16
	v_cndmask_b32_e64 v19, 0, -1, vcc
	v_cmp_le_u32_e32 vcc, s54, v14
	v_addc_co_u32_e64 v25, s[0:1], 0, v17, s[0:1]
	v_cndmask_b32_e64 v14, 0, -1, vcc
	v_cmp_eq_u32_e32 vcc, s55, v15
	v_cmp_ne_u32_e64 s[0:1], 0, v18
	v_cndmask_b32_e32 v14, v19, v14, vcc
	v_cndmask_b32_e64 v18, v25, v23, s[0:1]
	v_cmp_ne_u32_e32 vcc, 0, v14
	v_cndmask_b32_e64 v15, v24, v22, s[0:1]
	v_cndmask_b32_e32 v14, v17, v18, vcc
	v_cndmask_b32_e32 v15, v16, v15, vcc
	v_xor_b32_e32 v16, v14, v3
	v_xor_b32_e32 v14, v15, v3
	v_sub_co_u32_e32 v14, vcc, v14, v3
	v_subb_co_u32_e32 v15, vcc, v16, v3, vcc
.LBB18_28:                              ;   in Loop: Header=BB18_22 Depth=2
	s_andn2_saveexec_b64 s[0:1], s[50:51]
	s_cbranch_execz .LBB18_30
; %bb.29:                               ;   in Loop: Header=BB18_22 Depth=2
	v_cvt_f32_u32_e32 v3, s46
	s_sub_i32 s50, 0, s46
	v_rcp_iflag_f32_e32 v3, v3
	v_mul_f32_e32 v3, 0x4f7ffffe, v3
	v_cvt_u32_f32_e32 v3, v3
	v_mul_lo_u32 v14, s50, v3
	v_mul_hi_u32 v14, v3, v14
	v_add_u32_e32 v3, v3, v14
	v_mul_hi_u32 v3, v12, v3
	v_mul_lo_u32 v14, v3, s46
	v_add_u32_e32 v15, 1, v3
	v_sub_u32_e32 v14, v12, v14
	v_subrev_u32_e32 v16, s46, v14
	v_cmp_le_u32_e32 vcc, s46, v14
	v_cndmask_b32_e32 v14, v14, v16, vcc
	v_cndmask_b32_e32 v3, v3, v15, vcc
	v_add_u32_e32 v15, 1, v3
	v_cmp_le_u32_e32 vcc, s46, v14
	v_cndmask_b32_e32 v14, v3, v15, vcc
	v_mov_b32_e32 v15, v2
.LBB18_30:                              ;   in Loop: Header=BB18_22 Depth=2
	s_or_b64 exec, exec, s[0:1]
	s_load_dwordx2 s[50:51], s[40:41], 0x8
	s_load_dwordx2 s[52:53], s[38:39], 0x10
                                        ; implicit-def: $vgpr16_vgpr17
	s_waitcnt lgkmcnt(0)
	v_or_b32_e32 v3, s51, v15
	v_cmp_ne_u64_e32 vcc, 0, v[2:3]
	s_and_saveexec_b64 s[0:1], vcc
	s_xor_b64 s[54:55], exec, s[0:1]
	s_cbranch_execz .LBB18_32
; %bb.31:                               ;   in Loop: Header=BB18_22 Depth=2
	s_ashr_i32 s56, s51, 31
	s_add_u32 s0, s50, s56
	s_mov_b32 s57, s56
	s_addc_u32 s1, s51, s56
	s_xor_b64 s[58:59], s[0:1], s[56:57]
	v_cvt_f32_u32_e32 v3, s58
	v_cvt_f32_u32_e32 v16, s59
	s_sub_u32 s57, 0, s58
	s_subb_u32 s60, 0, s59
	v_mac_f32_e32 v3, 0x4f800000, v16
	v_rcp_f32_e32 v3, v3
	v_mul_f32_e32 v3, 0x5f7ffffc, v3
	v_mul_f32_e32 v16, 0x2f800000, v3
	v_trunc_f32_e32 v16, v16
	v_mac_f32_e32 v3, 0xcf800000, v16
	v_cvt_u32_f32_e32 v16, v16
	v_cvt_u32_f32_e32 v3, v3
	v_readfirstlane_b32 s61, v16
	v_readfirstlane_b32 s0, v3
	s_mul_i32 s1, s57, s61
	s_mul_hi_u32 s63, s57, s0
	s_mul_i32 s62, s60, s0
	s_add_i32 s1, s63, s1
	s_add_i32 s1, s1, s62
	s_mul_i32 s68, s57, s0
	s_mul_i32 s63, s0, s1
	s_mul_hi_u32 s69, s0, s68
	s_mul_hi_u32 s62, s0, s1
	s_add_u32 s63, s69, s63
	s_addc_u32 s62, 0, s62
	s_mul_hi_u32 s70, s61, s68
	s_mul_i32 s68, s61, s68
	s_add_u32 s63, s63, s68
	s_mul_hi_u32 s69, s61, s1
	s_addc_u32 s62, s62, s70
	s_addc_u32 s63, s69, 0
	s_mul_i32 s1, s61, s1
	s_add_u32 s1, s62, s1
	s_addc_u32 s62, 0, s63
	s_add_u32 s63, s0, s1
	s_cselect_b64 s[0:1], -1, 0
	s_cmp_lg_u64 s[0:1], 0
	s_addc_u32 s61, s61, s62
	s_mul_i32 s0, s57, s61
	s_mul_hi_u32 s1, s57, s63
	s_add_i32 s0, s1, s0
	s_mul_i32 s60, s60, s63
	s_add_i32 s0, s0, s60
	s_mul_i32 s57, s57, s63
	s_mul_hi_u32 s60, s61, s57
	s_mul_i32 s62, s61, s57
	s_mul_i32 s69, s63, s0
	s_mul_hi_u32 s57, s63, s57
	s_mul_hi_u32 s68, s63, s0
	s_add_u32 s57, s57, s69
	s_addc_u32 s68, 0, s68
	s_add_u32 s57, s57, s62
	s_mul_hi_u32 s1, s61, s0
	s_addc_u32 s57, s68, s60
	s_addc_u32 s1, s1, 0
	s_mul_i32 s0, s61, s0
	s_add_u32 s0, s57, s0
	s_addc_u32 s57, 0, s1
	s_add_u32 s60, s63, s0
	s_cselect_b64 s[0:1], -1, 0
	v_ashrrev_i32_e32 v3, 31, v15
	s_cmp_lg_u64 s[0:1], 0
	v_add_co_u32_e32 v16, vcc, v14, v3
	s_addc_u32 s57, s61, s57
	v_xor_b32_e32 v22, v16, v3
	v_mad_u64_u32 v[16:17], s[0:1], v22, s57, 0
	v_mul_hi_u32 v19, v22, s60
	v_addc_co_u32_e32 v18, vcc, v15, v3, vcc
	v_xor_b32_e32 v23, v18, v3
	v_add_co_u32_e32 v24, vcc, v19, v16
	v_addc_co_u32_e32 v25, vcc, 0, v17, vcc
	v_mad_u64_u32 v[16:17], s[0:1], v23, s60, 0
	v_mad_u64_u32 v[18:19], s[0:1], v23, s57, 0
	v_add_co_u32_e32 v16, vcc, v24, v16
	v_addc_co_u32_e32 v16, vcc, v25, v17, vcc
	v_addc_co_u32_e32 v17, vcc, 0, v19, vcc
	v_add_co_u32_e32 v18, vcc, v16, v18
	v_addc_co_u32_e32 v19, vcc, 0, v17, vcc
	v_mul_lo_u32 v24, s59, v18
	v_mul_lo_u32 v25, s58, v19
	v_mad_u64_u32 v[16:17], s[0:1], s58, v18, 0
	v_xor_b32_e32 v3, s56, v3
	v_add3_u32 v17, v17, v25, v24
	v_sub_u32_e32 v24, v23, v17
	v_mov_b32_e32 v25, s59
	v_sub_co_u32_e32 v16, vcc, v22, v16
	v_subb_co_u32_e64 v22, s[0:1], v24, v25, vcc
	v_subrev_co_u32_e64 v24, s[0:1], s58, v16
	v_subbrev_co_u32_e64 v22, s[0:1], 0, v22, s[0:1]
	v_cmp_le_u32_e64 s[0:1], s59, v22
	v_cndmask_b32_e64 v25, 0, -1, s[0:1]
	v_cmp_le_u32_e64 s[0:1], s58, v24
	v_cndmask_b32_e64 v24, 0, -1, s[0:1]
	v_cmp_eq_u32_e64 s[0:1], s59, v22
	v_cndmask_b32_e64 v22, v25, v24, s[0:1]
	v_add_co_u32_e64 v24, s[0:1], 2, v18
	v_subb_co_u32_e32 v17, vcc, v23, v17, vcc
	v_addc_co_u32_e64 v25, s[0:1], 0, v19, s[0:1]
	v_cmp_le_u32_e32 vcc, s59, v17
	v_add_co_u32_e64 v26, s[0:1], 1, v18
	v_cndmask_b32_e64 v23, 0, -1, vcc
	v_cmp_le_u32_e32 vcc, s58, v16
	v_addc_co_u32_e64 v27, s[0:1], 0, v19, s[0:1]
	v_cndmask_b32_e64 v16, 0, -1, vcc
	v_cmp_eq_u32_e32 vcc, s59, v17
	v_cmp_ne_u32_e64 s[0:1], 0, v22
	v_cndmask_b32_e32 v16, v23, v16, vcc
	v_cndmask_b32_e64 v22, v27, v25, s[0:1]
	v_cmp_ne_u32_e32 vcc, 0, v16
	v_cndmask_b32_e64 v17, v26, v24, s[0:1]
	v_cndmask_b32_e32 v16, v19, v22, vcc
	v_cndmask_b32_e32 v17, v18, v17, vcc
	v_xor_b32_e32 v18, v16, v3
	v_xor_b32_e32 v16, v17, v3
	v_sub_co_u32_e32 v16, vcc, v16, v3
	v_subb_co_u32_e32 v17, vcc, v18, v3, vcc
.LBB18_32:                              ;   in Loop: Header=BB18_22 Depth=2
	s_andn2_saveexec_b64 s[0:1], s[54:55]
	s_cbranch_execz .LBB18_34
; %bb.33:                               ;   in Loop: Header=BB18_22 Depth=2
	v_cvt_f32_u32_e32 v3, s50
	s_sub_i32 s54, 0, s50
	v_rcp_iflag_f32_e32 v3, v3
	v_mul_f32_e32 v3, 0x4f7ffffe, v3
	v_cvt_u32_f32_e32 v3, v3
	v_mul_lo_u32 v16, s54, v3
	v_mul_hi_u32 v16, v3, v16
	v_add_u32_e32 v3, v3, v16
	v_mul_hi_u32 v3, v14, v3
	v_mul_lo_u32 v16, v3, s50
	v_add_u32_e32 v17, 1, v3
	v_sub_u32_e32 v16, v14, v16
	v_subrev_u32_e32 v18, s50, v16
	v_cmp_le_u32_e32 vcc, s50, v16
	v_cndmask_b32_e32 v16, v16, v18, vcc
	v_cndmask_b32_e32 v3, v3, v17, vcc
	v_add_u32_e32 v17, 1, v3
	v_cmp_le_u32_e32 vcc, s50, v16
	v_cndmask_b32_e32 v16, v3, v17, vcc
	v_mov_b32_e32 v17, v2
.LBB18_34:                              ;   in Loop: Header=BB18_22 Depth=2
	s_or_b64 exec, exec, s[0:1]
	s_load_dwordx2 s[54:55], s[40:41], 0x0
	s_load_dwordx2 s[56:57], s[38:39], 0x8
                                        ; implicit-def: $vgpr18_vgpr19
	s_waitcnt lgkmcnt(0)
	v_or_b32_e32 v3, s55, v17
	v_cmp_ne_u64_e32 vcc, 0, v[2:3]
	s_and_saveexec_b64 s[0:1], vcc
	s_xor_b64 s[58:59], exec, s[0:1]
	s_cbranch_execz .LBB18_36
; %bb.35:                               ;   in Loop: Header=BB18_22 Depth=2
	s_ashr_i32 s60, s55, 31
	s_add_u32 s0, s54, s60
	s_mov_b32 s61, s60
	s_addc_u32 s1, s55, s60
	s_xor_b64 s[62:63], s[0:1], s[60:61]
	v_cvt_f32_u32_e32 v3, s62
	v_cvt_f32_u32_e32 v18, s63
	s_sub_u32 s61, 0, s62
	s_subb_u32 s68, 0, s63
	v_mac_f32_e32 v3, 0x4f800000, v18
	v_rcp_f32_e32 v3, v3
	v_mul_f32_e32 v3, 0x5f7ffffc, v3
	v_mul_f32_e32 v18, 0x2f800000, v3
	v_trunc_f32_e32 v18, v18
	v_mac_f32_e32 v3, 0xcf800000, v18
	v_cvt_u32_f32_e32 v18, v18
	v_cvt_u32_f32_e32 v3, v3
	v_readfirstlane_b32 s69, v18
	v_readfirstlane_b32 s0, v3
	s_mul_i32 s1, s61, s69
	s_mul_hi_u32 s71, s61, s0
	s_mul_i32 s70, s68, s0
	s_add_i32 s1, s71, s1
	s_add_i32 s1, s1, s70
	s_mul_i32 s72, s61, s0
	s_mul_i32 s71, s0, s1
	s_mul_hi_u32 s73, s0, s72
	s_mul_hi_u32 s70, s0, s1
	s_add_u32 s71, s73, s71
	s_addc_u32 s70, 0, s70
	s_mul_hi_u32 s74, s69, s72
	s_mul_i32 s72, s69, s72
	s_add_u32 s71, s71, s72
	s_mul_hi_u32 s73, s69, s1
	s_addc_u32 s70, s70, s74
	s_addc_u32 s71, s73, 0
	s_mul_i32 s1, s69, s1
	s_add_u32 s1, s70, s1
	s_addc_u32 s70, 0, s71
	s_add_u32 s71, s0, s1
	s_cselect_b64 s[0:1], -1, 0
	s_cmp_lg_u64 s[0:1], 0
	s_addc_u32 s69, s69, s70
	s_mul_i32 s0, s61, s69
	s_mul_hi_u32 s1, s61, s71
	s_add_i32 s0, s1, s0
	s_mul_i32 s68, s68, s71
	s_add_i32 s0, s0, s68
	s_mul_i32 s61, s61, s71
	s_mul_hi_u32 s68, s69, s61
	s_mul_i32 s70, s69, s61
	s_mul_i32 s73, s71, s0
	s_mul_hi_u32 s61, s71, s61
	s_mul_hi_u32 s72, s71, s0
	s_add_u32 s61, s61, s73
	s_addc_u32 s72, 0, s72
	s_add_u32 s61, s61, s70
	s_mul_hi_u32 s1, s69, s0
	s_addc_u32 s61, s72, s68
	s_addc_u32 s1, s1, 0
	s_mul_i32 s0, s69, s0
	s_add_u32 s0, s61, s0
	s_addc_u32 s61, 0, s1
	s_add_u32 s68, s71, s0
	s_cselect_b64 s[0:1], -1, 0
	v_ashrrev_i32_e32 v3, 31, v17
	s_cmp_lg_u64 s[0:1], 0
	v_add_co_u32_e32 v18, vcc, v16, v3
	s_addc_u32 s61, s69, s61
	v_xor_b32_e32 v24, v18, v3
	v_mad_u64_u32 v[18:19], s[0:1], v24, s61, 0
	v_mul_hi_u32 v23, v24, s68
	v_addc_co_u32_e32 v22, vcc, v17, v3, vcc
	v_xor_b32_e32 v25, v22, v3
	v_add_co_u32_e32 v26, vcc, v23, v18
	v_addc_co_u32_e32 v27, vcc, 0, v19, vcc
	v_mad_u64_u32 v[18:19], s[0:1], v25, s68, 0
	v_mad_u64_u32 v[22:23], s[0:1], v25, s61, 0
	v_add_co_u32_e32 v18, vcc, v26, v18
	v_addc_co_u32_e32 v18, vcc, v27, v19, vcc
	v_addc_co_u32_e32 v19, vcc, 0, v23, vcc
	v_add_co_u32_e32 v22, vcc, v18, v22
	v_addc_co_u32_e32 v23, vcc, 0, v19, vcc
	v_mul_lo_u32 v26, s63, v22
	v_mul_lo_u32 v27, s62, v23
	v_mad_u64_u32 v[18:19], s[0:1], s62, v22, 0
	v_xor_b32_e32 v3, s60, v3
	v_add3_u32 v19, v19, v27, v26
	v_sub_u32_e32 v26, v25, v19
	v_mov_b32_e32 v27, s63
	v_sub_co_u32_e32 v18, vcc, v24, v18
	v_subb_co_u32_e64 v24, s[0:1], v26, v27, vcc
	v_subrev_co_u32_e64 v26, s[0:1], s62, v18
	v_subbrev_co_u32_e64 v24, s[0:1], 0, v24, s[0:1]
	v_cmp_le_u32_e64 s[0:1], s63, v24
	v_cndmask_b32_e64 v27, 0, -1, s[0:1]
	v_cmp_le_u32_e64 s[0:1], s62, v26
	v_cndmask_b32_e64 v26, 0, -1, s[0:1]
	v_cmp_eq_u32_e64 s[0:1], s63, v24
	v_cndmask_b32_e64 v24, v27, v26, s[0:1]
	v_add_co_u32_e64 v26, s[0:1], 2, v22
	v_subb_co_u32_e32 v19, vcc, v25, v19, vcc
	v_addc_co_u32_e64 v27, s[0:1], 0, v23, s[0:1]
	v_cmp_le_u32_e32 vcc, s63, v19
	v_add_co_u32_e64 v28, s[0:1], 1, v22
	v_cndmask_b32_e64 v25, 0, -1, vcc
	v_cmp_le_u32_e32 vcc, s62, v18
	v_addc_co_u32_e64 v29, s[0:1], 0, v23, s[0:1]
	v_cndmask_b32_e64 v18, 0, -1, vcc
	v_cmp_eq_u32_e32 vcc, s63, v19
	v_cmp_ne_u32_e64 s[0:1], 0, v24
	v_cndmask_b32_e32 v18, v25, v18, vcc
	v_cndmask_b32_e64 v24, v29, v27, s[0:1]
	v_cmp_ne_u32_e32 vcc, 0, v18
	v_cndmask_b32_e64 v19, v28, v26, s[0:1]
	v_cndmask_b32_e32 v18, v23, v24, vcc
	v_cndmask_b32_e32 v19, v22, v19, vcc
	v_xor_b32_e32 v22, v18, v3
	v_xor_b32_e32 v18, v19, v3
	v_sub_co_u32_e32 v18, vcc, v18, v3
	v_subb_co_u32_e32 v19, vcc, v22, v3, vcc
.LBB18_36:                              ;   in Loop: Header=BB18_22 Depth=2
	s_andn2_saveexec_b64 s[0:1], s[58:59]
	s_cbranch_execz .LBB18_21
; %bb.37:                               ;   in Loop: Header=BB18_22 Depth=2
	v_cvt_f32_u32_e32 v3, s54
	s_sub_i32 s58, 0, s54
	v_rcp_iflag_f32_e32 v3, v3
	v_mul_f32_e32 v3, 0x4f7ffffe, v3
	v_cvt_u32_f32_e32 v3, v3
	v_mul_lo_u32 v18, s58, v3
	v_mul_hi_u32 v18, v3, v18
	v_add_u32_e32 v3, v3, v18
	v_mul_hi_u32 v3, v16, v3
	v_mul_lo_u32 v18, v3, s54
	v_add_u32_e32 v19, 1, v3
	v_sub_u32_e32 v18, v16, v18
	v_subrev_u32_e32 v22, s54, v18
	v_cmp_le_u32_e32 vcc, s54, v18
	v_cndmask_b32_e32 v18, v18, v22, vcc
	v_cndmask_b32_e32 v3, v3, v19, vcc
	v_add_u32_e32 v19, 1, v3
	v_cmp_le_u32_e32 vcc, s54, v18
	v_cndmask_b32_e32 v18, v3, v19, vcc
	v_mov_b32_e32 v19, v2
	s_branch .LBB18_21
.LBB18_38:                              ;   in Loop: Header=BB18_3 Depth=1
	s_load_dwordx2 s[38:39], s[22:23], 0x0
	s_waitcnt lgkmcnt(0)
	v_cmp_gt_i64_e32 vcc, s[38:39], v[4:5]
	s_and_b64 exec, exec, vcc
	s_cbranch_execz .LBB18_2
; %bb.39:                               ;   in Loop: Header=BB18_3 Depth=1
	v_lshlrev_b64 v[8:9], 1, v[8:9]
	v_mov_b32_e32 v3, s13
	v_cmp_lt_i64_e32 vcc, s[8:9], v[6:7]
	v_add_co_u32_e64 v6, s[0:1], s12, v8
	v_addc_co_u32_e64 v7, s[0:1], v3, v9, s[0:1]
	s_and_saveexec_b64 s[0:1], vcc
	s_cbranch_execz .LBB18_41
; %bb.40:                               ;   in Loop: Header=BB18_3 Depth=1
	global_store_short v[6:7], v2, off
.LBB18_41:                              ;   in Loop: Header=BB18_3 Depth=1
	s_or_b64 exec, exec, s[0:1]
	v_add_co_u32_e32 v8, vcc, 1, v4
	v_addc_co_u32_e32 v9, vcc, 0, v5, vcc
	v_cmp_gt_i64_e32 vcc, s[38:39], v[8:9]
	s_and_b64 exec, exec, vcc
	s_cbranch_execz .LBB18_2
; %bb.42:                               ;   in Loop: Header=BB18_3 Depth=1
	v_sub_co_u32_e32 v8, vcc, v8, v20
	v_subb_co_u32_e32 v9, vcc, v9, v21, vcc
	v_cmp_lt_i64_e32 vcc, s[8:9], v[8:9]
	s_and_saveexec_b64 s[0:1], vcc
	s_cbranch_execz .LBB18_44
; %bb.43:                               ;   in Loop: Header=BB18_3 Depth=1
	s_lshl_b64 s[40:41], s[2:3], 1
	v_mov_b32_e32 v3, s41
	v_add_co_u32_e32 v8, vcc, s40, v6
	v_addc_co_u32_e32 v9, vcc, v7, v3, vcc
	global_store_short v[8:9], v2, off
.LBB18_44:                              ;   in Loop: Header=BB18_3 Depth=1
	s_or_b64 exec, exec, s[0:1]
	v_add_co_u32_e32 v8, vcc, 2, v4
	v_addc_co_u32_e32 v9, vcc, 0, v5, vcc
	v_cmp_gt_i64_e32 vcc, s[38:39], v[8:9]
	s_and_b64 exec, exec, vcc
	s_cbranch_execz .LBB18_2
; %bb.45:                               ;   in Loop: Header=BB18_3 Depth=1
	v_sub_co_u32_e32 v8, vcc, v8, v20
	v_subb_co_u32_e32 v9, vcc, v9, v21, vcc
	v_cmp_lt_i64_e32 vcc, s[8:9], v[8:9]
	s_and_saveexec_b64 s[0:1], vcc
	s_cbranch_execz .LBB18_47
; %bb.46:                               ;   in Loop: Header=BB18_3 Depth=1
	s_lshl_b64 s[40:41], s[2:3], 2
	v_mov_b32_e32 v3, s41
	v_add_co_u32_e32 v8, vcc, s40, v6
	v_addc_co_u32_e32 v9, vcc, v7, v3, vcc
	global_store_short v[8:9], v2, off
.LBB18_47:                              ;   in Loop: Header=BB18_3 Depth=1
	s_or_b64 exec, exec, s[0:1]
	v_add_co_u32_e32 v3, vcc, 3, v4
	v_addc_co_u32_e32 v4, vcc, 0, v5, vcc
	v_cmp_gt_i64_e32 vcc, s[38:39], v[3:4]
	v_sub_co_u32_e64 v3, s[0:1], v3, v20
	v_subb_co_u32_e64 v4, s[0:1], v4, v21, s[0:1]
	v_cmp_lt_i64_e64 s[0:1], s[8:9], v[3:4]
	s_and_b64 s[0:1], vcc, s[0:1]
	s_and_b64 exec, exec, s[0:1]
	s_cbranch_execz .LBB18_2
; %bb.48:                               ;   in Loop: Header=BB18_3 Depth=1
	v_mad_u64_u32 v[3:4], s[0:1], s2, 6, v[6:7]
	v_mad_u64_u32 v[4:5], s[0:1], s3, 6, v[4:5]
	global_store_short v[3:4], v2, off
	s_branch .LBB18_2
.LBB18_49:
	s_endpgm
	.section	.rodata,"a",@progbits
	.p2align	6, 0x0
	.amdhsa_kernel _ZN2at6native16triu_tril_kernelIslLb0ELi4ELb1EEEvNS_4cuda6detail10TensorInfoIT_T0_EENS4_IKS5_S6_EEllS6_
		.amdhsa_group_segment_fixed_size 0
		.amdhsa_private_segment_fixed_size 0
		.amdhsa_kernarg_size 1112
		.amdhsa_user_sgpr_count 6
		.amdhsa_user_sgpr_private_segment_buffer 1
		.amdhsa_user_sgpr_dispatch_ptr 0
		.amdhsa_user_sgpr_queue_ptr 0
		.amdhsa_user_sgpr_kernarg_segment_ptr 1
		.amdhsa_user_sgpr_dispatch_id 0
		.amdhsa_user_sgpr_flat_scratch_init 0
		.amdhsa_user_sgpr_private_segment_size 0
		.amdhsa_uses_dynamic_stack 0
		.amdhsa_system_sgpr_private_segment_wavefront_offset 0
		.amdhsa_system_sgpr_workgroup_id_x 1
		.amdhsa_system_sgpr_workgroup_id_y 0
		.amdhsa_system_sgpr_workgroup_id_z 0
		.amdhsa_system_sgpr_workgroup_info 0
		.amdhsa_system_vgpr_workitem_id 0
		.amdhsa_next_free_vgpr 30
		.amdhsa_next_free_sgpr 75
		.amdhsa_reserve_vcc 1
		.amdhsa_reserve_flat_scratch 0
		.amdhsa_float_round_mode_32 0
		.amdhsa_float_round_mode_16_64 0
		.amdhsa_float_denorm_mode_32 3
		.amdhsa_float_denorm_mode_16_64 3
		.amdhsa_dx10_clamp 1
		.amdhsa_ieee_mode 1
		.amdhsa_fp16_overflow 0
		.amdhsa_exception_fp_ieee_invalid_op 0
		.amdhsa_exception_fp_denorm_src 0
		.amdhsa_exception_fp_ieee_div_zero 0
		.amdhsa_exception_fp_ieee_overflow 0
		.amdhsa_exception_fp_ieee_underflow 0
		.amdhsa_exception_fp_ieee_inexact 0
		.amdhsa_exception_int_div_zero 0
	.end_amdhsa_kernel
	.section	.text._ZN2at6native16triu_tril_kernelIslLb0ELi4ELb1EEEvNS_4cuda6detail10TensorInfoIT_T0_EENS4_IKS5_S6_EEllS6_,"axG",@progbits,_ZN2at6native16triu_tril_kernelIslLb0ELi4ELb1EEEvNS_4cuda6detail10TensorInfoIT_T0_EENS4_IKS5_S6_EEllS6_,comdat
.Lfunc_end18:
	.size	_ZN2at6native16triu_tril_kernelIslLb0ELi4ELb1EEEvNS_4cuda6detail10TensorInfoIT_T0_EENS4_IKS5_S6_EEllS6_, .Lfunc_end18-_ZN2at6native16triu_tril_kernelIslLb0ELi4ELb1EEEvNS_4cuda6detail10TensorInfoIT_T0_EENS4_IKS5_S6_EEllS6_
                                        ; -- End function
	.set _ZN2at6native16triu_tril_kernelIslLb0ELi4ELb1EEEvNS_4cuda6detail10TensorInfoIT_T0_EENS4_IKS5_S6_EEllS6_.num_vgpr, 30
	.set _ZN2at6native16triu_tril_kernelIslLb0ELi4ELb1EEEvNS_4cuda6detail10TensorInfoIT_T0_EENS4_IKS5_S6_EEllS6_.num_agpr, 0
	.set _ZN2at6native16triu_tril_kernelIslLb0ELi4ELb1EEEvNS_4cuda6detail10TensorInfoIT_T0_EENS4_IKS5_S6_EEllS6_.numbered_sgpr, 75
	.set _ZN2at6native16triu_tril_kernelIslLb0ELi4ELb1EEEvNS_4cuda6detail10TensorInfoIT_T0_EENS4_IKS5_S6_EEllS6_.num_named_barrier, 0
	.set _ZN2at6native16triu_tril_kernelIslLb0ELi4ELb1EEEvNS_4cuda6detail10TensorInfoIT_T0_EENS4_IKS5_S6_EEllS6_.private_seg_size, 0
	.set _ZN2at6native16triu_tril_kernelIslLb0ELi4ELb1EEEvNS_4cuda6detail10TensorInfoIT_T0_EENS4_IKS5_S6_EEllS6_.uses_vcc, 1
	.set _ZN2at6native16triu_tril_kernelIslLb0ELi4ELb1EEEvNS_4cuda6detail10TensorInfoIT_T0_EENS4_IKS5_S6_EEllS6_.uses_flat_scratch, 0
	.set _ZN2at6native16triu_tril_kernelIslLb0ELi4ELb1EEEvNS_4cuda6detail10TensorInfoIT_T0_EENS4_IKS5_S6_EEllS6_.has_dyn_sized_stack, 0
	.set _ZN2at6native16triu_tril_kernelIslLb0ELi4ELb1EEEvNS_4cuda6detail10TensorInfoIT_T0_EENS4_IKS5_S6_EEllS6_.has_recursion, 0
	.set _ZN2at6native16triu_tril_kernelIslLb0ELi4ELb1EEEvNS_4cuda6detail10TensorInfoIT_T0_EENS4_IKS5_S6_EEllS6_.has_indirect_call, 0
	.section	.AMDGPU.csdata,"",@progbits
; Kernel info:
; codeLenInByte = 6608
; TotalNumSgprs: 79
; NumVgprs: 30
; ScratchSize: 0
; MemoryBound: 0
; FloatMode: 240
; IeeeMode: 1
; LDSByteSize: 0 bytes/workgroup (compile time only)
; SGPRBlocks: 9
; VGPRBlocks: 7
; NumSGPRsForWavesPerEU: 79
; NumVGPRsForWavesPerEU: 30
; Occupancy: 8
; WaveLimiterHint : 0
; COMPUTE_PGM_RSRC2:SCRATCH_EN: 0
; COMPUTE_PGM_RSRC2:USER_SGPR: 6
; COMPUTE_PGM_RSRC2:TRAP_HANDLER: 0
; COMPUTE_PGM_RSRC2:TGID_X_EN: 1
; COMPUTE_PGM_RSRC2:TGID_Y_EN: 0
; COMPUTE_PGM_RSRC2:TGID_Z_EN: 0
; COMPUTE_PGM_RSRC2:TIDIG_COMP_CNT: 0
	.section	.text._ZN2at6native16triu_tril_kernelIslLb0ELi4ELb0EEEvNS_4cuda6detail10TensorInfoIT_T0_EENS4_IKS5_S6_EEllS6_,"axG",@progbits,_ZN2at6native16triu_tril_kernelIslLb0ELi4ELb0EEEvNS_4cuda6detail10TensorInfoIT_T0_EENS4_IKS5_S6_EEllS6_,comdat
	.protected	_ZN2at6native16triu_tril_kernelIslLb0ELi4ELb0EEEvNS_4cuda6detail10TensorInfoIT_T0_EENS4_IKS5_S6_EEllS6_ ; -- Begin function _ZN2at6native16triu_tril_kernelIslLb0ELi4ELb0EEEvNS_4cuda6detail10TensorInfoIT_T0_EENS4_IKS5_S6_EEllS6_
	.globl	_ZN2at6native16triu_tril_kernelIslLb0ELi4ELb0EEEvNS_4cuda6detail10TensorInfoIT_T0_EENS4_IKS5_S6_EEllS6_
	.p2align	8
	.type	_ZN2at6native16triu_tril_kernelIslLb0ELi4ELb0EEEvNS_4cuda6detail10TensorInfoIT_T0_EENS4_IKS5_S6_EEllS6_,@function
_ZN2at6native16triu_tril_kernelIslLb0ELi4ELb0EEEvNS_4cuda6detail10TensorInfoIT_T0_EENS4_IKS5_S6_EEllS6_: ; @_ZN2at6native16triu_tril_kernelIslLb0ELi4ELb0EEEvNS_4cuda6detail10TensorInfoIT_T0_EENS4_IKS5_S6_EEllS6_
; %bb.0:
	s_load_dword s2, s[4:5], 0x364
	s_load_dwordx4 s[8:11], s[4:5], 0x340
	s_add_u32 s0, s4, 0x358
	v_mov_b32_e32 v2, 0
	s_addc_u32 s1, s5, 0
	s_waitcnt lgkmcnt(0)
	s_and_b32 s7, s2, 0xffff
	v_mov_b32_e32 v1, v2
	v_mov_b32_e32 v3, s6
	v_mad_u64_u32 v[0:1], s[2:3], s7, v3, v[0:1]
	s_mov_b32 s33, 0xffff
	v_lshlrev_b64 v[0:1], 2, v[0:1]
	v_cmp_gt_i64_e32 vcc, s[10:11], v[0:1]
	s_and_saveexec_b64 s[2:3], vcc
	s_cbranch_execz .LBB19_44
; %bb.1:
	s_load_dword s6, s[0:1], 0x0
	s_load_dword s24, s[4:5], 0x338
	s_add_u32 s70, s4, 0x1a0
	s_addc_u32 s71, s5, 0
	s_load_dwordx2 s[2:3], s[4:5], 0x1a0
	s_waitcnt lgkmcnt(0)
	s_mul_i32 s30, s6, s7
	s_ashr_i32 s25, s24, 31
	s_lshl_b64 s[0:1], s[24:25], 3
	s_add_u32 s20, s70, s0
	s_addc_u32 s21, s71, s1
	s_add_u32 s22, s20, -8
	s_addc_u32 s23, s21, -1
	s_add_u32 s0, s4, s0
	s_load_dwordx4 s[12:15], s[22:23], 0x0
	s_load_dwordx4 s[16:19], s[20:21], 0xc0
	s_addc_u32 s1, s5, s1
	s_load_dwordx4 s[20:23], s[0:1], 0xc0
	v_cmp_gt_i64_e64 s[6:7], s[24:25], 2
	s_add_i32 s24, s24, -3
	s_waitcnt lgkmcnt(0)
	s_mul_i32 s0, s19, 6
	s_mul_hi_u32 s1, s18, 6
	s_add_i32 s73, s1, s0
	s_mul_i32 s0, s23, 6
	s_mul_hi_u32 s1, s22, 6
	s_ashr_i32 s25, s24, 31
	s_lshl_b32 s72, s30, 2
	s_lshl_b64 s[30:31], s[18:19], 2
	s_lshl_b64 s[34:35], s[22:23], 2
	s_add_i32 s75, s1, s0
	s_bitcmp0_b32 s24, 0
	s_cselect_b64 s[40:41], -1, 0
	s_lshl_b64 s[0:1], s[24:25], 3
	s_add_u32 s42, s70, s0
	s_addc_u32 s43, s71, s1
	s_add_u32 s44, s4, s0
	s_addc_u32 s45, s5, s1
	s_load_dwordx2 s[26:27], s[4:5], 0x350
	s_load_dwordx2 s[28:29], s[4:5], 0x0
	s_add_u32 s46, s24, -1
	s_addc_u32 s47, s25, -1
	s_cmp_lg_u32 s24, 0
	s_cselect_b64 s[48:49], -1, 0
	s_add_u32 s77, s4, 0xc8
	s_mul_i32 s74, s18, 6
	s_mul_i32 s76, s22, 6
	s_mov_b32 s36, s8
	s_mov_b32 s37, s9
	;; [unrolled: 1-line block ×4, first 2 shown]
	s_addc_u32 s78, s5, 0
	s_mov_b64 s[4:5], 0
	s_mov_b32 s79, 0x5040100
	s_branch .LBB19_3
.LBB19_2:                               ;   in Loop: Header=BB19_3 Depth=1
	s_or_b64 exec, exec, s[0:1]
	v_add_co_u32_e32 v0, vcc, s72, v0
	v_addc_co_u32_e32 v1, vcc, 0, v1, vcc
	v_cmp_le_i64_e32 vcc, s[10:11], v[0:1]
	s_or_b64 s[4:5], vcc, s[4:5]
	s_andn2_b64 exec, exec, s[4:5]
	s_cbranch_execz .LBB19_44
.LBB19_3:                               ; =>This Loop Header: Depth=1
                                        ;     Child Loop BB19_21 Depth 2
	s_waitcnt lgkmcnt(0)
	v_or_b32_e32 v3, s27, v1
	v_cmp_ne_u64_e32 vcc, 0, v[2:3]
                                        ; implicit-def: $vgpr6_vgpr7
	s_and_saveexec_b64 s[0:1], vcc
	s_xor_b64 s[50:51], exec, s[0:1]
	s_cbranch_execz .LBB19_5
; %bb.4:                                ;   in Loop: Header=BB19_3 Depth=1
	s_ashr_i32 s52, s27, 31
	s_add_u32 s0, s26, s52
	s_mov_b32 s53, s52
	s_addc_u32 s1, s27, s52
	s_xor_b64 s[54:55], s[0:1], s[52:53]
	v_cvt_f32_u32_e32 v3, s54
	v_cvt_f32_u32_e32 v4, s55
	s_sub_u32 s53, 0, s54
	s_subb_u32 s56, 0, s55
	v_ashrrev_i32_e32 v7, 31, v1
	v_mac_f32_e32 v3, 0x4f800000, v4
	v_rcp_f32_e32 v3, v3
	v_mul_f32_e32 v3, 0x5f7ffffc, v3
	v_mul_f32_e32 v4, 0x2f800000, v3
	v_trunc_f32_e32 v4, v4
	v_mac_f32_e32 v3, 0xcf800000, v4
	v_cvt_u32_f32_e32 v4, v4
	v_cvt_u32_f32_e32 v3, v3
	v_readfirstlane_b32 s57, v4
	v_readfirstlane_b32 s0, v3
	s_mul_i32 s1, s53, s57
	s_mul_hi_u32 s59, s53, s0
	s_mul_i32 s58, s56, s0
	s_add_i32 s1, s59, s1
	s_add_i32 s1, s1, s58
	s_mul_i32 s60, s53, s0
	s_mul_i32 s59, s0, s1
	s_mul_hi_u32 s61, s0, s60
	s_mul_hi_u32 s58, s0, s1
	s_add_u32 s59, s61, s59
	s_addc_u32 s58, 0, s58
	s_mul_hi_u32 s62, s57, s60
	s_mul_i32 s60, s57, s60
	s_add_u32 s59, s59, s60
	s_mul_hi_u32 s61, s57, s1
	s_addc_u32 s58, s58, s62
	s_addc_u32 s59, s61, 0
	s_mul_i32 s1, s57, s1
	s_add_u32 s1, s58, s1
	s_addc_u32 s58, 0, s59
	s_add_u32 s59, s0, s1
	s_cselect_b64 s[0:1], -1, 0
	s_cmp_lg_u64 s[0:1], 0
	s_addc_u32 s57, s57, s58
	s_mul_i32 s0, s53, s57
	s_mul_hi_u32 s1, s53, s59
	s_add_i32 s0, s1, s0
	s_mul_i32 s56, s56, s59
	s_add_i32 s0, s0, s56
	s_mul_i32 s53, s53, s59
	s_mul_hi_u32 s56, s57, s53
	s_mul_i32 s58, s57, s53
	s_mul_i32 s61, s59, s0
	s_mul_hi_u32 s53, s59, s53
	s_mul_hi_u32 s60, s59, s0
	s_add_u32 s53, s53, s61
	s_addc_u32 s60, 0, s60
	s_add_u32 s53, s53, s58
	s_mul_hi_u32 s1, s57, s0
	s_addc_u32 s53, s60, s56
	s_addc_u32 s1, s1, 0
	s_mul_i32 s0, s57, s0
	s_add_u32 s0, s53, s0
	s_addc_u32 s53, 0, s1
	s_add_u32 s56, s59, s0
	s_cselect_b64 s[0:1], -1, 0
	s_cmp_lg_u64 s[0:1], 0
	v_add_co_u32_e32 v3, vcc, v0, v7
	s_addc_u32 s53, s57, s53
	v_xor_b32_e32 v8, v3, v7
	v_mad_u64_u32 v[3:4], s[0:1], v8, s53, 0
	v_mul_hi_u32 v6, v8, s56
	v_addc_co_u32_e32 v5, vcc, v1, v7, vcc
	v_xor_b32_e32 v9, v5, v7
	v_add_co_u32_e32 v10, vcc, v6, v3
	v_addc_co_u32_e32 v11, vcc, 0, v4, vcc
	v_mad_u64_u32 v[3:4], s[0:1], v9, s56, 0
	v_mad_u64_u32 v[5:6], s[0:1], v9, s53, 0
	v_add_co_u32_e32 v3, vcc, v10, v3
	v_addc_co_u32_e32 v3, vcc, v11, v4, vcc
	v_addc_co_u32_e32 v4, vcc, 0, v6, vcc
	v_add_co_u32_e32 v5, vcc, v3, v5
	v_addc_co_u32_e32 v6, vcc, 0, v4, vcc
	v_mul_lo_u32 v10, s55, v5
	v_mul_lo_u32 v11, s54, v6
	v_mad_u64_u32 v[3:4], s[0:1], s54, v5, 0
	v_add3_u32 v4, v4, v11, v10
	v_sub_u32_e32 v10, v9, v4
	v_mov_b32_e32 v11, s55
	v_sub_co_u32_e32 v3, vcc, v8, v3
	v_subb_co_u32_e64 v8, s[0:1], v10, v11, vcc
	v_subrev_co_u32_e64 v10, s[0:1], s54, v3
	v_subbrev_co_u32_e64 v8, s[0:1], 0, v8, s[0:1]
	v_cmp_le_u32_e64 s[0:1], s55, v8
	v_cndmask_b32_e64 v11, 0, -1, s[0:1]
	v_cmp_le_u32_e64 s[0:1], s54, v10
	v_cndmask_b32_e64 v10, 0, -1, s[0:1]
	v_cmp_eq_u32_e64 s[0:1], s55, v8
	v_cndmask_b32_e64 v8, v11, v10, s[0:1]
	v_add_co_u32_e64 v10, s[0:1], 2, v5
	v_subb_co_u32_e32 v4, vcc, v9, v4, vcc
	v_addc_co_u32_e64 v11, s[0:1], 0, v6, s[0:1]
	v_cmp_le_u32_e32 vcc, s55, v4
	v_add_co_u32_e64 v12, s[0:1], 1, v5
	v_cndmask_b32_e64 v9, 0, -1, vcc
	v_cmp_le_u32_e32 vcc, s54, v3
	v_addc_co_u32_e64 v13, s[0:1], 0, v6, s[0:1]
	v_cndmask_b32_e64 v3, 0, -1, vcc
	v_cmp_eq_u32_e32 vcc, s55, v4
	v_cmp_ne_u32_e64 s[0:1], 0, v8
	v_cndmask_b32_e32 v3, v9, v3, vcc
	v_cmp_ne_u32_e32 vcc, 0, v3
	v_cndmask_b32_e64 v4, v12, v10, s[0:1]
	v_cndmask_b32_e64 v8, v13, v11, s[0:1]
	v_cndmask_b32_e32 v4, v5, v4, vcc
	v_xor_b32_e32 v5, s52, v7
	v_cndmask_b32_e32 v3, v6, v8, vcc
	v_xor_b32_e32 v4, v4, v5
	v_xor_b32_e32 v3, v3, v5
	v_sub_co_u32_e32 v6, vcc, v4, v5
	v_subb_co_u32_e32 v7, vcc, v3, v5, vcc
.LBB19_5:                               ;   in Loop: Header=BB19_3 Depth=1
	s_andn2_saveexec_b64 s[0:1], s[50:51]
	s_cbranch_execz .LBB19_7
; %bb.6:                                ;   in Loop: Header=BB19_3 Depth=1
	v_cvt_f32_u32_e32 v3, s26
	s_sub_i32 s50, 0, s26
	v_mov_b32_e32 v7, v2
	v_rcp_iflag_f32_e32 v3, v3
	v_mul_f32_e32 v3, 0x4f7ffffe, v3
	v_cvt_u32_f32_e32 v3, v3
	v_mul_lo_u32 v4, s50, v3
	v_mul_hi_u32 v4, v3, v4
	v_add_u32_e32 v3, v3, v4
	v_mul_hi_u32 v3, v0, v3
	v_mul_lo_u32 v4, v3, s26
	v_add_u32_e32 v5, 1, v3
	v_sub_u32_e32 v4, v0, v4
	v_subrev_u32_e32 v6, s26, v4
	v_cmp_le_u32_e32 vcc, s26, v4
	v_cndmask_b32_e32 v4, v4, v6, vcc
	v_cndmask_b32_e32 v3, v3, v5, vcc
	v_add_u32_e32 v5, 1, v3
	v_cmp_le_u32_e32 vcc, s26, v4
	v_cndmask_b32_e32 v6, v3, v5, vcc
.LBB19_7:                               ;   in Loop: Header=BB19_3 Depth=1
	s_or_b64 exec, exec, s[0:1]
	v_or_b32_e32 v3, s13, v7
	v_cmp_ne_u64_e32 vcc, 0, v[2:3]
                                        ; implicit-def: $vgpr10_vgpr11
	s_and_saveexec_b64 s[0:1], vcc
	s_xor_b64 s[50:51], exec, s[0:1]
	s_cbranch_execz .LBB19_9
; %bb.8:                                ;   in Loop: Header=BB19_3 Depth=1
	s_ashr_i32 s52, s13, 31
	s_add_u32 s0, s12, s52
	s_mov_b32 s53, s52
	s_addc_u32 s1, s13, s52
	s_xor_b64 s[54:55], s[0:1], s[52:53]
	v_cvt_f32_u32_e32 v3, s54
	v_cvt_f32_u32_e32 v4, s55
	s_sub_u32 s53, 0, s54
	s_subb_u32 s56, 0, s55
	v_ashrrev_i32_e32 v5, 31, v7
	v_mac_f32_e32 v3, 0x4f800000, v4
	v_rcp_f32_e32 v3, v3
	v_mul_f32_e32 v3, 0x5f7ffffc, v3
	v_mul_f32_e32 v4, 0x2f800000, v3
	v_trunc_f32_e32 v4, v4
	v_mac_f32_e32 v3, 0xcf800000, v4
	v_cvt_u32_f32_e32 v4, v4
	v_cvt_u32_f32_e32 v3, v3
	v_readfirstlane_b32 s57, v4
	v_readfirstlane_b32 s0, v3
	s_mul_i32 s1, s53, s57
	s_mul_hi_u32 s59, s53, s0
	s_mul_i32 s58, s56, s0
	s_add_i32 s1, s59, s1
	s_add_i32 s1, s1, s58
	s_mul_i32 s60, s53, s0
	s_mul_i32 s59, s0, s1
	s_mul_hi_u32 s61, s0, s60
	s_mul_hi_u32 s58, s0, s1
	s_add_u32 s59, s61, s59
	s_addc_u32 s58, 0, s58
	s_mul_hi_u32 s62, s57, s60
	s_mul_i32 s60, s57, s60
	s_add_u32 s59, s59, s60
	s_mul_hi_u32 s61, s57, s1
	s_addc_u32 s58, s58, s62
	s_addc_u32 s59, s61, 0
	s_mul_i32 s1, s57, s1
	s_add_u32 s1, s58, s1
	s_addc_u32 s58, 0, s59
	s_add_u32 s59, s0, s1
	s_cselect_b64 s[0:1], -1, 0
	s_cmp_lg_u64 s[0:1], 0
	s_addc_u32 s57, s57, s58
	s_mul_i32 s0, s53, s57
	s_mul_hi_u32 s1, s53, s59
	s_add_i32 s0, s1, s0
	s_mul_i32 s56, s56, s59
	s_add_i32 s0, s0, s56
	s_mul_i32 s53, s53, s59
	s_mul_hi_u32 s56, s57, s53
	s_mul_i32 s58, s57, s53
	s_mul_i32 s61, s59, s0
	s_mul_hi_u32 s53, s59, s53
	s_mul_hi_u32 s60, s59, s0
	s_add_u32 s53, s53, s61
	s_addc_u32 s60, 0, s60
	s_add_u32 s53, s53, s58
	s_mul_hi_u32 s1, s57, s0
	s_addc_u32 s53, s60, s56
	s_addc_u32 s1, s1, 0
	s_mul_i32 s0, s57, s0
	s_add_u32 s0, s53, s0
	s_addc_u32 s53, 0, s1
	s_add_u32 s56, s59, s0
	s_cselect_b64 s[0:1], -1, 0
	s_cmp_lg_u64 s[0:1], 0
	v_add_co_u32_e32 v3, vcc, v6, v5
	s_addc_u32 s53, s57, s53
	v_xor_b32_e32 v10, v3, v5
	v_mad_u64_u32 v[3:4], s[0:1], v10, s53, 0
	v_mul_hi_u32 v9, v10, s56
	v_addc_co_u32_e32 v8, vcc, v7, v5, vcc
	v_xor_b32_e32 v11, v8, v5
	v_add_co_u32_e32 v12, vcc, v9, v3
	v_addc_co_u32_e32 v13, vcc, 0, v4, vcc
	v_mad_u64_u32 v[3:4], s[0:1], v11, s56, 0
	v_mad_u64_u32 v[8:9], s[0:1], v11, s53, 0
	v_add_co_u32_e32 v3, vcc, v12, v3
	v_addc_co_u32_e32 v3, vcc, v13, v4, vcc
	v_addc_co_u32_e32 v4, vcc, 0, v9, vcc
	v_add_co_u32_e32 v8, vcc, v3, v8
	v_addc_co_u32_e32 v9, vcc, 0, v4, vcc
	v_mul_lo_u32 v12, s55, v8
	v_mul_lo_u32 v13, s54, v9
	v_mad_u64_u32 v[3:4], s[0:1], s54, v8, 0
	v_xor_b32_e32 v5, s52, v5
	v_add3_u32 v4, v4, v13, v12
	v_sub_u32_e32 v12, v11, v4
	v_mov_b32_e32 v13, s55
	v_sub_co_u32_e32 v3, vcc, v10, v3
	v_subb_co_u32_e64 v10, s[0:1], v12, v13, vcc
	v_subrev_co_u32_e64 v12, s[0:1], s54, v3
	v_subbrev_co_u32_e64 v10, s[0:1], 0, v10, s[0:1]
	v_cmp_le_u32_e64 s[0:1], s55, v10
	v_cndmask_b32_e64 v13, 0, -1, s[0:1]
	v_cmp_le_u32_e64 s[0:1], s54, v12
	v_cndmask_b32_e64 v12, 0, -1, s[0:1]
	v_cmp_eq_u32_e64 s[0:1], s55, v10
	v_cndmask_b32_e64 v10, v13, v12, s[0:1]
	v_add_co_u32_e64 v12, s[0:1], 2, v8
	v_subb_co_u32_e32 v4, vcc, v11, v4, vcc
	v_addc_co_u32_e64 v13, s[0:1], 0, v9, s[0:1]
	v_cmp_le_u32_e32 vcc, s55, v4
	v_add_co_u32_e64 v14, s[0:1], 1, v8
	v_cndmask_b32_e64 v11, 0, -1, vcc
	v_cmp_le_u32_e32 vcc, s54, v3
	v_addc_co_u32_e64 v15, s[0:1], 0, v9, s[0:1]
	v_cndmask_b32_e64 v3, 0, -1, vcc
	v_cmp_eq_u32_e32 vcc, s55, v4
	v_cmp_ne_u32_e64 s[0:1], 0, v10
	v_cndmask_b32_e32 v3, v11, v3, vcc
	v_cmp_ne_u32_e32 vcc, 0, v3
	v_cndmask_b32_e64 v4, v14, v12, s[0:1]
	v_cndmask_b32_e64 v10, v15, v13, s[0:1]
	v_cndmask_b32_e32 v4, v8, v4, vcc
	v_cndmask_b32_e32 v3, v9, v10, vcc
	v_xor_b32_e32 v4, v4, v5
	v_xor_b32_e32 v3, v3, v5
	v_sub_co_u32_e32 v10, vcc, v4, v5
	v_subb_co_u32_e32 v11, vcc, v3, v5, vcc
.LBB19_9:                               ;   in Loop: Header=BB19_3 Depth=1
	s_andn2_saveexec_b64 s[0:1], s[50:51]
	s_cbranch_execz .LBB19_11
; %bb.10:                               ;   in Loop: Header=BB19_3 Depth=1
	v_cvt_f32_u32_e32 v3, s12
	s_sub_i32 s50, 0, s12
	v_mov_b32_e32 v11, v2
	v_rcp_iflag_f32_e32 v3, v3
	v_mul_f32_e32 v3, 0x4f7ffffe, v3
	v_cvt_u32_f32_e32 v3, v3
	v_mul_lo_u32 v4, s50, v3
	v_mul_hi_u32 v4, v3, v4
	v_add_u32_e32 v3, v3, v4
	v_mul_hi_u32 v3, v6, v3
	v_mul_lo_u32 v4, v3, s12
	v_add_u32_e32 v5, 1, v3
	v_sub_u32_e32 v4, v6, v4
	v_subrev_u32_e32 v8, s12, v4
	v_cmp_le_u32_e32 vcc, s12, v4
	v_cndmask_b32_e32 v4, v4, v8, vcc
	v_cndmask_b32_e32 v3, v3, v5, vcc
	v_add_u32_e32 v5, 1, v3
	v_cmp_le_u32_e32 vcc, s12, v4
	v_cndmask_b32_e32 v10, v3, v5, vcc
.LBB19_11:                              ;   in Loop: Header=BB19_3 Depth=1
	s_or_b64 exec, exec, s[0:1]
	v_mul_lo_u32 v5, v7, s26
	v_mul_lo_u32 v8, v6, s27
	v_mad_u64_u32 v[3:4], s[0:1], v6, s26, 0
	v_mul_lo_u32 v12, v11, s12
	v_mul_lo_u32 v13, v10, s13
	v_add3_u32 v5, v4, v8, v5
	v_mad_u64_u32 v[8:9], s[0:1], v10, s12, 0
	v_sub_co_u32_e32 v4, vcc, v0, v3
	v_subb_co_u32_e32 v5, vcc, v1, v5, vcc
	v_add3_u32 v3, v9, v13, v12
	v_mul_lo_u32 v9, s19, v4
	v_mul_lo_u32 v14, s18, v5
	v_mad_u64_u32 v[12:13], s[0:1], s18, v4, 0
	v_sub_co_u32_e32 v16, vcc, v6, v8
	v_subb_co_u32_e32 v17, vcc, v7, v3, vcc
	v_add3_u32 v13, v13, v14, v9
	v_mul_lo_u32 v3, s23, v4
	v_mul_lo_u32 v14, s22, v5
	v_mad_u64_u32 v[6:7], s[0:1], s22, v4, 0
	v_mad_u64_u32 v[8:9], s[0:1], s16, v16, v[12:13]
	v_mul_lo_u32 v12, s16, v17
	v_mul_lo_u32 v13, s17, v16
	v_add3_u32 v7, v7, v14, v3
	v_mad_u64_u32 v[6:7], s[0:1], s20, v16, v[6:7]
	v_add3_u32 v9, v13, v9, v12
	v_mul_lo_u32 v3, s20, v17
	v_mul_lo_u32 v12, s21, v16
	s_andn2_b64 vcc, exec, s[6:7]
	v_add3_u32 v7, v12, v7, v3
	s_cbranch_vccnz .LBB19_29
; %bb.12:                               ;   in Loop: Header=BB19_3 Depth=1
	s_andn2_b64 vcc, exec, s[40:41]
	s_cbranch_vccnz .LBB19_18
; %bb.13:                               ;   in Loop: Header=BB19_3 Depth=1
	s_load_dwordx2 s[50:51], s[42:43], 0x8
                                        ; implicit-def: $vgpr12_vgpr13
	s_waitcnt lgkmcnt(0)
	v_or_b32_e32 v3, s51, v11
	v_cmp_ne_u64_e32 vcc, 0, v[2:3]
	s_and_saveexec_b64 s[0:1], vcc
	s_xor_b64 s[52:53], exec, s[0:1]
	s_cbranch_execz .LBB19_15
; %bb.14:                               ;   in Loop: Header=BB19_3 Depth=1
	s_ashr_i32 s54, s51, 31
	s_add_u32 s0, s50, s54
	s_mov_b32 s55, s54
	s_addc_u32 s1, s51, s54
	s_xor_b64 s[56:57], s[0:1], s[54:55]
	v_cvt_f32_u32_e32 v3, s56
	v_cvt_f32_u32_e32 v12, s57
	s_sub_u32 s55, 0, s56
	s_subb_u32 s58, 0, s57
	v_mac_f32_e32 v3, 0x4f800000, v12
	v_rcp_f32_e32 v3, v3
	v_mul_f32_e32 v3, 0x5f7ffffc, v3
	v_mul_f32_e32 v12, 0x2f800000, v3
	v_trunc_f32_e32 v12, v12
	v_mac_f32_e32 v3, 0xcf800000, v12
	v_cvt_u32_f32_e32 v12, v12
	v_cvt_u32_f32_e32 v3, v3
	v_readfirstlane_b32 s59, v12
	v_readfirstlane_b32 s0, v3
	s_mul_i32 s1, s55, s59
	s_mul_hi_u32 s61, s55, s0
	s_mul_i32 s60, s58, s0
	s_add_i32 s1, s61, s1
	s_add_i32 s1, s1, s60
	s_mul_i32 s62, s55, s0
	s_mul_i32 s61, s0, s1
	s_mul_hi_u32 s63, s0, s62
	s_mul_hi_u32 s60, s0, s1
	s_add_u32 s61, s63, s61
	s_addc_u32 s60, 0, s60
	s_mul_hi_u32 s64, s59, s62
	s_mul_i32 s62, s59, s62
	s_add_u32 s61, s61, s62
	s_mul_hi_u32 s63, s59, s1
	s_addc_u32 s60, s60, s64
	s_addc_u32 s61, s63, 0
	s_mul_i32 s1, s59, s1
	s_add_u32 s1, s60, s1
	s_addc_u32 s60, 0, s61
	s_add_u32 s61, s0, s1
	s_cselect_b64 s[0:1], -1, 0
	s_cmp_lg_u64 s[0:1], 0
	s_addc_u32 s59, s59, s60
	s_mul_i32 s0, s55, s59
	s_mul_hi_u32 s1, s55, s61
	s_add_i32 s0, s1, s0
	s_mul_i32 s58, s58, s61
	s_add_i32 s0, s0, s58
	s_mul_i32 s55, s55, s61
	s_mul_hi_u32 s58, s59, s55
	s_mul_i32 s60, s59, s55
	s_mul_i32 s63, s61, s0
	s_mul_hi_u32 s55, s61, s55
	s_mul_hi_u32 s62, s61, s0
	s_add_u32 s55, s55, s63
	s_addc_u32 s62, 0, s62
	s_add_u32 s55, s55, s60
	s_mul_hi_u32 s1, s59, s0
	s_addc_u32 s55, s62, s58
	s_addc_u32 s1, s1, 0
	s_mul_i32 s0, s59, s0
	s_add_u32 s0, s55, s0
	s_addc_u32 s55, 0, s1
	s_add_u32 s58, s61, s0
	s_cselect_b64 s[0:1], -1, 0
	v_ashrrev_i32_e32 v3, 31, v11
	s_cmp_lg_u64 s[0:1], 0
	v_add_co_u32_e32 v12, vcc, v10, v3
	s_addc_u32 s55, s59, s55
	v_xor_b32_e32 v18, v12, v3
	v_mad_u64_u32 v[12:13], s[0:1], v18, s55, 0
	v_mul_hi_u32 v15, v18, s58
	v_addc_co_u32_e32 v14, vcc, v11, v3, vcc
	v_xor_b32_e32 v19, v14, v3
	v_add_co_u32_e32 v20, vcc, v15, v12
	v_addc_co_u32_e32 v21, vcc, 0, v13, vcc
	v_mad_u64_u32 v[12:13], s[0:1], v19, s58, 0
	v_mad_u64_u32 v[14:15], s[0:1], v19, s55, 0
	v_add_co_u32_e32 v12, vcc, v20, v12
	v_addc_co_u32_e32 v12, vcc, v21, v13, vcc
	v_addc_co_u32_e32 v13, vcc, 0, v15, vcc
	v_add_co_u32_e32 v14, vcc, v12, v14
	v_addc_co_u32_e32 v15, vcc, 0, v13, vcc
	v_mul_lo_u32 v20, s57, v14
	v_mul_lo_u32 v21, s56, v15
	v_mad_u64_u32 v[12:13], s[0:1], s56, v14, 0
	v_xor_b32_e32 v3, s54, v3
	v_add3_u32 v13, v13, v21, v20
	v_sub_u32_e32 v20, v19, v13
	v_mov_b32_e32 v21, s57
	v_sub_co_u32_e32 v12, vcc, v18, v12
	v_subb_co_u32_e64 v18, s[0:1], v20, v21, vcc
	v_subrev_co_u32_e64 v20, s[0:1], s56, v12
	v_subbrev_co_u32_e64 v18, s[0:1], 0, v18, s[0:1]
	v_cmp_le_u32_e64 s[0:1], s57, v18
	v_cndmask_b32_e64 v21, 0, -1, s[0:1]
	v_cmp_le_u32_e64 s[0:1], s56, v20
	v_cndmask_b32_e64 v20, 0, -1, s[0:1]
	v_cmp_eq_u32_e64 s[0:1], s57, v18
	v_cndmask_b32_e64 v18, v21, v20, s[0:1]
	v_add_co_u32_e64 v20, s[0:1], 2, v14
	v_subb_co_u32_e32 v13, vcc, v19, v13, vcc
	v_addc_co_u32_e64 v21, s[0:1], 0, v15, s[0:1]
	v_cmp_le_u32_e32 vcc, s57, v13
	v_add_co_u32_e64 v22, s[0:1], 1, v14
	v_cndmask_b32_e64 v19, 0, -1, vcc
	v_cmp_le_u32_e32 vcc, s56, v12
	v_addc_co_u32_e64 v23, s[0:1], 0, v15, s[0:1]
	v_cndmask_b32_e64 v12, 0, -1, vcc
	v_cmp_eq_u32_e32 vcc, s57, v13
	v_cmp_ne_u32_e64 s[0:1], 0, v18
	v_cndmask_b32_e32 v12, v19, v12, vcc
	v_cndmask_b32_e64 v18, v23, v21, s[0:1]
	v_cmp_ne_u32_e32 vcc, 0, v12
	v_cndmask_b32_e64 v13, v22, v20, s[0:1]
	v_cndmask_b32_e32 v12, v15, v18, vcc
	v_cndmask_b32_e32 v13, v14, v13, vcc
	v_xor_b32_e32 v14, v12, v3
	v_xor_b32_e32 v12, v13, v3
	v_sub_co_u32_e32 v12, vcc, v12, v3
	v_subb_co_u32_e32 v13, vcc, v14, v3, vcc
.LBB19_15:                              ;   in Loop: Header=BB19_3 Depth=1
	s_andn2_saveexec_b64 s[0:1], s[52:53]
	s_cbranch_execz .LBB19_17
; %bb.16:                               ;   in Loop: Header=BB19_3 Depth=1
	v_cvt_f32_u32_e32 v3, s50
	s_sub_i32 s52, 0, s50
	v_rcp_iflag_f32_e32 v3, v3
	v_mul_f32_e32 v3, 0x4f7ffffe, v3
	v_cvt_u32_f32_e32 v3, v3
	v_mul_lo_u32 v12, s52, v3
	v_mul_hi_u32 v12, v3, v12
	v_add_u32_e32 v3, v3, v12
	v_mul_hi_u32 v3, v10, v3
	v_mul_lo_u32 v12, v3, s50
	v_add_u32_e32 v13, 1, v3
	v_sub_u32_e32 v12, v10, v12
	v_subrev_u32_e32 v14, s50, v12
	v_cmp_le_u32_e32 vcc, s50, v12
	v_cndmask_b32_e32 v12, v12, v14, vcc
	v_cndmask_b32_e32 v3, v3, v13, vcc
	v_add_u32_e32 v13, 1, v3
	v_cmp_le_u32_e32 vcc, s50, v12
	v_cndmask_b32_e32 v12, v3, v13, vcc
	v_mov_b32_e32 v13, v2
.LBB19_17:                              ;   in Loop: Header=BB19_3 Depth=1
	s_or_b64 exec, exec, s[0:1]
	v_mul_lo_u32 v3, v13, s50
	v_mul_lo_u32 v18, v12, s51
	v_mad_u64_u32 v[14:15], s[0:1], v12, s50, 0
	s_load_dwordx2 s[0:1], s[42:43], 0xd0
	s_load_dwordx2 s[50:51], s[44:45], 0xd0
	v_add3_u32 v3, v15, v18, v3
	v_sub_co_u32_e32 v10, vcc, v10, v14
	v_subb_co_u32_e32 v3, vcc, v11, v3, vcc
	s_waitcnt lgkmcnt(0)
	v_mul_lo_u32 v11, s0, v3
	v_mul_lo_u32 v14, s1, v10
	v_mad_u64_u32 v[8:9], s[0:1], s0, v10, v[8:9]
	v_mul_lo_u32 v3, s50, v3
	v_mul_lo_u32 v15, s51, v10
	v_mad_u64_u32 v[6:7], s[0:1], s50, v10, v[6:7]
	v_add3_u32 v9, v14, v9, v11
	v_mov_b32_e32 v10, v12
	v_add3_u32 v7, v15, v7, v3
	v_mov_b32_e32 v11, v13
	s_mov_b64 s[0:1], s[46:47]
	s_andn2_b64 vcc, exec, s[48:49]
	s_cbranch_vccz .LBB19_19
	s_branch .LBB19_29
.LBB19_18:                              ;   in Loop: Header=BB19_3 Depth=1
	s_mov_b64 s[0:1], s[24:25]
	s_andn2_b64 vcc, exec, s[48:49]
	s_cbranch_vccnz .LBB19_29
.LBB19_19:                              ;   in Loop: Header=BB19_3 Depth=1
	s_lshl_b64 s[52:53], s[0:1], 3
	s_add_u32 s50, s77, s52
	s_addc_u32 s51, s78, s53
	s_add_u32 s52, s70, s52
	s_addc_u32 s53, s71, s53
	;; [unrolled: 2-line block ×3, first 2 shown]
	s_branch .LBB19_21
.LBB19_20:                              ;   in Loop: Header=BB19_21 Depth=2
	s_or_b64 exec, exec, s[0:1]
	v_mul_lo_u32 v3, v13, s56
	v_mul_lo_u32 v20, v12, s57
	v_mad_u64_u32 v[18:19], s[0:1], v12, s56, 0
	v_mul_lo_u32 v21, v15, s58
	v_mul_lo_u32 v22, v14, s59
	v_add3_u32 v3, v19, v20, v3
	v_sub_co_u32_e32 v10, vcc, v10, v18
	v_subb_co_u32_e32 v3, vcc, v11, v3, vcc
	v_mul_lo_u32 v18, s62, v3
	v_mul_lo_u32 v19, s63, v10
	v_mad_u64_u32 v[8:9], s[0:1], s62, v10, v[8:9]
	v_mul_lo_u32 v3, s60, v3
	v_mul_lo_u32 v20, s61, v10
	v_mad_u64_u32 v[6:7], s[0:1], s60, v10, v[6:7]
	v_mad_u64_u32 v[10:11], s[0:1], v14, s58, 0
	s_load_dwordx2 s[0:1], s[52:53], 0xc8
	s_load_dwordx2 s[56:57], s[50:51], 0x0
	v_add3_u32 v7, v20, v7, v3
	v_add3_u32 v3, v11, v22, v21
	v_sub_co_u32_e32 v10, vcc, v12, v10
	v_add3_u32 v9, v19, v9, v18
	v_subb_co_u32_e32 v3, vcc, v13, v3, vcc
	s_add_u32 s50, s50, -16
	s_waitcnt lgkmcnt(0)
	v_mad_u64_u32 v[8:9], s[58:59], s0, v10, v[8:9]
	v_mul_lo_u32 v11, s0, v3
	v_mul_lo_u32 v12, s1, v10
	v_mad_u64_u32 v[6:7], s[0:1], s56, v10, v[6:7]
	v_mul_lo_u32 v3, s56, v3
	v_mul_lo_u32 v10, s57, v10
	s_addc_u32 s51, s51, -1
	s_add_u32 s52, s52, -16
	s_addc_u32 s53, s53, -1
	s_add_u32 s54, s54, -2
	v_add3_u32 v9, v12, v9, v11
	v_add3_u32 v7, v10, v7, v3
	s_addc_u32 s55, s55, -1
	v_mov_b32_e32 v10, v14
	s_cmp_eq_u64 s[54:55], 0
	v_mov_b32_e32 v11, v15
	s_cbranch_scc1 .LBB19_29
.LBB19_21:                              ;   Parent Loop BB19_3 Depth=1
                                        ; =>  This Inner Loop Header: Depth=2
	s_load_dwordx2 s[56:57], s[52:53], 0x8
                                        ; implicit-def: $vgpr12_vgpr13
	s_waitcnt lgkmcnt(0)
	v_or_b32_e32 v3, s57, v11
	v_cmp_ne_u64_e32 vcc, 0, v[2:3]
	s_and_saveexec_b64 s[0:1], vcc
	s_xor_b64 s[58:59], exec, s[0:1]
	s_cbranch_execz .LBB19_23
; %bb.22:                               ;   in Loop: Header=BB19_21 Depth=2
	s_ashr_i32 s60, s57, 31
	s_add_u32 s0, s56, s60
	s_mov_b32 s61, s60
	s_addc_u32 s1, s57, s60
	s_xor_b64 s[62:63], s[0:1], s[60:61]
	v_cvt_f32_u32_e32 v3, s62
	v_cvt_f32_u32_e32 v12, s63
	s_sub_u32 s61, 0, s62
	s_subb_u32 s64, 0, s63
	v_mac_f32_e32 v3, 0x4f800000, v12
	v_rcp_f32_e32 v3, v3
	v_mul_f32_e32 v3, 0x5f7ffffc, v3
	v_mul_f32_e32 v12, 0x2f800000, v3
	v_trunc_f32_e32 v12, v12
	v_mac_f32_e32 v3, 0xcf800000, v12
	v_cvt_u32_f32_e32 v12, v12
	v_cvt_u32_f32_e32 v3, v3
	v_readfirstlane_b32 s65, v12
	v_readfirstlane_b32 s0, v3
	s_mul_i32 s1, s61, s65
	s_mul_hi_u32 s67, s61, s0
	s_mul_i32 s66, s64, s0
	s_add_i32 s1, s67, s1
	s_add_i32 s1, s1, s66
	s_mul_i32 s68, s61, s0
	s_mul_i32 s67, s0, s1
	s_mul_hi_u32 s69, s0, s68
	s_mul_hi_u32 s66, s0, s1
	s_add_u32 s67, s69, s67
	s_addc_u32 s66, 0, s66
	s_mul_hi_u32 s80, s65, s68
	s_mul_i32 s68, s65, s68
	s_add_u32 s67, s67, s68
	s_mul_hi_u32 s69, s65, s1
	s_addc_u32 s66, s66, s80
	s_addc_u32 s67, s69, 0
	s_mul_i32 s1, s65, s1
	s_add_u32 s1, s66, s1
	s_addc_u32 s66, 0, s67
	s_add_u32 s67, s0, s1
	s_cselect_b64 s[0:1], -1, 0
	s_cmp_lg_u64 s[0:1], 0
	s_addc_u32 s65, s65, s66
	s_mul_i32 s0, s61, s65
	s_mul_hi_u32 s1, s61, s67
	s_add_i32 s0, s1, s0
	s_mul_i32 s64, s64, s67
	s_add_i32 s0, s0, s64
	s_mul_i32 s61, s61, s67
	s_mul_hi_u32 s64, s65, s61
	s_mul_i32 s66, s65, s61
	s_mul_i32 s69, s67, s0
	s_mul_hi_u32 s61, s67, s61
	s_mul_hi_u32 s68, s67, s0
	s_add_u32 s61, s61, s69
	s_addc_u32 s68, 0, s68
	s_add_u32 s61, s61, s66
	s_mul_hi_u32 s1, s65, s0
	s_addc_u32 s61, s68, s64
	s_addc_u32 s1, s1, 0
	s_mul_i32 s0, s65, s0
	s_add_u32 s0, s61, s0
	s_addc_u32 s61, 0, s1
	s_add_u32 s64, s67, s0
	s_cselect_b64 s[0:1], -1, 0
	v_ashrrev_i32_e32 v3, 31, v11
	s_cmp_lg_u64 s[0:1], 0
	v_add_co_u32_e32 v12, vcc, v10, v3
	s_addc_u32 s61, s65, s61
	v_xor_b32_e32 v18, v12, v3
	v_mad_u64_u32 v[12:13], s[0:1], v18, s61, 0
	v_mul_hi_u32 v15, v18, s64
	v_addc_co_u32_e32 v14, vcc, v11, v3, vcc
	v_xor_b32_e32 v19, v14, v3
	v_add_co_u32_e32 v20, vcc, v15, v12
	v_addc_co_u32_e32 v21, vcc, 0, v13, vcc
	v_mad_u64_u32 v[12:13], s[0:1], v19, s64, 0
	v_mad_u64_u32 v[14:15], s[0:1], v19, s61, 0
	v_add_co_u32_e32 v12, vcc, v20, v12
	v_addc_co_u32_e32 v12, vcc, v21, v13, vcc
	v_addc_co_u32_e32 v13, vcc, 0, v15, vcc
	v_add_co_u32_e32 v14, vcc, v12, v14
	v_addc_co_u32_e32 v15, vcc, 0, v13, vcc
	v_mul_lo_u32 v20, s63, v14
	v_mul_lo_u32 v21, s62, v15
	v_mad_u64_u32 v[12:13], s[0:1], s62, v14, 0
	v_xor_b32_e32 v3, s60, v3
	v_add3_u32 v13, v13, v21, v20
	v_sub_u32_e32 v20, v19, v13
	v_mov_b32_e32 v21, s63
	v_sub_co_u32_e32 v12, vcc, v18, v12
	v_subb_co_u32_e64 v18, s[0:1], v20, v21, vcc
	v_subrev_co_u32_e64 v20, s[0:1], s62, v12
	v_subbrev_co_u32_e64 v18, s[0:1], 0, v18, s[0:1]
	v_cmp_le_u32_e64 s[0:1], s63, v18
	v_cndmask_b32_e64 v21, 0, -1, s[0:1]
	v_cmp_le_u32_e64 s[0:1], s62, v20
	v_cndmask_b32_e64 v20, 0, -1, s[0:1]
	v_cmp_eq_u32_e64 s[0:1], s63, v18
	v_cndmask_b32_e64 v18, v21, v20, s[0:1]
	v_add_co_u32_e64 v20, s[0:1], 2, v14
	v_subb_co_u32_e32 v13, vcc, v19, v13, vcc
	v_addc_co_u32_e64 v21, s[0:1], 0, v15, s[0:1]
	v_cmp_le_u32_e32 vcc, s63, v13
	v_add_co_u32_e64 v22, s[0:1], 1, v14
	v_cndmask_b32_e64 v19, 0, -1, vcc
	v_cmp_le_u32_e32 vcc, s62, v12
	v_addc_co_u32_e64 v23, s[0:1], 0, v15, s[0:1]
	v_cndmask_b32_e64 v12, 0, -1, vcc
	v_cmp_eq_u32_e32 vcc, s63, v13
	v_cmp_ne_u32_e64 s[0:1], 0, v18
	v_cndmask_b32_e32 v12, v19, v12, vcc
	v_cndmask_b32_e64 v18, v23, v21, s[0:1]
	v_cmp_ne_u32_e32 vcc, 0, v12
	v_cndmask_b32_e64 v13, v22, v20, s[0:1]
	v_cndmask_b32_e32 v12, v15, v18, vcc
	v_cndmask_b32_e32 v13, v14, v13, vcc
	v_xor_b32_e32 v14, v12, v3
	v_xor_b32_e32 v12, v13, v3
	v_sub_co_u32_e32 v12, vcc, v12, v3
	v_subb_co_u32_e32 v13, vcc, v14, v3, vcc
.LBB19_23:                              ;   in Loop: Header=BB19_21 Depth=2
	s_andn2_saveexec_b64 s[0:1], s[58:59]
	s_cbranch_execz .LBB19_25
; %bb.24:                               ;   in Loop: Header=BB19_21 Depth=2
	v_cvt_f32_u32_e32 v3, s56
	s_sub_i32 s58, 0, s56
	v_rcp_iflag_f32_e32 v3, v3
	v_mul_f32_e32 v3, 0x4f7ffffe, v3
	v_cvt_u32_f32_e32 v3, v3
	v_mul_lo_u32 v12, s58, v3
	v_mul_hi_u32 v12, v3, v12
	v_add_u32_e32 v3, v3, v12
	v_mul_hi_u32 v3, v10, v3
	v_mul_lo_u32 v12, v3, s56
	v_add_u32_e32 v13, 1, v3
	v_sub_u32_e32 v12, v10, v12
	v_subrev_u32_e32 v14, s56, v12
	v_cmp_le_u32_e32 vcc, s56, v12
	v_cndmask_b32_e32 v12, v12, v14, vcc
	v_cndmask_b32_e32 v3, v3, v13, vcc
	v_add_u32_e32 v13, 1, v3
	v_cmp_le_u32_e32 vcc, s56, v12
	v_cndmask_b32_e32 v12, v3, v13, vcc
	v_mov_b32_e32 v13, v2
.LBB19_25:                              ;   in Loop: Header=BB19_21 Depth=2
	s_or_b64 exec, exec, s[0:1]
	s_load_dwordx2 s[58:59], s[52:53], 0x0
	s_load_dwordx2 s[62:63], s[52:53], 0xd0
	;; [unrolled: 1-line block ×3, first 2 shown]
                                        ; implicit-def: $vgpr14_vgpr15
	s_waitcnt lgkmcnt(0)
	v_or_b32_e32 v3, s59, v13
	v_cmp_ne_u64_e32 vcc, 0, v[2:3]
	s_and_saveexec_b64 s[0:1], vcc
	s_xor_b64 s[64:65], exec, s[0:1]
	s_cbranch_execz .LBB19_27
; %bb.26:                               ;   in Loop: Header=BB19_21 Depth=2
	s_ashr_i32 s66, s59, 31
	s_add_u32 s0, s58, s66
	s_mov_b32 s67, s66
	s_addc_u32 s1, s59, s66
	s_xor_b64 s[68:69], s[0:1], s[66:67]
	v_cvt_f32_u32_e32 v3, s68
	v_cvt_f32_u32_e32 v14, s69
	s_sub_u32 s67, 0, s68
	s_subb_u32 s80, 0, s69
	v_mac_f32_e32 v3, 0x4f800000, v14
	v_rcp_f32_e32 v3, v3
	v_mul_f32_e32 v3, 0x5f7ffffc, v3
	v_mul_f32_e32 v14, 0x2f800000, v3
	v_trunc_f32_e32 v14, v14
	v_mac_f32_e32 v3, 0xcf800000, v14
	v_cvt_u32_f32_e32 v14, v14
	v_cvt_u32_f32_e32 v3, v3
	v_readfirstlane_b32 s81, v14
	v_readfirstlane_b32 s0, v3
	s_mul_i32 s1, s67, s81
	s_mul_hi_u32 s83, s67, s0
	s_mul_i32 s82, s80, s0
	s_add_i32 s1, s83, s1
	s_add_i32 s1, s1, s82
	s_mul_i32 s84, s67, s0
	s_mul_i32 s83, s0, s1
	s_mul_hi_u32 s85, s0, s84
	s_mul_hi_u32 s82, s0, s1
	s_add_u32 s83, s85, s83
	s_addc_u32 s82, 0, s82
	s_mul_hi_u32 s86, s81, s84
	s_mul_i32 s84, s81, s84
	s_add_u32 s83, s83, s84
	s_mul_hi_u32 s85, s81, s1
	s_addc_u32 s82, s82, s86
	s_addc_u32 s83, s85, 0
	s_mul_i32 s1, s81, s1
	s_add_u32 s1, s82, s1
	s_addc_u32 s82, 0, s83
	s_add_u32 s83, s0, s1
	s_cselect_b64 s[0:1], -1, 0
	s_cmp_lg_u64 s[0:1], 0
	s_addc_u32 s81, s81, s82
	s_mul_i32 s0, s67, s81
	s_mul_hi_u32 s1, s67, s83
	s_add_i32 s0, s1, s0
	s_mul_i32 s80, s80, s83
	s_add_i32 s0, s0, s80
	s_mul_i32 s67, s67, s83
	s_mul_hi_u32 s80, s81, s67
	s_mul_i32 s82, s81, s67
	s_mul_i32 s85, s83, s0
	s_mul_hi_u32 s67, s83, s67
	s_mul_hi_u32 s84, s83, s0
	s_add_u32 s67, s67, s85
	s_addc_u32 s84, 0, s84
	s_add_u32 s67, s67, s82
	s_mul_hi_u32 s1, s81, s0
	s_addc_u32 s67, s84, s80
	s_addc_u32 s1, s1, 0
	s_mul_i32 s0, s81, s0
	s_add_u32 s0, s67, s0
	s_addc_u32 s67, 0, s1
	s_add_u32 s80, s83, s0
	s_cselect_b64 s[0:1], -1, 0
	v_ashrrev_i32_e32 v3, 31, v13
	s_cmp_lg_u64 s[0:1], 0
	v_add_co_u32_e32 v14, vcc, v12, v3
	s_addc_u32 s67, s81, s67
	v_xor_b32_e32 v20, v14, v3
	v_mad_u64_u32 v[14:15], s[0:1], v20, s67, 0
	v_mul_hi_u32 v19, v20, s80
	v_addc_co_u32_e32 v18, vcc, v13, v3, vcc
	v_xor_b32_e32 v21, v18, v3
	v_add_co_u32_e32 v22, vcc, v19, v14
	v_addc_co_u32_e32 v23, vcc, 0, v15, vcc
	v_mad_u64_u32 v[14:15], s[0:1], v21, s80, 0
	v_mad_u64_u32 v[18:19], s[0:1], v21, s67, 0
	v_add_co_u32_e32 v14, vcc, v22, v14
	v_addc_co_u32_e32 v14, vcc, v23, v15, vcc
	v_addc_co_u32_e32 v15, vcc, 0, v19, vcc
	v_add_co_u32_e32 v18, vcc, v14, v18
	v_addc_co_u32_e32 v19, vcc, 0, v15, vcc
	v_mul_lo_u32 v22, s69, v18
	v_mul_lo_u32 v23, s68, v19
	v_mad_u64_u32 v[14:15], s[0:1], s68, v18, 0
	v_xor_b32_e32 v3, s66, v3
	v_add3_u32 v15, v15, v23, v22
	v_sub_u32_e32 v22, v21, v15
	v_mov_b32_e32 v23, s69
	v_sub_co_u32_e32 v14, vcc, v20, v14
	v_subb_co_u32_e64 v20, s[0:1], v22, v23, vcc
	v_subrev_co_u32_e64 v22, s[0:1], s68, v14
	v_subbrev_co_u32_e64 v20, s[0:1], 0, v20, s[0:1]
	v_cmp_le_u32_e64 s[0:1], s69, v20
	v_cndmask_b32_e64 v23, 0, -1, s[0:1]
	v_cmp_le_u32_e64 s[0:1], s68, v22
	v_cndmask_b32_e64 v22, 0, -1, s[0:1]
	v_cmp_eq_u32_e64 s[0:1], s69, v20
	v_cndmask_b32_e64 v20, v23, v22, s[0:1]
	v_add_co_u32_e64 v22, s[0:1], 2, v18
	v_subb_co_u32_e32 v15, vcc, v21, v15, vcc
	v_addc_co_u32_e64 v23, s[0:1], 0, v19, s[0:1]
	v_cmp_le_u32_e32 vcc, s69, v15
	v_add_co_u32_e64 v24, s[0:1], 1, v18
	v_cndmask_b32_e64 v21, 0, -1, vcc
	v_cmp_le_u32_e32 vcc, s68, v14
	v_addc_co_u32_e64 v25, s[0:1], 0, v19, s[0:1]
	v_cndmask_b32_e64 v14, 0, -1, vcc
	v_cmp_eq_u32_e32 vcc, s69, v15
	v_cmp_ne_u32_e64 s[0:1], 0, v20
	v_cndmask_b32_e32 v14, v21, v14, vcc
	v_cndmask_b32_e64 v20, v25, v23, s[0:1]
	v_cmp_ne_u32_e32 vcc, 0, v14
	v_cndmask_b32_e64 v15, v24, v22, s[0:1]
	v_cndmask_b32_e32 v14, v19, v20, vcc
	v_cndmask_b32_e32 v15, v18, v15, vcc
	v_xor_b32_e32 v18, v14, v3
	v_xor_b32_e32 v14, v15, v3
	v_sub_co_u32_e32 v14, vcc, v14, v3
	v_subb_co_u32_e32 v15, vcc, v18, v3, vcc
.LBB19_27:                              ;   in Loop: Header=BB19_21 Depth=2
	s_andn2_saveexec_b64 s[0:1], s[64:65]
	s_cbranch_execz .LBB19_20
; %bb.28:                               ;   in Loop: Header=BB19_21 Depth=2
	v_cvt_f32_u32_e32 v3, s58
	s_sub_i32 s64, 0, s58
	v_rcp_iflag_f32_e32 v3, v3
	v_mul_f32_e32 v3, 0x4f7ffffe, v3
	v_cvt_u32_f32_e32 v3, v3
	v_mul_lo_u32 v14, s64, v3
	v_mul_hi_u32 v14, v3, v14
	v_add_u32_e32 v3, v3, v14
	v_mul_hi_u32 v3, v12, v3
	v_mul_lo_u32 v14, v3, s58
	v_add_u32_e32 v15, 1, v3
	v_sub_u32_e32 v14, v12, v14
	v_subrev_u32_e32 v18, s58, v14
	v_cmp_le_u32_e32 vcc, s58, v14
	v_cndmask_b32_e32 v14, v14, v18, vcc
	v_cndmask_b32_e32 v3, v3, v15, vcc
	v_add_u32_e32 v15, 1, v3
	v_cmp_le_u32_e32 vcc, s58, v14
	v_cndmask_b32_e32 v14, v3, v15, vcc
	v_mov_b32_e32 v15, v2
	s_branch .LBB19_20
.LBB19_29:                              ;   in Loop: Header=BB19_3 Depth=1
	v_sub_co_u32_e32 v10, vcc, v4, v16
	v_subb_co_u32_e32 v11, vcc, v5, v17, vcc
	v_cmp_ge_i64_e32 vcc, s[8:9], v[10:11]
	v_mov_b32_e32 v3, 0
	v_mov_b32_e32 v13, 0
	s_and_saveexec_b64 s[50:51], vcc
	s_cbranch_execz .LBB19_39
; %bb.30:                               ;   in Loop: Header=BB19_3 Depth=1
	v_cmp_gt_i64_e32 vcc, s[14:15], v[4:5]
	v_mov_b32_e32 v3, 0
	v_mov_b32_e32 v12, 0
	s_and_saveexec_b64 s[0:1], vcc
	s_cbranch_execz .LBB19_38
; %bb.31:                               ;   in Loop: Header=BB19_3 Depth=1
	v_lshlrev_b64 v[8:9], 1, v[8:9]
	v_mov_b32_e32 v3, s3
	v_add_co_u32_e32 v8, vcc, s2, v8
	v_addc_co_u32_e32 v9, vcc, v3, v9, vcc
	global_load_ushort v3, v[8:9], off
	v_add_co_u32_e32 v12, vcc, 1, v4
	v_addc_co_u32_e32 v13, vcc, 0, v5, vcc
	v_cmp_gt_i64_e32 vcc, s[14:15], v[12:13]
	v_mov_b32_e32 v12, 0
	s_waitcnt vmcnt(0)
	v_and_b32_e32 v3, 0xffff, v3
	s_and_saveexec_b64 s[52:53], vcc
	s_xor_b64 s[52:53], exec, s[52:53]
	s_cbranch_execz .LBB19_37
; %bb.32:                               ;   in Loop: Header=BB19_3 Depth=1
	s_lshl_b64 s[54:55], s[18:19], 1
	v_mov_b32_e32 v13, s55
	v_add_co_u32_e32 v12, vcc, s54, v8
	v_addc_co_u32_e32 v13, vcc, v9, v13, vcc
	global_load_ushort v14, v[12:13], off
	v_add_co_u32_e32 v12, vcc, 2, v4
	v_addc_co_u32_e32 v13, vcc, 0, v5, vcc
	v_cmp_gt_i64_e32 vcc, s[14:15], v[12:13]
	v_mov_b32_e32 v12, 0
	s_waitcnt vmcnt(0)
	v_perm_b32 v3, v14, v3, s79
	s_and_saveexec_b64 s[54:55], vcc
	s_xor_b64 s[54:55], exec, s[54:55]
	s_cbranch_execz .LBB19_36
; %bb.33:                               ;   in Loop: Header=BB19_3 Depth=1
	v_mov_b32_e32 v13, s31
	v_add_co_u32_e32 v12, vcc, s30, v8
	v_addc_co_u32_e32 v13, vcc, v9, v13, vcc
	global_load_ushort v14, v[12:13], off
	v_add_co_u32_e32 v12, vcc, 3, v4
	v_addc_co_u32_e32 v13, vcc, 0, v5, vcc
	v_cmp_gt_i64_e32 vcc, s[14:15], v[12:13]
	s_waitcnt vmcnt(0)
	v_bfi_b32 v12, s33, v14, 0
	s_and_saveexec_b64 s[56:57], vcc
	s_xor_b64 s[56:57], exec, s[56:57]
	s_cbranch_execz .LBB19_35
; %bb.34:                               ;   in Loop: Header=BB19_3 Depth=1
	v_mov_b32_e32 v13, s73
	v_add_co_u32_e32 v8, vcc, s74, v8
	v_addc_co_u32_e32 v9, vcc, v9, v13, vcc
	global_load_ushort v8, v[8:9], off
	s_waitcnt vmcnt(0)
	v_perm_b32 v12, v8, v12, s79
.LBB19_35:                              ;   in Loop: Header=BB19_3 Depth=1
	s_or_b64 exec, exec, s[56:57]
.LBB19_36:                              ;   in Loop: Header=BB19_3 Depth=1
	s_or_b64 exec, exec, s[54:55]
.LBB19_37:                              ;   in Loop: Header=BB19_3 Depth=1
	s_or_b64 exec, exec, s[52:53]
.LBB19_38:                              ;   in Loop: Header=BB19_3 Depth=1
	s_or_b64 exec, exec, s[0:1]
	v_add_co_u32_e32 v8, vcc, 1, v10
	v_addc_co_u32_e32 v9, vcc, 0, v11, vcc
	v_add_co_u32_e32 v13, vcc, 2, v10
	v_addc_co_u32_e32 v14, vcc, 0, v11, vcc
	v_cmp_ge_i64_e32 vcc, s[36:37], v[8:9]
	v_cmp_ge_i64_e64 s[0:1], s[38:39], v[13:14]
	v_cndmask_b32_sdwa v13, v2, v3, vcc dst_sel:DWORD dst_unused:UNUSED_PAD src0_sel:DWORD src1_sel:WORD_1
	v_add_co_u32_e32 v8, vcc, 3, v10
	v_addc_co_u32_e32 v9, vcc, 0, v11, vcc
	v_cmp_ge_i64_e32 vcc, s[8:9], v[8:9]
	v_cndmask_b32_e64 v14, 0, v12, s[0:1]
	v_perm_b32 v13, v13, v3, s79
	v_cndmask_b32_sdwa v3, v2, v12, vcc dst_sel:DWORD dst_unused:UNUSED_PAD src0_sel:DWORD src1_sel:WORD_1
	v_perm_b32 v3, v3, v14, s79
.LBB19_39:                              ;   in Loop: Header=BB19_3 Depth=1
	s_or_b64 exec, exec, s[50:51]
	v_cmp_gt_i64_e32 vcc, s[14:15], v[4:5]
	s_and_saveexec_b64 s[0:1], vcc
	s_cbranch_execz .LBB19_2
; %bb.40:                               ;   in Loop: Header=BB19_3 Depth=1
	v_lshlrev_b64 v[6:7], 1, v[6:7]
	v_mov_b32_e32 v8, s29
	v_add_co_u32_e32 v6, vcc, s28, v6
	v_addc_co_u32_e32 v7, vcc, v8, v7, vcc
	v_add_co_u32_e32 v8, vcc, 1, v4
	v_addc_co_u32_e32 v9, vcc, 0, v5, vcc
	v_cmp_gt_i64_e32 vcc, s[14:15], v[8:9]
	global_store_short v[6:7], v13, off
	s_and_saveexec_b64 s[50:51], vcc
	s_xor_b64 s[50:51], exec, s[50:51]
	s_cbranch_execz .LBB19_2
; %bb.41:                               ;   in Loop: Header=BB19_3 Depth=1
	s_lshl_b64 s[50:51], s[22:23], 1
	v_mov_b32_e32 v9, s51
	v_add_co_u32_e32 v8, vcc, s50, v6
	v_addc_co_u32_e32 v9, vcc, v7, v9, vcc
	v_add_co_u32_e32 v10, vcc, 2, v4
	v_addc_co_u32_e32 v11, vcc, 0, v5, vcc
	v_cmp_gt_i64_e32 vcc, s[14:15], v[10:11]
	global_store_short_d16_hi v[8:9], v13, off
	s_and_saveexec_b64 s[50:51], vcc
	s_xor_b64 s[50:51], exec, s[50:51]
	s_cbranch_execz .LBB19_2
; %bb.42:                               ;   in Loop: Header=BB19_3 Depth=1
	v_mov_b32_e32 v9, s35
	v_add_co_u32_e32 v8, vcc, s34, v6
	v_addc_co_u32_e32 v9, vcc, v7, v9, vcc
	v_add_co_u32_e32 v4, vcc, 3, v4
	v_addc_co_u32_e32 v5, vcc, 0, v5, vcc
	v_cmp_gt_i64_e32 vcc, s[14:15], v[4:5]
	global_store_short v[8:9], v3, off
	s_and_saveexec_b64 s[50:51], vcc
	s_xor_b64 s[50:51], exec, s[50:51]
	s_cbranch_execz .LBB19_2
; %bb.43:                               ;   in Loop: Header=BB19_3 Depth=1
	v_mov_b32_e32 v5, s75
	v_add_co_u32_e32 v4, vcc, s76, v6
	v_addc_co_u32_e32 v5, vcc, v7, v5, vcc
	global_store_short_d16_hi v[4:5], v3, off
	s_branch .LBB19_2
.LBB19_44:
	s_endpgm
	.section	.rodata,"a",@progbits
	.p2align	6, 0x0
	.amdhsa_kernel _ZN2at6native16triu_tril_kernelIslLb0ELi4ELb0EEEvNS_4cuda6detail10TensorInfoIT_T0_EENS4_IKS5_S6_EEllS6_
		.amdhsa_group_segment_fixed_size 0
		.amdhsa_private_segment_fixed_size 0
		.amdhsa_kernarg_size 1112
		.amdhsa_user_sgpr_count 6
		.amdhsa_user_sgpr_private_segment_buffer 1
		.amdhsa_user_sgpr_dispatch_ptr 0
		.amdhsa_user_sgpr_queue_ptr 0
		.amdhsa_user_sgpr_kernarg_segment_ptr 1
		.amdhsa_user_sgpr_dispatch_id 0
		.amdhsa_user_sgpr_flat_scratch_init 0
		.amdhsa_user_sgpr_private_segment_size 0
		.amdhsa_uses_dynamic_stack 0
		.amdhsa_system_sgpr_private_segment_wavefront_offset 0
		.amdhsa_system_sgpr_workgroup_id_x 1
		.amdhsa_system_sgpr_workgroup_id_y 0
		.amdhsa_system_sgpr_workgroup_id_z 0
		.amdhsa_system_sgpr_workgroup_info 0
		.amdhsa_system_vgpr_workitem_id 0
		.amdhsa_next_free_vgpr 26
		.amdhsa_next_free_sgpr 87
		.amdhsa_reserve_vcc 1
		.amdhsa_reserve_flat_scratch 0
		.amdhsa_float_round_mode_32 0
		.amdhsa_float_round_mode_16_64 0
		.amdhsa_float_denorm_mode_32 3
		.amdhsa_float_denorm_mode_16_64 3
		.amdhsa_dx10_clamp 1
		.amdhsa_ieee_mode 1
		.amdhsa_fp16_overflow 0
		.amdhsa_exception_fp_ieee_invalid_op 0
		.amdhsa_exception_fp_denorm_src 0
		.amdhsa_exception_fp_ieee_div_zero 0
		.amdhsa_exception_fp_ieee_overflow 0
		.amdhsa_exception_fp_ieee_underflow 0
		.amdhsa_exception_fp_ieee_inexact 0
		.amdhsa_exception_int_div_zero 0
	.end_amdhsa_kernel
	.section	.text._ZN2at6native16triu_tril_kernelIslLb0ELi4ELb0EEEvNS_4cuda6detail10TensorInfoIT_T0_EENS4_IKS5_S6_EEllS6_,"axG",@progbits,_ZN2at6native16triu_tril_kernelIslLb0ELi4ELb0EEEvNS_4cuda6detail10TensorInfoIT_T0_EENS4_IKS5_S6_EEllS6_,comdat
.Lfunc_end19:
	.size	_ZN2at6native16triu_tril_kernelIslLb0ELi4ELb0EEEvNS_4cuda6detail10TensorInfoIT_T0_EENS4_IKS5_S6_EEllS6_, .Lfunc_end19-_ZN2at6native16triu_tril_kernelIslLb0ELi4ELb0EEEvNS_4cuda6detail10TensorInfoIT_T0_EENS4_IKS5_S6_EEllS6_
                                        ; -- End function
	.set _ZN2at6native16triu_tril_kernelIslLb0ELi4ELb0EEEvNS_4cuda6detail10TensorInfoIT_T0_EENS4_IKS5_S6_EEllS6_.num_vgpr, 26
	.set _ZN2at6native16triu_tril_kernelIslLb0ELi4ELb0EEEvNS_4cuda6detail10TensorInfoIT_T0_EENS4_IKS5_S6_EEllS6_.num_agpr, 0
	.set _ZN2at6native16triu_tril_kernelIslLb0ELi4ELb0EEEvNS_4cuda6detail10TensorInfoIT_T0_EENS4_IKS5_S6_EEllS6_.numbered_sgpr, 87
	.set _ZN2at6native16triu_tril_kernelIslLb0ELi4ELb0EEEvNS_4cuda6detail10TensorInfoIT_T0_EENS4_IKS5_S6_EEllS6_.num_named_barrier, 0
	.set _ZN2at6native16triu_tril_kernelIslLb0ELi4ELb0EEEvNS_4cuda6detail10TensorInfoIT_T0_EENS4_IKS5_S6_EEllS6_.private_seg_size, 0
	.set _ZN2at6native16triu_tril_kernelIslLb0ELi4ELb0EEEvNS_4cuda6detail10TensorInfoIT_T0_EENS4_IKS5_S6_EEllS6_.uses_vcc, 1
	.set _ZN2at6native16triu_tril_kernelIslLb0ELi4ELb0EEEvNS_4cuda6detail10TensorInfoIT_T0_EENS4_IKS5_S6_EEllS6_.uses_flat_scratch, 0
	.set _ZN2at6native16triu_tril_kernelIslLb0ELi4ELb0EEEvNS_4cuda6detail10TensorInfoIT_T0_EENS4_IKS5_S6_EEllS6_.has_dyn_sized_stack, 0
	.set _ZN2at6native16triu_tril_kernelIslLb0ELi4ELb0EEEvNS_4cuda6detail10TensorInfoIT_T0_EENS4_IKS5_S6_EEllS6_.has_recursion, 0
	.set _ZN2at6native16triu_tril_kernelIslLb0ELi4ELb0EEEvNS_4cuda6detail10TensorInfoIT_T0_EENS4_IKS5_S6_EEllS6_.has_indirect_call, 0
	.section	.AMDGPU.csdata,"",@progbits
; Kernel info:
; codeLenInByte = 5360
; TotalNumSgprs: 91
; NumVgprs: 26
; ScratchSize: 0
; MemoryBound: 0
; FloatMode: 240
; IeeeMode: 1
; LDSByteSize: 0 bytes/workgroup (compile time only)
; SGPRBlocks: 11
; VGPRBlocks: 6
; NumSGPRsForWavesPerEU: 91
; NumVGPRsForWavesPerEU: 26
; Occupancy: 8
; WaveLimiterHint : 0
; COMPUTE_PGM_RSRC2:SCRATCH_EN: 0
; COMPUTE_PGM_RSRC2:USER_SGPR: 6
; COMPUTE_PGM_RSRC2:TRAP_HANDLER: 0
; COMPUTE_PGM_RSRC2:TGID_X_EN: 1
; COMPUTE_PGM_RSRC2:TGID_Y_EN: 0
; COMPUTE_PGM_RSRC2:TGID_Z_EN: 0
; COMPUTE_PGM_RSRC2:TIDIG_COMP_CNT: 0
	.section	.text._ZN2at6native16triu_tril_kernelIdiLb0ELi2ELb1EEEvNS_4cuda6detail10TensorInfoIT_T0_EENS4_IKS5_S6_EEllS6_,"axG",@progbits,_ZN2at6native16triu_tril_kernelIdiLb0ELi2ELb1EEEvNS_4cuda6detail10TensorInfoIT_T0_EENS4_IKS5_S6_EEllS6_,comdat
	.protected	_ZN2at6native16triu_tril_kernelIdiLb0ELi2ELb1EEEvNS_4cuda6detail10TensorInfoIT_T0_EENS4_IKS5_S6_EEllS6_ ; -- Begin function _ZN2at6native16triu_tril_kernelIdiLb0ELi2ELb1EEEvNS_4cuda6detail10TensorInfoIT_T0_EENS4_IKS5_S6_EEllS6_
	.globl	_ZN2at6native16triu_tril_kernelIdiLb0ELi2ELb1EEEvNS_4cuda6detail10TensorInfoIT_T0_EENS4_IKS5_S6_EEllS6_
	.p2align	8
	.type	_ZN2at6native16triu_tril_kernelIdiLb0ELi2ELb1EEEvNS_4cuda6detail10TensorInfoIT_T0_EENS4_IKS5_S6_EEllS6_,@function
_ZN2at6native16triu_tril_kernelIdiLb0ELi2ELb1EEEvNS_4cuda6detail10TensorInfoIT_T0_EENS4_IKS5_S6_EEllS6_: ; @_ZN2at6native16triu_tril_kernelIdiLb0ELi2ELb1EEEvNS_4cuda6detail10TensorInfoIT_T0_EENS4_IKS5_S6_EEllS6_
; %bb.0:
	s_load_dword s2, s[4:5], 0x1d4
	s_load_dwordx4 s[8:11], s[4:5], 0x1b0
	s_add_u32 s0, s4, 0x1c8
	v_mov_b32_e32 v2, 0
	s_addc_u32 s1, s5, 0
	s_waitcnt lgkmcnt(0)
	s_and_b32 s7, s2, 0xffff
	v_mov_b32_e32 v1, v2
	v_mov_b32_e32 v3, s6
	v_mad_u64_u32 v[0:1], s[2:3], s7, v3, v[0:1]
	v_lshlrev_b64 v[0:1], 1, v[0:1]
	v_cmp_gt_i64_e32 vcc, s[10:11], v[0:1]
	s_and_saveexec_b64 s[2:3], vcc
	s_cbranch_execz .LBB20_63
; %bb.1:
	s_load_dword s33, s[4:5], 0x1c0
	s_load_dword s16, s[4:5], 0x1a8
	s_add_u32 s42, s4, 0xd8
	s_addc_u32 s43, s5, 0
	s_load_dword s6, s[0:1], 0x0
	s_waitcnt lgkmcnt(0)
	s_ashr_i32 s44, s33, 31
	s_ashr_i32 s17, s16, 31
	s_lshl_b64 s[0:1], s[16:17], 2
	s_add_u32 s2, s42, s0
	s_addc_u32 s3, s43, s1
	s_load_dword s45, s[2:3], 0x0
	s_load_dwordx2 s[12:13], s[4:5], 0x0
	s_mul_i32 s18, s6, s7
	v_cmp_gt_i64_e64 s[6:7], s[16:17], 2
	s_mov_b32 s17, 0
	s_waitcnt lgkmcnt(0)
	s_ashr_i32 s46, s45, 31
	s_add_u32 s14, s4, s0
	s_addc_u32 s15, s5, s1
	s_add_i32 s0, s16, 6
	s_add_i32 s47, s16, -3
	s_lshl_b32 s48, s18, 1
	s_and_b32 s49, s0, 7
	s_and_b32 s0, s16, 7
	s_cmp_lg_u32 s0, 2
	s_cselect_b64 s[18:19], -1, 0
	s_cmp_gt_u32 s47, 6
	s_cselect_b64 s[20:21], -1, 0
	s_mov_b64 s[22:23], 0
	s_ashr_i32 s24, s44, 31
	s_branch .LBB20_3
.LBB20_2:                               ;   in Loop: Header=BB20_3 Depth=1
	s_or_b64 exec, exec, s[26:27]
	v_add_co_u32_e32 v0, vcc, s48, v0
	v_addc_co_u32_e32 v1, vcc, 0, v1, vcc
	v_cmp_le_i64_e32 vcc, s[10:11], v[0:1]
	s_or_b64 s[22:23], vcc, s[22:23]
	s_andn2_b64 exec, exec, s[22:23]
	s_cbranch_execz .LBB20_63
.LBB20_3:                               ; =>This Loop Header: Depth=1
                                        ;     Child Loop BB20_14 Depth 2
                                        ;     Child Loop BB20_23 Depth 2
	v_or_b32_e32 v3, s44, v1
	v_cmp_ne_u64_e32 vcc, 0, v[2:3]
                                        ; implicit-def: $vgpr4_vgpr5
	s_and_saveexec_b64 s[0:1], vcc
	s_xor_b64 s[26:27], exec, s[0:1]
	s_cbranch_execz .LBB20_5
; %bb.4:                                ;   in Loop: Header=BB20_3 Depth=1
	s_add_u32 s0, s33, s24
	s_mov_b32 s25, s24
	s_addc_u32 s1, s44, s24
	s_xor_b64 s[28:29], s[0:1], s[24:25]
	v_cvt_f32_u32_e32 v3, s28
	v_cvt_f32_u32_e32 v4, s29
	s_sub_u32 s16, 0, s28
	s_subb_u32 s25, 0, s29
	v_ashrrev_i32_e32 v7, 31, v1
	v_mac_f32_e32 v3, 0x4f800000, v4
	v_rcp_f32_e32 v3, v3
	v_mul_f32_e32 v3, 0x5f7ffffc, v3
	v_mul_f32_e32 v4, 0x2f800000, v3
	v_trunc_f32_e32 v4, v4
	v_mac_f32_e32 v3, 0xcf800000, v4
	v_cvt_u32_f32_e32 v4, v4
	v_cvt_u32_f32_e32 v3, v3
	v_readfirstlane_b32 s30, v4
	v_readfirstlane_b32 s0, v3
	s_mul_i32 s1, s16, s30
	s_mul_hi_u32 s34, s16, s0
	s_mul_i32 s31, s25, s0
	s_add_i32 s1, s34, s1
	s_add_i32 s1, s1, s31
	s_mul_i32 s35, s16, s0
	s_mul_i32 s34, s0, s1
	s_mul_hi_u32 s36, s0, s35
	s_mul_hi_u32 s31, s0, s1
	s_add_u32 s34, s36, s34
	s_addc_u32 s31, 0, s31
	s_mul_hi_u32 s37, s30, s35
	s_mul_i32 s35, s30, s35
	s_add_u32 s34, s34, s35
	s_mul_hi_u32 s36, s30, s1
	s_addc_u32 s31, s31, s37
	s_addc_u32 s34, s36, 0
	s_mul_i32 s1, s30, s1
	s_add_u32 s1, s31, s1
	s_addc_u32 s31, 0, s34
	s_add_u32 s34, s0, s1
	s_cselect_b64 s[0:1], -1, 0
	s_cmp_lg_u64 s[0:1], 0
	s_addc_u32 s30, s30, s31
	s_mul_i32 s0, s16, s30
	s_mul_hi_u32 s1, s16, s34
	s_add_i32 s0, s1, s0
	s_mul_i32 s25, s25, s34
	s_add_i32 s0, s0, s25
	s_mul_i32 s16, s16, s34
	s_mul_hi_u32 s25, s30, s16
	s_mul_i32 s31, s30, s16
	s_mul_i32 s36, s34, s0
	s_mul_hi_u32 s16, s34, s16
	s_mul_hi_u32 s35, s34, s0
	s_add_u32 s16, s16, s36
	s_addc_u32 s35, 0, s35
	s_add_u32 s16, s16, s31
	s_mul_hi_u32 s1, s30, s0
	s_addc_u32 s16, s35, s25
	s_addc_u32 s1, s1, 0
	s_mul_i32 s0, s30, s0
	s_add_u32 s0, s16, s0
	s_addc_u32 s16, 0, s1
	s_add_u32 s25, s34, s0
	s_cselect_b64 s[0:1], -1, 0
	s_cmp_lg_u64 s[0:1], 0
	v_add_co_u32_e32 v3, vcc, v0, v7
	s_addc_u32 s16, s30, s16
	v_xor_b32_e32 v8, v3, v7
	v_mad_u64_u32 v[3:4], s[0:1], v8, s16, 0
	v_mul_hi_u32 v6, v8, s25
	v_addc_co_u32_e32 v5, vcc, v1, v7, vcc
	v_xor_b32_e32 v9, v5, v7
	v_add_co_u32_e32 v10, vcc, v6, v3
	v_addc_co_u32_e32 v11, vcc, 0, v4, vcc
	v_mad_u64_u32 v[3:4], s[0:1], v9, s25, 0
	v_mad_u64_u32 v[5:6], s[0:1], v9, s16, 0
	v_add_co_u32_e32 v3, vcc, v10, v3
	v_addc_co_u32_e32 v3, vcc, v11, v4, vcc
	v_addc_co_u32_e32 v4, vcc, 0, v6, vcc
	v_add_co_u32_e32 v5, vcc, v3, v5
	v_addc_co_u32_e32 v6, vcc, 0, v4, vcc
	v_mul_lo_u32 v10, s29, v5
	v_mul_lo_u32 v11, s28, v6
	v_mad_u64_u32 v[3:4], s[0:1], s28, v5, 0
	v_add3_u32 v4, v4, v11, v10
	v_sub_u32_e32 v10, v9, v4
	v_mov_b32_e32 v11, s29
	v_sub_co_u32_e32 v3, vcc, v8, v3
	v_subb_co_u32_e64 v8, s[0:1], v10, v11, vcc
	v_subrev_co_u32_e64 v10, s[0:1], s28, v3
	v_subbrev_co_u32_e64 v8, s[0:1], 0, v8, s[0:1]
	v_cmp_le_u32_e64 s[0:1], s29, v8
	v_cndmask_b32_e64 v11, 0, -1, s[0:1]
	v_cmp_le_u32_e64 s[0:1], s28, v10
	v_cndmask_b32_e64 v10, 0, -1, s[0:1]
	v_cmp_eq_u32_e64 s[0:1], s29, v8
	v_cndmask_b32_e64 v8, v11, v10, s[0:1]
	v_add_co_u32_e64 v10, s[0:1], 2, v5
	v_subb_co_u32_e32 v4, vcc, v9, v4, vcc
	v_addc_co_u32_e64 v11, s[0:1], 0, v6, s[0:1]
	v_cmp_le_u32_e32 vcc, s29, v4
	v_add_co_u32_e64 v12, s[0:1], 1, v5
	v_cndmask_b32_e64 v9, 0, -1, vcc
	v_cmp_le_u32_e32 vcc, s28, v3
	v_addc_co_u32_e64 v13, s[0:1], 0, v6, s[0:1]
	v_cndmask_b32_e64 v3, 0, -1, vcc
	v_cmp_eq_u32_e32 vcc, s29, v4
	v_cmp_ne_u32_e64 s[0:1], 0, v8
	v_cndmask_b32_e32 v3, v9, v3, vcc
	v_cmp_ne_u32_e32 vcc, 0, v3
	v_cndmask_b32_e64 v4, v12, v10, s[0:1]
	v_cndmask_b32_e64 v8, v13, v11, s[0:1]
	v_cndmask_b32_e32 v4, v5, v4, vcc
	v_xor_b32_e32 v5, s24, v7
	v_cndmask_b32_e32 v3, v6, v8, vcc
	v_xor_b32_e32 v4, v4, v5
	v_xor_b32_e32 v3, v3, v5
	v_sub_co_u32_e32 v4, vcc, v4, v5
	v_subb_co_u32_e32 v5, vcc, v3, v5, vcc
.LBB20_5:                               ;   in Loop: Header=BB20_3 Depth=1
	s_andn2_saveexec_b64 s[0:1], s[26:27]
	s_cbranch_execz .LBB20_7
; %bb.6:                                ;   in Loop: Header=BB20_3 Depth=1
	v_cvt_f32_u32_e32 v3, s33
	s_sub_i32 s16, 0, s33
	v_rcp_iflag_f32_e32 v3, v3
	v_mul_f32_e32 v3, 0x4f7ffffe, v3
	v_cvt_u32_f32_e32 v3, v3
	v_mul_lo_u32 v4, s16, v3
	v_mul_hi_u32 v4, v3, v4
	v_add_u32_e32 v3, v3, v4
	v_mul_hi_u32 v3, v0, v3
	v_mul_lo_u32 v4, v3, s33
	v_add_u32_e32 v5, 1, v3
	v_sub_u32_e32 v4, v0, v4
	v_subrev_u32_e32 v6, s33, v4
	v_cmp_le_u32_e32 vcc, s33, v4
	v_cndmask_b32_e32 v4, v4, v6, vcc
	v_cndmask_b32_e32 v3, v3, v5, vcc
	v_add_u32_e32 v5, 1, v3
	v_cmp_le_u32_e32 vcc, s33, v4
	v_cndmask_b32_e32 v4, v3, v5, vcc
	v_mov_b32_e32 v5, v2
.LBB20_7:                               ;   in Loop: Header=BB20_3 Depth=1
	s_or_b64 exec, exec, s[0:1]
	v_or_b32_e32 v3, s46, v5
	v_cmp_ne_u64_e32 vcc, 0, v[2:3]
                                        ; implicit-def: $vgpr8_vgpr9
	s_and_saveexec_b64 s[0:1], vcc
	s_xor_b64 s[26:27], exec, s[0:1]
	s_cbranch_execz .LBB20_9
; %bb.8:                                ;   in Loop: Header=BB20_3 Depth=1
	s_ashr_i32 s28, s46, 31
	s_add_u32 s0, s45, s28
	s_mov_b32 s29, s28
	s_addc_u32 s1, s46, s28
	s_xor_b64 s[30:31], s[0:1], s[28:29]
	v_cvt_f32_u32_e32 v3, s30
	v_cvt_f32_u32_e32 v6, s31
	s_sub_u32 s16, 0, s30
	s_subb_u32 s25, 0, s31
	v_mac_f32_e32 v3, 0x4f800000, v6
	v_rcp_f32_e32 v3, v3
	v_mul_f32_e32 v3, 0x5f7ffffc, v3
	v_mul_f32_e32 v6, 0x2f800000, v3
	v_trunc_f32_e32 v6, v6
	v_mac_f32_e32 v3, 0xcf800000, v6
	v_cvt_u32_f32_e32 v6, v6
	v_cvt_u32_f32_e32 v3, v3
	v_readfirstlane_b32 s29, v6
	v_readfirstlane_b32 s0, v3
	s_mul_i32 s1, s16, s29
	s_mul_hi_u32 s35, s16, s0
	s_mul_i32 s34, s25, s0
	s_add_i32 s1, s35, s1
	s_add_i32 s1, s1, s34
	s_mul_i32 s36, s16, s0
	s_mul_i32 s35, s0, s1
	s_mul_hi_u32 s37, s0, s36
	s_mul_hi_u32 s34, s0, s1
	s_add_u32 s35, s37, s35
	s_addc_u32 s34, 0, s34
	s_mul_hi_u32 s38, s29, s36
	s_mul_i32 s36, s29, s36
	s_add_u32 s35, s35, s36
	s_mul_hi_u32 s37, s29, s1
	s_addc_u32 s34, s34, s38
	s_addc_u32 s35, s37, 0
	s_mul_i32 s1, s29, s1
	s_add_u32 s1, s34, s1
	s_addc_u32 s34, 0, s35
	s_add_u32 s35, s0, s1
	s_cselect_b64 s[0:1], -1, 0
	s_cmp_lg_u64 s[0:1], 0
	s_addc_u32 s29, s29, s34
	s_mul_i32 s0, s16, s29
	s_mul_hi_u32 s1, s16, s35
	s_add_i32 s0, s1, s0
	s_mul_i32 s25, s25, s35
	s_add_i32 s0, s0, s25
	s_mul_i32 s16, s16, s35
	s_mul_hi_u32 s25, s29, s16
	s_mul_i32 s34, s29, s16
	s_mul_i32 s37, s35, s0
	s_mul_hi_u32 s16, s35, s16
	s_mul_hi_u32 s36, s35, s0
	s_add_u32 s16, s16, s37
	s_addc_u32 s36, 0, s36
	s_add_u32 s16, s16, s34
	s_mul_hi_u32 s1, s29, s0
	s_addc_u32 s16, s36, s25
	s_addc_u32 s1, s1, 0
	s_mul_i32 s0, s29, s0
	s_add_u32 s0, s16, s0
	s_addc_u32 s16, 0, s1
	s_add_u32 s25, s35, s0
	s_cselect_b64 s[0:1], -1, 0
	v_ashrrev_i32_e32 v3, 31, v5
	s_cmp_lg_u64 s[0:1], 0
	v_add_co_u32_e32 v6, vcc, v4, v3
	s_addc_u32 s16, s29, s16
	v_xor_b32_e32 v9, v6, v3
	v_addc_co_u32_e32 v7, vcc, v5, v3, vcc
	v_mad_u64_u32 v[5:6], s[0:1], v9, s16, 0
	v_mul_hi_u32 v8, v9, s25
	v_xor_b32_e32 v10, v7, v3
	v_xor_b32_e32 v3, s28, v3
	v_add_co_u32_e32 v11, vcc, v8, v5
	v_addc_co_u32_e32 v12, vcc, 0, v6, vcc
	v_mad_u64_u32 v[5:6], s[0:1], v10, s25, 0
	v_mad_u64_u32 v[7:8], s[0:1], v10, s16, 0
	v_add_co_u32_e32 v5, vcc, v11, v5
	v_addc_co_u32_e32 v5, vcc, v12, v6, vcc
	v_addc_co_u32_e32 v6, vcc, 0, v8, vcc
	v_add_co_u32_e32 v7, vcc, v5, v7
	v_addc_co_u32_e32 v8, vcc, 0, v6, vcc
	v_mul_lo_u32 v11, s31, v7
	v_mul_lo_u32 v12, s30, v8
	v_mad_u64_u32 v[5:6], s[0:1], s30, v7, 0
	v_add3_u32 v6, v6, v12, v11
	v_sub_u32_e32 v11, v10, v6
	v_mov_b32_e32 v12, s31
	v_sub_co_u32_e32 v5, vcc, v9, v5
	v_subb_co_u32_e64 v9, s[0:1], v11, v12, vcc
	v_subrev_co_u32_e64 v11, s[0:1], s30, v5
	v_subbrev_co_u32_e64 v9, s[0:1], 0, v9, s[0:1]
	v_cmp_le_u32_e64 s[0:1], s31, v9
	v_cndmask_b32_e64 v12, 0, -1, s[0:1]
	v_cmp_le_u32_e64 s[0:1], s30, v11
	v_cndmask_b32_e64 v11, 0, -1, s[0:1]
	v_cmp_eq_u32_e64 s[0:1], s31, v9
	v_cndmask_b32_e64 v9, v12, v11, s[0:1]
	v_add_co_u32_e64 v11, s[0:1], 2, v7
	v_subb_co_u32_e32 v6, vcc, v10, v6, vcc
	v_addc_co_u32_e64 v12, s[0:1], 0, v8, s[0:1]
	v_cmp_le_u32_e32 vcc, s31, v6
	v_add_co_u32_e64 v13, s[0:1], 1, v7
	v_cndmask_b32_e64 v10, 0, -1, vcc
	v_cmp_le_u32_e32 vcc, s30, v5
	v_addc_co_u32_e64 v14, s[0:1], 0, v8, s[0:1]
	v_cndmask_b32_e64 v5, 0, -1, vcc
	v_cmp_eq_u32_e32 vcc, s31, v6
	v_cmp_ne_u32_e64 s[0:1], 0, v9
	v_cndmask_b32_e32 v5, v10, v5, vcc
	v_cmp_ne_u32_e32 vcc, 0, v5
	v_cndmask_b32_e64 v6, v13, v11, s[0:1]
	v_cndmask_b32_e64 v9, v14, v12, s[0:1]
	v_cndmask_b32_e32 v6, v7, v6, vcc
	v_cndmask_b32_e32 v5, v8, v9, vcc
	v_xor_b32_e32 v6, v6, v3
	v_xor_b32_e32 v5, v5, v3
	v_sub_co_u32_e32 v8, vcc, v6, v3
	v_subb_co_u32_e32 v9, vcc, v5, v3, vcc
.LBB20_9:                               ;   in Loop: Header=BB20_3 Depth=1
	s_andn2_saveexec_b64 s[0:1], s[26:27]
	s_cbranch_execz .LBB20_11
; %bb.10:                               ;   in Loop: Header=BB20_3 Depth=1
	v_cvt_f32_u32_e32 v3, s45
	s_sub_i32 s16, 0, s45
	v_mov_b32_e32 v9, v2
	v_rcp_iflag_f32_e32 v3, v3
	v_mul_f32_e32 v3, 0x4f7ffffe, v3
	v_cvt_u32_f32_e32 v3, v3
	v_mul_lo_u32 v5, s16, v3
	v_mul_hi_u32 v5, v3, v5
	v_add_u32_e32 v3, v3, v5
	v_mul_hi_u32 v3, v4, v3
	v_mul_lo_u32 v5, v3, s45
	v_add_u32_e32 v6, 1, v3
	v_sub_u32_e32 v5, v4, v5
	v_subrev_u32_e32 v7, s45, v5
	v_cmp_le_u32_e32 vcc, s45, v5
	v_cndmask_b32_e32 v5, v5, v7, vcc
	v_cndmask_b32_e32 v3, v3, v6, vcc
	v_add_u32_e32 v6, 1, v3
	v_cmp_le_u32_e32 vcc, s45, v5
	v_cndmask_b32_e32 v8, v3, v6, vcc
.LBB20_11:                              ;   in Loop: Header=BB20_3 Depth=1
	s_or_b64 exec, exec, s[0:1]
	v_mad_u64_u32 v[5:6], s[0:1], v4, s33, 0
	v_mad_u64_u32 v[6:7], s[0:1], v8, s45, 0
	v_sub_co_u32_e32 v27, vcc, v0, v5
	v_sub_co_u32_e32 v26, vcc, v4, v6
	v_sub_u32_e32 v4, v27, v26
	v_add_u32_e32 v5, 2, v4
	v_ashrrev_i32_e32 v6, 31, v5
	v_cmp_lt_i64_e32 vcc, s[8:9], v[5:6]
	s_and_saveexec_b64 s[26:27], vcc
	s_cbranch_execz .LBB20_2
; %bb.12:                               ;   in Loop: Header=BB20_3 Depth=1
	s_load_dwordx2 s[28:29], s[14:15], 0x64
	s_andn2_b64 vcc, exec, s[6:7]
	s_waitcnt lgkmcnt(0)
	v_mul_lo_u32 v3, s29, v27
	v_mad_u64_u32 v[6:7], s[0:1], s28, v26, v[3:4]
	s_cbranch_vccnz .LBB20_57
; %bb.13:                               ;   in Loop: Header=BB20_3 Depth=1
	s_andn2_b64 vcc, exec, s[18:19]
	s_mov_b32 s25, s49
	s_mov_b32 s16, s47
	;; [unrolled: 1-line block ×3, first 2 shown]
	s_cbranch_vccnz .LBB20_21
.LBB20_14:                              ;   Parent Loop BB20_3 Depth=1
                                        ; =>  This Inner Loop Header: Depth=2
	s_lshl_b64 s[30:31], s[16:17], 2
	s_add_u32 s0, s42, s30
	s_addc_u32 s1, s43, s31
	s_load_dword s28, s[0:1], 0x8
                                        ; implicit-def: $vgpr10_vgpr11
	s_waitcnt lgkmcnt(0)
	s_ashr_i32 s0, s28, 31
	v_or_b32_e32 v3, s0, v9
	v_cmp_ne_u64_e32 vcc, 0, v[2:3]
	s_and_saveexec_b64 s[34:35], vcc
	s_xor_b64 s[34:35], exec, s[34:35]
	s_cbranch_execz .LBB20_16
; %bb.15:                               ;   in Loop: Header=BB20_14 Depth=2
	s_ashr_i32 s36, s0, 31
	s_add_u32 s38, s28, s36
	s_mov_b32 s37, s36
	s_addc_u32 s39, s0, s36
	s_xor_b64 s[38:39], s[38:39], s[36:37]
	v_cvt_f32_u32_e32 v3, s38
	v_cvt_f32_u32_e32 v5, s39
	s_sub_u32 s37, 0, s38
	s_subb_u32 s40, 0, s39
	v_mac_f32_e32 v3, 0x4f800000, v5
	v_rcp_f32_e32 v3, v3
	v_mul_f32_e32 v3, 0x5f7ffffc, v3
	v_mul_f32_e32 v5, 0x2f800000, v3
	v_trunc_f32_e32 v5, v5
	v_mac_f32_e32 v3, 0xcf800000, v5
	v_cvt_u32_f32_e32 v5, v5
	v_cvt_u32_f32_e32 v3, v3
	v_readfirstlane_b32 s41, v5
	v_readfirstlane_b32 s0, v3
	s_mul_i32 s1, s37, s41
	s_mul_hi_u32 s51, s37, s0
	s_mul_i32 s50, s40, s0
	s_add_i32 s1, s51, s1
	s_add_i32 s1, s1, s50
	s_mul_i32 s52, s37, s0
	s_mul_i32 s51, s0, s1
	s_mul_hi_u32 s53, s0, s52
	s_mul_hi_u32 s50, s0, s1
	s_add_u32 s51, s53, s51
	s_addc_u32 s50, 0, s50
	s_mul_hi_u32 s54, s41, s52
	s_mul_i32 s52, s41, s52
	s_add_u32 s51, s51, s52
	s_mul_hi_u32 s53, s41, s1
	s_addc_u32 s50, s50, s54
	s_addc_u32 s51, s53, 0
	s_mul_i32 s1, s41, s1
	s_add_u32 s1, s50, s1
	s_addc_u32 s50, 0, s51
	s_add_u32 s51, s0, s1
	s_cselect_b64 s[0:1], -1, 0
	s_cmp_lg_u64 s[0:1], 0
	s_addc_u32 s41, s41, s50
	s_mul_i32 s0, s37, s41
	s_mul_hi_u32 s1, s37, s51
	s_add_i32 s0, s1, s0
	s_mul_i32 s40, s40, s51
	s_add_i32 s0, s0, s40
	s_mul_i32 s37, s37, s51
	s_mul_hi_u32 s40, s41, s37
	s_mul_i32 s50, s41, s37
	s_mul_i32 s53, s51, s0
	s_mul_hi_u32 s37, s51, s37
	s_mul_hi_u32 s52, s51, s0
	s_add_u32 s37, s37, s53
	s_addc_u32 s52, 0, s52
	s_add_u32 s37, s37, s50
	s_mul_hi_u32 s1, s41, s0
	s_addc_u32 s37, s52, s40
	s_addc_u32 s1, s1, 0
	s_mul_i32 s0, s41, s0
	s_add_u32 s0, s37, s0
	s_addc_u32 s37, 0, s1
	s_add_u32 s40, s51, s0
	s_cselect_b64 s[0:1], -1, 0
	v_ashrrev_i32_e32 v3, 31, v9
	s_cmp_lg_u64 s[0:1], 0
	v_add_co_u32_e32 v5, vcc, v8, v3
	s_addc_u32 s37, s41, s37
	v_xor_b32_e32 v5, v5, v3
	v_addc_co_u32_e32 v7, vcc, v9, v3, vcc
	v_mad_u64_u32 v[9:10], s[0:1], v5, s37, 0
	v_mul_hi_u32 v11, v5, s40
	v_xor_b32_e32 v7, v7, v3
	v_xor_b32_e32 v3, s36, v3
	v_add_co_u32_e32 v13, vcc, v11, v9
	v_addc_co_u32_e32 v14, vcc, 0, v10, vcc
	v_mad_u64_u32 v[9:10], s[0:1], v7, s40, 0
	v_mad_u64_u32 v[11:12], s[0:1], v7, s37, 0
	v_add_co_u32_e32 v9, vcc, v13, v9
	v_addc_co_u32_e32 v9, vcc, v14, v10, vcc
	v_addc_co_u32_e32 v10, vcc, 0, v12, vcc
	v_add_co_u32_e32 v11, vcc, v9, v11
	v_addc_co_u32_e32 v12, vcc, 0, v10, vcc
	v_mul_lo_u32 v13, s39, v11
	v_mul_lo_u32 v14, s38, v12
	v_mad_u64_u32 v[9:10], s[0:1], s38, v11, 0
	v_add3_u32 v10, v10, v14, v13
	v_sub_u32_e32 v13, v7, v10
	v_mov_b32_e32 v14, s39
	v_sub_co_u32_e32 v5, vcc, v5, v9
	v_subb_co_u32_e64 v9, s[0:1], v13, v14, vcc
	v_subrev_co_u32_e64 v13, s[0:1], s38, v5
	v_subbrev_co_u32_e64 v9, s[0:1], 0, v9, s[0:1]
	v_cmp_le_u32_e64 s[0:1], s39, v9
	v_cndmask_b32_e64 v14, 0, -1, s[0:1]
	v_cmp_le_u32_e64 s[0:1], s38, v13
	v_cndmask_b32_e64 v13, 0, -1, s[0:1]
	v_cmp_eq_u32_e64 s[0:1], s39, v9
	v_cndmask_b32_e64 v9, v14, v13, s[0:1]
	v_add_co_u32_e64 v13, s[0:1], 2, v11
	v_subb_co_u32_e32 v7, vcc, v7, v10, vcc
	v_addc_co_u32_e64 v14, s[0:1], 0, v12, s[0:1]
	v_cmp_le_u32_e32 vcc, s39, v7
	v_add_co_u32_e64 v15, s[0:1], 1, v11
	v_cndmask_b32_e64 v10, 0, -1, vcc
	v_cmp_le_u32_e32 vcc, s38, v5
	v_addc_co_u32_e64 v16, s[0:1], 0, v12, s[0:1]
	v_cndmask_b32_e64 v5, 0, -1, vcc
	v_cmp_eq_u32_e32 vcc, s39, v7
	v_cmp_ne_u32_e64 s[0:1], 0, v9
	v_cndmask_b32_e32 v5, v10, v5, vcc
	v_cmp_ne_u32_e32 vcc, 0, v5
	v_cndmask_b32_e64 v7, v15, v13, s[0:1]
	v_cndmask_b32_e64 v9, v16, v14, s[0:1]
	v_cndmask_b32_e32 v7, v11, v7, vcc
	v_cndmask_b32_e32 v5, v12, v9, vcc
	v_xor_b32_e32 v7, v7, v3
	v_xor_b32_e32 v5, v5, v3
	v_sub_co_u32_e32 v10, vcc, v7, v3
	v_subb_co_u32_e32 v11, vcc, v5, v3, vcc
.LBB20_16:                              ;   in Loop: Header=BB20_14 Depth=2
	s_andn2_saveexec_b64 s[0:1], s[34:35]
	s_cbranch_execz .LBB20_18
; %bb.17:                               ;   in Loop: Header=BB20_14 Depth=2
	v_cvt_f32_u32_e32 v3, s28
	s_sub_i32 s34, 0, s28
	v_mov_b32_e32 v11, v2
	v_rcp_iflag_f32_e32 v3, v3
	v_mul_f32_e32 v3, 0x4f7ffffe, v3
	v_cvt_u32_f32_e32 v3, v3
	v_mul_lo_u32 v5, s34, v3
	v_mul_hi_u32 v5, v3, v5
	v_add_u32_e32 v3, v3, v5
	v_mul_hi_u32 v3, v8, v3
	v_mul_lo_u32 v5, v3, s28
	v_add_u32_e32 v7, 1, v3
	v_sub_u32_e32 v5, v8, v5
	v_subrev_u32_e32 v9, s28, v5
	v_cmp_le_u32_e32 vcc, s28, v5
	v_cndmask_b32_e32 v5, v5, v9, vcc
	v_cndmask_b32_e32 v3, v3, v7, vcc
	v_add_u32_e32 v7, 1, v3
	v_cmp_le_u32_e32 vcc, s28, v5
	v_cndmask_b32_e32 v10, v3, v7, vcc
.LBB20_18:                              ;   in Loop: Header=BB20_14 Depth=2
	s_or_b64 exec, exec, s[0:1]
	s_add_u32 s0, s4, s30
	s_addc_u32 s1, s5, s31
	v_mul_lo_u32 v3, v10, s28
	s_load_dword s0, s[0:1], 0x6c
	s_add_i32 s16, s16, -1
	s_add_i32 s25, s25, -1
	v_sub_u32_e32 v3, v8, v3
	s_cmp_lg_u32 s25, 0
	s_waitcnt lgkmcnt(0)
	v_mad_u64_u32 v[6:7], s[0:1], s0, v3, v[6:7]
	s_cbranch_scc0 .LBB20_20
; %bb.19:                               ;   in Loop: Header=BB20_14 Depth=2
	v_mov_b32_e32 v8, v10
	v_mov_b32_e32 v9, v11
	s_branch .LBB20_14
.LBB20_20:                              ;   in Loop: Header=BB20_3 Depth=1
	v_mov_b32_e32 v8, v10
	s_mov_b32 s0, s16
	v_mov_b32_e32 v9, v11
.LBB20_21:                              ;   in Loop: Header=BB20_3 Depth=1
	s_andn2_b64 vcc, exec, s[20:21]
	s_cbranch_vccnz .LBB20_57
; %bb.22:                               ;   in Loop: Header=BB20_3 Depth=1
	s_add_i32 s30, s0, -7
.LBB20_23:                              ;   Parent Loop BB20_3 Depth=1
                                        ; =>  This Inner Loop Header: Depth=2
	s_add_i32 s16, s30, 7
	s_lshl_b64 s[34:35], s[16:17], 2
	s_add_u32 s0, s42, s34
	s_addc_u32 s1, s43, s35
	s_load_dword s25, s[0:1], 0x8
                                        ; implicit-def: $vgpr10_vgpr11
	s_waitcnt lgkmcnt(0)
	s_ashr_i32 s0, s25, 31
	v_or_b32_e32 v3, s0, v9
	v_cmp_ne_u64_e32 vcc, 0, v[2:3]
	s_and_saveexec_b64 s[36:37], vcc
	s_xor_b64 s[36:37], exec, s[36:37]
	s_cbranch_execz .LBB20_25
; %bb.24:                               ;   in Loop: Header=BB20_23 Depth=2
	s_ashr_i32 s38, s0, 31
	s_add_u32 s40, s25, s38
	s_mov_b32 s39, s38
	s_addc_u32 s41, s0, s38
	s_xor_b64 s[40:41], s[40:41], s[38:39]
	v_cvt_f32_u32_e32 v3, s40
	v_cvt_f32_u32_e32 v5, s41
	s_sub_u32 s16, 0, s40
	s_subb_u32 s28, 0, s41
	v_mac_f32_e32 v3, 0x4f800000, v5
	v_rcp_f32_e32 v3, v3
	v_mul_f32_e32 v3, 0x5f7ffffc, v3
	v_mul_f32_e32 v5, 0x2f800000, v3
	v_trunc_f32_e32 v5, v5
	v_mac_f32_e32 v3, 0xcf800000, v5
	v_cvt_u32_f32_e32 v5, v5
	v_cvt_u32_f32_e32 v3, v3
	v_readfirstlane_b32 s31, v5
	v_readfirstlane_b32 s0, v3
	s_mul_i32 s1, s16, s31
	s_mul_hi_u32 s50, s16, s0
	s_mul_i32 s39, s28, s0
	s_add_i32 s1, s50, s1
	s_add_i32 s1, s1, s39
	s_mul_i32 s51, s16, s0
	s_mul_i32 s50, s0, s1
	s_mul_hi_u32 s52, s0, s51
	s_mul_hi_u32 s39, s0, s1
	s_add_u32 s50, s52, s50
	s_addc_u32 s39, 0, s39
	s_mul_hi_u32 s53, s31, s51
	s_mul_i32 s51, s31, s51
	s_add_u32 s50, s50, s51
	s_mul_hi_u32 s52, s31, s1
	s_addc_u32 s39, s39, s53
	s_addc_u32 s50, s52, 0
	s_mul_i32 s1, s31, s1
	s_add_u32 s1, s39, s1
	s_addc_u32 s39, 0, s50
	s_add_u32 s50, s0, s1
	s_cselect_b64 s[0:1], -1, 0
	s_cmp_lg_u64 s[0:1], 0
	s_addc_u32 s31, s31, s39
	s_mul_i32 s0, s16, s31
	s_mul_hi_u32 s1, s16, s50
	s_add_i32 s0, s1, s0
	s_mul_i32 s28, s28, s50
	s_add_i32 s0, s0, s28
	s_mul_i32 s16, s16, s50
	s_mul_hi_u32 s28, s31, s16
	s_mul_i32 s39, s31, s16
	s_mul_i32 s52, s50, s0
	s_mul_hi_u32 s16, s50, s16
	s_mul_hi_u32 s51, s50, s0
	s_add_u32 s16, s16, s52
	s_addc_u32 s51, 0, s51
	s_add_u32 s16, s16, s39
	s_mul_hi_u32 s1, s31, s0
	s_addc_u32 s16, s51, s28
	s_addc_u32 s1, s1, 0
	s_mul_i32 s0, s31, s0
	s_add_u32 s0, s16, s0
	s_addc_u32 s16, 0, s1
	s_add_u32 s28, s50, s0
	s_cselect_b64 s[0:1], -1, 0
	v_ashrrev_i32_e32 v3, 31, v9
	s_cmp_lg_u64 s[0:1], 0
	v_add_co_u32_e32 v5, vcc, v8, v3
	s_addc_u32 s16, s31, s16
	v_xor_b32_e32 v5, v5, v3
	v_addc_co_u32_e32 v7, vcc, v9, v3, vcc
	v_mad_u64_u32 v[9:10], s[0:1], v5, s16, 0
	v_mul_hi_u32 v11, v5, s28
	v_xor_b32_e32 v7, v7, v3
	v_xor_b32_e32 v3, s38, v3
	v_add_co_u32_e32 v13, vcc, v11, v9
	v_addc_co_u32_e32 v14, vcc, 0, v10, vcc
	v_mad_u64_u32 v[9:10], s[0:1], v7, s28, 0
	v_mad_u64_u32 v[11:12], s[0:1], v7, s16, 0
	v_add_co_u32_e32 v9, vcc, v13, v9
	v_addc_co_u32_e32 v9, vcc, v14, v10, vcc
	v_addc_co_u32_e32 v10, vcc, 0, v12, vcc
	v_add_co_u32_e32 v11, vcc, v9, v11
	v_addc_co_u32_e32 v12, vcc, 0, v10, vcc
	v_mul_lo_u32 v13, s41, v11
	v_mul_lo_u32 v14, s40, v12
	v_mad_u64_u32 v[9:10], s[0:1], s40, v11, 0
	v_add3_u32 v10, v10, v14, v13
	v_sub_u32_e32 v13, v7, v10
	v_mov_b32_e32 v14, s41
	v_sub_co_u32_e32 v5, vcc, v5, v9
	v_subb_co_u32_e64 v9, s[0:1], v13, v14, vcc
	v_subrev_co_u32_e64 v13, s[0:1], s40, v5
	v_subbrev_co_u32_e64 v9, s[0:1], 0, v9, s[0:1]
	v_cmp_le_u32_e64 s[0:1], s41, v9
	v_cndmask_b32_e64 v14, 0, -1, s[0:1]
	v_cmp_le_u32_e64 s[0:1], s40, v13
	v_cndmask_b32_e64 v13, 0, -1, s[0:1]
	v_cmp_eq_u32_e64 s[0:1], s41, v9
	v_cndmask_b32_e64 v9, v14, v13, s[0:1]
	v_add_co_u32_e64 v13, s[0:1], 2, v11
	v_subb_co_u32_e32 v7, vcc, v7, v10, vcc
	v_addc_co_u32_e64 v14, s[0:1], 0, v12, s[0:1]
	v_cmp_le_u32_e32 vcc, s41, v7
	v_add_co_u32_e64 v15, s[0:1], 1, v11
	v_cndmask_b32_e64 v10, 0, -1, vcc
	v_cmp_le_u32_e32 vcc, s40, v5
	v_addc_co_u32_e64 v16, s[0:1], 0, v12, s[0:1]
	v_cndmask_b32_e64 v5, 0, -1, vcc
	v_cmp_eq_u32_e32 vcc, s41, v7
	v_cmp_ne_u32_e64 s[0:1], 0, v9
	v_cndmask_b32_e32 v5, v10, v5, vcc
	v_cmp_ne_u32_e32 vcc, 0, v5
	v_cndmask_b32_e64 v7, v15, v13, s[0:1]
	v_cndmask_b32_e64 v9, v16, v14, s[0:1]
	v_cndmask_b32_e32 v7, v11, v7, vcc
	v_cndmask_b32_e32 v5, v12, v9, vcc
	v_xor_b32_e32 v7, v7, v3
	v_xor_b32_e32 v5, v5, v3
	v_sub_co_u32_e32 v10, vcc, v7, v3
	v_subb_co_u32_e32 v11, vcc, v5, v3, vcc
.LBB20_25:                              ;   in Loop: Header=BB20_23 Depth=2
	s_andn2_saveexec_b64 s[0:1], s[36:37]
	s_cbranch_execz .LBB20_27
; %bb.26:                               ;   in Loop: Header=BB20_23 Depth=2
	v_cvt_f32_u32_e32 v3, s25
	s_sub_i32 s16, 0, s25
	v_mov_b32_e32 v11, v2
	v_rcp_iflag_f32_e32 v3, v3
	v_mul_f32_e32 v3, 0x4f7ffffe, v3
	v_cvt_u32_f32_e32 v3, v3
	v_mul_lo_u32 v5, s16, v3
	v_mul_hi_u32 v5, v3, v5
	v_add_u32_e32 v3, v3, v5
	v_mul_hi_u32 v3, v8, v3
	v_mul_lo_u32 v5, v3, s25
	v_add_u32_e32 v7, 1, v3
	v_sub_u32_e32 v5, v8, v5
	v_subrev_u32_e32 v9, s25, v5
	v_cmp_le_u32_e32 vcc, s25, v5
	v_cndmask_b32_e32 v5, v5, v9, vcc
	v_cndmask_b32_e32 v3, v3, v7, vcc
	v_add_u32_e32 v7, 1, v3
	v_cmp_le_u32_e32 vcc, s25, v5
	v_cndmask_b32_e32 v10, v3, v7, vcc
.LBB20_27:                              ;   in Loop: Header=BB20_23 Depth=2
	s_or_b64 exec, exec, s[0:1]
	s_add_u32 s0, s4, s34
	s_addc_u32 s1, s5, s35
	s_add_i32 s16, s30, 6
	s_lshl_b64 s[34:35], s[16:17], 2
	s_add_u32 s36, s42, s34
	s_addc_u32 s37, s43, s35
	s_load_dword s50, s[36:37], 0x8
	s_load_dword s28, s[0:1], 0x6c
                                        ; implicit-def: $vgpr12_vgpr13
	s_waitcnt lgkmcnt(0)
	s_ashr_i32 s0, s50, 31
	v_or_b32_e32 v3, s0, v11
	v_cmp_ne_u64_e32 vcc, 0, v[2:3]
	s_and_saveexec_b64 s[36:37], vcc
	s_xor_b64 s[36:37], exec, s[36:37]
	s_cbranch_execz .LBB20_29
; %bb.28:                               ;   in Loop: Header=BB20_23 Depth=2
	s_ashr_i32 s38, s0, 31
	s_add_u32 s40, s50, s38
	s_mov_b32 s39, s38
	s_addc_u32 s41, s0, s38
	s_xor_b64 s[40:41], s[40:41], s[38:39]
	v_cvt_f32_u32_e32 v3, s40
	v_cvt_f32_u32_e32 v5, s41
	s_sub_u32 s16, 0, s40
	s_subb_u32 s31, 0, s41
	v_mac_f32_e32 v3, 0x4f800000, v5
	v_rcp_f32_e32 v3, v3
	v_mul_f32_e32 v3, 0x5f7ffffc, v3
	v_mul_f32_e32 v5, 0x2f800000, v3
	v_trunc_f32_e32 v5, v5
	v_mac_f32_e32 v3, 0xcf800000, v5
	v_cvt_u32_f32_e32 v5, v5
	v_cvt_u32_f32_e32 v3, v3
	v_readfirstlane_b32 s39, v5
	v_readfirstlane_b32 s0, v3
	s_mul_i32 s1, s16, s39
	s_mul_hi_u32 s52, s16, s0
	s_mul_i32 s51, s31, s0
	s_add_i32 s1, s52, s1
	s_add_i32 s1, s1, s51
	s_mul_i32 s53, s16, s0
	s_mul_i32 s52, s0, s1
	s_mul_hi_u32 s54, s0, s53
	s_mul_hi_u32 s51, s0, s1
	s_add_u32 s52, s54, s52
	s_addc_u32 s51, 0, s51
	s_mul_hi_u32 s55, s39, s53
	s_mul_i32 s53, s39, s53
	s_add_u32 s52, s52, s53
	s_mul_hi_u32 s54, s39, s1
	s_addc_u32 s51, s51, s55
	s_addc_u32 s52, s54, 0
	s_mul_i32 s1, s39, s1
	s_add_u32 s1, s51, s1
	s_addc_u32 s51, 0, s52
	s_add_u32 s52, s0, s1
	s_cselect_b64 s[0:1], -1, 0
	s_cmp_lg_u64 s[0:1], 0
	s_addc_u32 s39, s39, s51
	s_mul_i32 s0, s16, s39
	s_mul_hi_u32 s1, s16, s52
	s_add_i32 s0, s1, s0
	s_mul_i32 s31, s31, s52
	s_add_i32 s0, s0, s31
	s_mul_i32 s16, s16, s52
	s_mul_hi_u32 s31, s39, s16
	s_mul_i32 s51, s39, s16
	s_mul_i32 s54, s52, s0
	s_mul_hi_u32 s16, s52, s16
	s_mul_hi_u32 s53, s52, s0
	s_add_u32 s16, s16, s54
	s_addc_u32 s53, 0, s53
	s_add_u32 s16, s16, s51
	s_mul_hi_u32 s1, s39, s0
	s_addc_u32 s16, s53, s31
	s_addc_u32 s1, s1, 0
	s_mul_i32 s0, s39, s0
	s_add_u32 s0, s16, s0
	s_addc_u32 s16, 0, s1
	s_add_u32 s31, s52, s0
	s_cselect_b64 s[0:1], -1, 0
	v_ashrrev_i32_e32 v3, 31, v11
	s_cmp_lg_u64 s[0:1], 0
	v_add_co_u32_e32 v5, vcc, v10, v3
	s_addc_u32 s16, s39, s16
	v_xor_b32_e32 v5, v5, v3
	v_addc_co_u32_e32 v7, vcc, v11, v3, vcc
	v_mad_u64_u32 v[11:12], s[0:1], v5, s16, 0
	v_mul_hi_u32 v9, v5, s31
	v_xor_b32_e32 v7, v7, v3
	v_mad_u64_u32 v[13:14], s[0:1], v7, s16, 0
	v_add_co_u32_e32 v9, vcc, v9, v11
	v_addc_co_u32_e32 v15, vcc, 0, v12, vcc
	v_mad_u64_u32 v[11:12], s[0:1], v7, s31, 0
	v_xor_b32_e32 v3, s38, v3
	v_add_co_u32_e32 v9, vcc, v9, v11
	v_addc_co_u32_e32 v9, vcc, v15, v12, vcc
	v_addc_co_u32_e32 v11, vcc, 0, v14, vcc
	v_add_co_u32_e32 v9, vcc, v9, v13
	v_addc_co_u32_e32 v13, vcc, 0, v11, vcc
	v_mul_lo_u32 v14, s41, v9
	v_mul_lo_u32 v15, s40, v13
	v_mad_u64_u32 v[11:12], s[0:1], s40, v9, 0
	v_add3_u32 v12, v12, v15, v14
	v_sub_u32_e32 v14, v7, v12
	v_mov_b32_e32 v15, s41
	v_sub_co_u32_e32 v5, vcc, v5, v11
	v_subb_co_u32_e64 v11, s[0:1], v14, v15, vcc
	v_subrev_co_u32_e64 v14, s[0:1], s40, v5
	v_subbrev_co_u32_e64 v11, s[0:1], 0, v11, s[0:1]
	v_cmp_le_u32_e64 s[0:1], s41, v11
	v_cndmask_b32_e64 v15, 0, -1, s[0:1]
	v_cmp_le_u32_e64 s[0:1], s40, v14
	v_cndmask_b32_e64 v14, 0, -1, s[0:1]
	v_cmp_eq_u32_e64 s[0:1], s41, v11
	v_cndmask_b32_e64 v11, v15, v14, s[0:1]
	v_add_co_u32_e64 v14, s[0:1], 2, v9
	v_subb_co_u32_e32 v7, vcc, v7, v12, vcc
	v_addc_co_u32_e64 v15, s[0:1], 0, v13, s[0:1]
	v_cmp_le_u32_e32 vcc, s41, v7
	v_add_co_u32_e64 v16, s[0:1], 1, v9
	v_cndmask_b32_e64 v12, 0, -1, vcc
	v_cmp_le_u32_e32 vcc, s40, v5
	v_addc_co_u32_e64 v17, s[0:1], 0, v13, s[0:1]
	v_cndmask_b32_e64 v5, 0, -1, vcc
	v_cmp_eq_u32_e32 vcc, s41, v7
	v_cmp_ne_u32_e64 s[0:1], 0, v11
	v_cndmask_b32_e32 v5, v12, v5, vcc
	v_cmp_ne_u32_e32 vcc, 0, v5
	v_cndmask_b32_e64 v7, v16, v14, s[0:1]
	v_cndmask_b32_e64 v11, v17, v15, s[0:1]
	v_cndmask_b32_e32 v7, v9, v7, vcc
	v_cndmask_b32_e32 v5, v13, v11, vcc
	v_xor_b32_e32 v7, v7, v3
	v_xor_b32_e32 v5, v5, v3
	v_sub_co_u32_e32 v12, vcc, v7, v3
	v_subb_co_u32_e32 v13, vcc, v5, v3, vcc
.LBB20_29:                              ;   in Loop: Header=BB20_23 Depth=2
	s_andn2_saveexec_b64 s[0:1], s[36:37]
	s_cbranch_execz .LBB20_31
; %bb.30:                               ;   in Loop: Header=BB20_23 Depth=2
	v_cvt_f32_u32_e32 v3, s50
	s_sub_i32 s16, 0, s50
	v_mov_b32_e32 v13, v2
	v_rcp_iflag_f32_e32 v3, v3
	v_mul_f32_e32 v3, 0x4f7ffffe, v3
	v_cvt_u32_f32_e32 v3, v3
	v_mul_lo_u32 v5, s16, v3
	v_mul_hi_u32 v5, v3, v5
	v_add_u32_e32 v3, v3, v5
	v_mul_hi_u32 v3, v10, v3
	v_mul_lo_u32 v5, v3, s50
	v_add_u32_e32 v7, 1, v3
	v_sub_u32_e32 v5, v10, v5
	v_subrev_u32_e32 v9, s50, v5
	v_cmp_le_u32_e32 vcc, s50, v5
	v_cndmask_b32_e32 v5, v5, v9, vcc
	v_cndmask_b32_e32 v3, v3, v7, vcc
	v_add_u32_e32 v7, 1, v3
	v_cmp_le_u32_e32 vcc, s50, v5
	v_cndmask_b32_e32 v12, v3, v7, vcc
.LBB20_31:                              ;   in Loop: Header=BB20_23 Depth=2
	s_or_b64 exec, exec, s[0:1]
	s_add_u32 s0, s4, s34
	s_addc_u32 s1, s5, s35
	s_add_i32 s16, s30, 5
	s_lshl_b64 s[34:35], s[16:17], 2
	s_add_u32 s36, s42, s34
	s_addc_u32 s37, s43, s35
	s_load_dword s52, s[36:37], 0x8
	s_load_dword s51, s[0:1], 0x6c
                                        ; implicit-def: $vgpr14_vgpr15
	s_waitcnt lgkmcnt(0)
	s_ashr_i32 s0, s52, 31
	v_or_b32_e32 v3, s0, v13
	v_cmp_ne_u64_e32 vcc, 0, v[2:3]
	s_and_saveexec_b64 s[36:37], vcc
	s_xor_b64 s[36:37], exec, s[36:37]
	s_cbranch_execz .LBB20_33
; %bb.32:                               ;   in Loop: Header=BB20_23 Depth=2
	s_ashr_i32 s38, s0, 31
	s_add_u32 s40, s52, s38
	s_mov_b32 s39, s38
	s_addc_u32 s41, s0, s38
	s_xor_b64 s[40:41], s[40:41], s[38:39]
	v_cvt_f32_u32_e32 v3, s40
	v_cvt_f32_u32_e32 v5, s41
	s_sub_u32 s16, 0, s40
	s_subb_u32 s31, 0, s41
	v_mac_f32_e32 v3, 0x4f800000, v5
	v_rcp_f32_e32 v3, v3
	v_mul_f32_e32 v3, 0x5f7ffffc, v3
	v_mul_f32_e32 v5, 0x2f800000, v3
	v_trunc_f32_e32 v5, v5
	v_mac_f32_e32 v3, 0xcf800000, v5
	v_cvt_u32_f32_e32 v5, v5
	v_cvt_u32_f32_e32 v3, v3
	v_readfirstlane_b32 s39, v5
	v_readfirstlane_b32 s0, v3
	s_mul_i32 s1, s16, s39
	s_mul_hi_u32 s54, s16, s0
	s_mul_i32 s53, s31, s0
	s_add_i32 s1, s54, s1
	s_add_i32 s1, s1, s53
	s_mul_i32 s55, s16, s0
	s_mul_i32 s54, s0, s1
	s_mul_hi_u32 s56, s0, s55
	s_mul_hi_u32 s53, s0, s1
	s_add_u32 s54, s56, s54
	s_addc_u32 s53, 0, s53
	s_mul_hi_u32 s57, s39, s55
	s_mul_i32 s55, s39, s55
	s_add_u32 s54, s54, s55
	s_mul_hi_u32 s56, s39, s1
	s_addc_u32 s53, s53, s57
	s_addc_u32 s54, s56, 0
	s_mul_i32 s1, s39, s1
	s_add_u32 s1, s53, s1
	s_addc_u32 s53, 0, s54
	s_add_u32 s54, s0, s1
	s_cselect_b64 s[0:1], -1, 0
	s_cmp_lg_u64 s[0:1], 0
	s_addc_u32 s39, s39, s53
	s_mul_i32 s0, s16, s39
	s_mul_hi_u32 s1, s16, s54
	s_add_i32 s0, s1, s0
	s_mul_i32 s31, s31, s54
	s_add_i32 s0, s0, s31
	s_mul_i32 s16, s16, s54
	s_mul_hi_u32 s31, s39, s16
	s_mul_i32 s53, s39, s16
	s_mul_i32 s56, s54, s0
	s_mul_hi_u32 s16, s54, s16
	s_mul_hi_u32 s55, s54, s0
	s_add_u32 s16, s16, s56
	s_addc_u32 s55, 0, s55
	s_add_u32 s16, s16, s53
	s_mul_hi_u32 s1, s39, s0
	s_addc_u32 s16, s55, s31
	s_addc_u32 s1, s1, 0
	s_mul_i32 s0, s39, s0
	s_add_u32 s0, s16, s0
	s_addc_u32 s16, 0, s1
	s_add_u32 s31, s54, s0
	s_cselect_b64 s[0:1], -1, 0
	v_ashrrev_i32_e32 v3, 31, v13
	s_cmp_lg_u64 s[0:1], 0
	v_add_co_u32_e32 v5, vcc, v12, v3
	s_addc_u32 s16, s39, s16
	v_xor_b32_e32 v5, v5, v3
	v_addc_co_u32_e32 v7, vcc, v13, v3, vcc
	v_mad_u64_u32 v[13:14], s[0:1], v5, s16, 0
	v_mul_hi_u32 v9, v5, s31
	v_xor_b32_e32 v7, v7, v3
	v_mad_u64_u32 v[15:16], s[0:1], v7, s16, 0
	v_add_co_u32_e32 v9, vcc, v9, v13
	v_addc_co_u32_e32 v11, vcc, 0, v14, vcc
	v_mad_u64_u32 v[13:14], s[0:1], v7, s31, 0
	v_xor_b32_e32 v3, s38, v3
	v_add_co_u32_e32 v9, vcc, v9, v13
	v_addc_co_u32_e32 v9, vcc, v11, v14, vcc
	v_addc_co_u32_e32 v11, vcc, 0, v16, vcc
	v_add_co_u32_e32 v9, vcc, v9, v15
	v_addc_co_u32_e32 v11, vcc, 0, v11, vcc
	v_mul_lo_u32 v15, s41, v9
	v_mul_lo_u32 v16, s40, v11
	v_mad_u64_u32 v[13:14], s[0:1], s40, v9, 0
	v_add3_u32 v14, v14, v16, v15
	v_sub_u32_e32 v15, v7, v14
	v_mov_b32_e32 v16, s41
	v_sub_co_u32_e32 v5, vcc, v5, v13
	v_subb_co_u32_e64 v13, s[0:1], v15, v16, vcc
	v_subrev_co_u32_e64 v15, s[0:1], s40, v5
	v_subbrev_co_u32_e64 v13, s[0:1], 0, v13, s[0:1]
	v_cmp_le_u32_e64 s[0:1], s41, v13
	v_cndmask_b32_e64 v16, 0, -1, s[0:1]
	v_cmp_le_u32_e64 s[0:1], s40, v15
	v_cndmask_b32_e64 v15, 0, -1, s[0:1]
	v_cmp_eq_u32_e64 s[0:1], s41, v13
	v_cndmask_b32_e64 v13, v16, v15, s[0:1]
	v_add_co_u32_e64 v15, s[0:1], 2, v9
	v_subb_co_u32_e32 v7, vcc, v7, v14, vcc
	v_addc_co_u32_e64 v16, s[0:1], 0, v11, s[0:1]
	v_cmp_le_u32_e32 vcc, s41, v7
	v_add_co_u32_e64 v17, s[0:1], 1, v9
	v_cndmask_b32_e64 v14, 0, -1, vcc
	v_cmp_le_u32_e32 vcc, s40, v5
	v_addc_co_u32_e64 v18, s[0:1], 0, v11, s[0:1]
	v_cndmask_b32_e64 v5, 0, -1, vcc
	v_cmp_eq_u32_e32 vcc, s41, v7
	v_cmp_ne_u32_e64 s[0:1], 0, v13
	v_cndmask_b32_e32 v5, v14, v5, vcc
	v_cmp_ne_u32_e32 vcc, 0, v5
	v_cndmask_b32_e64 v7, v17, v15, s[0:1]
	v_cndmask_b32_e64 v13, v18, v16, s[0:1]
	v_cndmask_b32_e32 v7, v9, v7, vcc
	v_cndmask_b32_e32 v5, v11, v13, vcc
	v_xor_b32_e32 v7, v7, v3
	v_xor_b32_e32 v5, v5, v3
	v_sub_co_u32_e32 v14, vcc, v7, v3
	v_subb_co_u32_e32 v15, vcc, v5, v3, vcc
.LBB20_33:                              ;   in Loop: Header=BB20_23 Depth=2
	s_andn2_saveexec_b64 s[0:1], s[36:37]
	s_cbranch_execz .LBB20_35
; %bb.34:                               ;   in Loop: Header=BB20_23 Depth=2
	v_cvt_f32_u32_e32 v3, s52
	s_sub_i32 s16, 0, s52
	v_mov_b32_e32 v15, v2
	v_rcp_iflag_f32_e32 v3, v3
	v_mul_f32_e32 v3, 0x4f7ffffe, v3
	v_cvt_u32_f32_e32 v3, v3
	v_mul_lo_u32 v5, s16, v3
	v_mul_hi_u32 v5, v3, v5
	v_add_u32_e32 v3, v3, v5
	v_mul_hi_u32 v3, v12, v3
	v_mul_lo_u32 v5, v3, s52
	v_add_u32_e32 v7, 1, v3
	v_sub_u32_e32 v5, v12, v5
	v_subrev_u32_e32 v9, s52, v5
	v_cmp_le_u32_e32 vcc, s52, v5
	v_cndmask_b32_e32 v5, v5, v9, vcc
	v_cndmask_b32_e32 v3, v3, v7, vcc
	v_add_u32_e32 v7, 1, v3
	v_cmp_le_u32_e32 vcc, s52, v5
	v_cndmask_b32_e32 v14, v3, v7, vcc
.LBB20_35:                              ;   in Loop: Header=BB20_23 Depth=2
	s_or_b64 exec, exec, s[0:1]
	s_add_u32 s0, s4, s34
	s_addc_u32 s1, s5, s35
	s_add_i32 s16, s30, 4
	s_lshl_b64 s[34:35], s[16:17], 2
	s_add_u32 s36, s42, s34
	s_addc_u32 s37, s43, s35
	s_load_dword s54, s[36:37], 0x8
	s_load_dword s53, s[0:1], 0x6c
                                        ; implicit-def: $vgpr16_vgpr17
	s_waitcnt lgkmcnt(0)
	s_ashr_i32 s0, s54, 31
	v_or_b32_e32 v3, s0, v15
	v_cmp_ne_u64_e32 vcc, 0, v[2:3]
	s_and_saveexec_b64 s[36:37], vcc
	s_xor_b64 s[36:37], exec, s[36:37]
	s_cbranch_execz .LBB20_37
; %bb.36:                               ;   in Loop: Header=BB20_23 Depth=2
	s_ashr_i32 s38, s0, 31
	s_add_u32 s40, s54, s38
	s_mov_b32 s39, s38
	s_addc_u32 s41, s0, s38
	s_xor_b64 s[40:41], s[40:41], s[38:39]
	v_cvt_f32_u32_e32 v3, s40
	v_cvt_f32_u32_e32 v5, s41
	s_sub_u32 s16, 0, s40
	s_subb_u32 s31, 0, s41
	v_mac_f32_e32 v3, 0x4f800000, v5
	v_rcp_f32_e32 v3, v3
	v_mul_f32_e32 v3, 0x5f7ffffc, v3
	v_mul_f32_e32 v5, 0x2f800000, v3
	v_trunc_f32_e32 v5, v5
	v_mac_f32_e32 v3, 0xcf800000, v5
	v_cvt_u32_f32_e32 v5, v5
	v_cvt_u32_f32_e32 v3, v3
	v_readfirstlane_b32 s39, v5
	v_readfirstlane_b32 s0, v3
	s_mul_i32 s1, s16, s39
	s_mul_hi_u32 s56, s16, s0
	s_mul_i32 s55, s31, s0
	s_add_i32 s1, s56, s1
	s_add_i32 s1, s1, s55
	s_mul_i32 s57, s16, s0
	s_mul_i32 s56, s0, s1
	s_mul_hi_u32 s58, s0, s57
	s_mul_hi_u32 s55, s0, s1
	s_add_u32 s56, s58, s56
	s_addc_u32 s55, 0, s55
	s_mul_hi_u32 s59, s39, s57
	s_mul_i32 s57, s39, s57
	s_add_u32 s56, s56, s57
	s_mul_hi_u32 s58, s39, s1
	s_addc_u32 s55, s55, s59
	s_addc_u32 s56, s58, 0
	s_mul_i32 s1, s39, s1
	s_add_u32 s1, s55, s1
	s_addc_u32 s55, 0, s56
	s_add_u32 s56, s0, s1
	s_cselect_b64 s[0:1], -1, 0
	s_cmp_lg_u64 s[0:1], 0
	s_addc_u32 s39, s39, s55
	s_mul_i32 s0, s16, s39
	s_mul_hi_u32 s1, s16, s56
	s_add_i32 s0, s1, s0
	s_mul_i32 s31, s31, s56
	s_add_i32 s0, s0, s31
	s_mul_i32 s16, s16, s56
	s_mul_hi_u32 s31, s39, s16
	s_mul_i32 s55, s39, s16
	s_mul_i32 s58, s56, s0
	s_mul_hi_u32 s16, s56, s16
	s_mul_hi_u32 s57, s56, s0
	s_add_u32 s16, s16, s58
	s_addc_u32 s57, 0, s57
	s_add_u32 s16, s16, s55
	s_mul_hi_u32 s1, s39, s0
	s_addc_u32 s16, s57, s31
	s_addc_u32 s1, s1, 0
	s_mul_i32 s0, s39, s0
	s_add_u32 s0, s16, s0
	s_addc_u32 s16, 0, s1
	s_add_u32 s31, s56, s0
	s_cselect_b64 s[0:1], -1, 0
	v_ashrrev_i32_e32 v3, 31, v15
	s_cmp_lg_u64 s[0:1], 0
	v_add_co_u32_e32 v5, vcc, v14, v3
	s_addc_u32 s16, s39, s16
	v_xor_b32_e32 v5, v5, v3
	v_addc_co_u32_e32 v7, vcc, v15, v3, vcc
	v_mad_u64_u32 v[15:16], s[0:1], v5, s16, 0
	v_mul_hi_u32 v9, v5, s31
	v_xor_b32_e32 v7, v7, v3
	v_mad_u64_u32 v[17:18], s[0:1], v7, s16, 0
	v_add_co_u32_e32 v9, vcc, v9, v15
	v_addc_co_u32_e32 v11, vcc, 0, v16, vcc
	v_mad_u64_u32 v[15:16], s[0:1], v7, s31, 0
	v_xor_b32_e32 v3, s38, v3
	v_add_co_u32_e32 v9, vcc, v9, v15
	v_addc_co_u32_e32 v9, vcc, v11, v16, vcc
	v_addc_co_u32_e32 v11, vcc, 0, v18, vcc
	v_add_co_u32_e32 v9, vcc, v9, v17
	v_addc_co_u32_e32 v11, vcc, 0, v11, vcc
	v_mul_lo_u32 v13, s41, v9
	v_mul_lo_u32 v17, s40, v11
	v_mad_u64_u32 v[15:16], s[0:1], s40, v9, 0
	v_add3_u32 v13, v16, v17, v13
	v_sub_u32_e32 v16, v7, v13
	v_mov_b32_e32 v17, s41
	v_sub_co_u32_e32 v5, vcc, v5, v15
	v_subb_co_u32_e64 v15, s[0:1], v16, v17, vcc
	v_subrev_co_u32_e64 v16, s[0:1], s40, v5
	v_subbrev_co_u32_e64 v15, s[0:1], 0, v15, s[0:1]
	v_cmp_le_u32_e64 s[0:1], s41, v15
	v_cndmask_b32_e64 v17, 0, -1, s[0:1]
	v_cmp_le_u32_e64 s[0:1], s40, v16
	v_cndmask_b32_e64 v16, 0, -1, s[0:1]
	v_cmp_eq_u32_e64 s[0:1], s41, v15
	v_cndmask_b32_e64 v15, v17, v16, s[0:1]
	v_add_co_u32_e64 v16, s[0:1], 2, v9
	v_subb_co_u32_e32 v7, vcc, v7, v13, vcc
	v_addc_co_u32_e64 v17, s[0:1], 0, v11, s[0:1]
	v_cmp_le_u32_e32 vcc, s41, v7
	v_add_co_u32_e64 v18, s[0:1], 1, v9
	v_cndmask_b32_e64 v13, 0, -1, vcc
	v_cmp_le_u32_e32 vcc, s40, v5
	v_addc_co_u32_e64 v19, s[0:1], 0, v11, s[0:1]
	v_cndmask_b32_e64 v5, 0, -1, vcc
	v_cmp_eq_u32_e32 vcc, s41, v7
	v_cmp_ne_u32_e64 s[0:1], 0, v15
	v_cndmask_b32_e32 v5, v13, v5, vcc
	v_cmp_ne_u32_e32 vcc, 0, v5
	v_cndmask_b32_e64 v7, v18, v16, s[0:1]
	v_cndmask_b32_e64 v15, v19, v17, s[0:1]
	v_cndmask_b32_e32 v7, v9, v7, vcc
	v_cndmask_b32_e32 v5, v11, v15, vcc
	v_xor_b32_e32 v7, v7, v3
	v_xor_b32_e32 v5, v5, v3
	v_sub_co_u32_e32 v16, vcc, v7, v3
	v_subb_co_u32_e32 v17, vcc, v5, v3, vcc
.LBB20_37:                              ;   in Loop: Header=BB20_23 Depth=2
	s_andn2_saveexec_b64 s[0:1], s[36:37]
	s_cbranch_execz .LBB20_39
; %bb.38:                               ;   in Loop: Header=BB20_23 Depth=2
	v_cvt_f32_u32_e32 v3, s54
	s_sub_i32 s16, 0, s54
	v_mov_b32_e32 v17, v2
	v_rcp_iflag_f32_e32 v3, v3
	v_mul_f32_e32 v3, 0x4f7ffffe, v3
	v_cvt_u32_f32_e32 v3, v3
	v_mul_lo_u32 v5, s16, v3
	v_mul_hi_u32 v5, v3, v5
	v_add_u32_e32 v3, v3, v5
	v_mul_hi_u32 v3, v14, v3
	v_mul_lo_u32 v5, v3, s54
	v_add_u32_e32 v7, 1, v3
	v_sub_u32_e32 v5, v14, v5
	v_subrev_u32_e32 v9, s54, v5
	v_cmp_le_u32_e32 vcc, s54, v5
	v_cndmask_b32_e32 v5, v5, v9, vcc
	v_cndmask_b32_e32 v3, v3, v7, vcc
	v_add_u32_e32 v7, 1, v3
	v_cmp_le_u32_e32 vcc, s54, v5
	v_cndmask_b32_e32 v16, v3, v7, vcc
.LBB20_39:                              ;   in Loop: Header=BB20_23 Depth=2
	s_or_b64 exec, exec, s[0:1]
	s_add_u32 s0, s4, s34
	s_addc_u32 s1, s5, s35
	s_add_i32 s16, s30, 3
	s_lshl_b64 s[34:35], s[16:17], 2
	s_add_u32 s36, s42, s34
	s_addc_u32 s37, s43, s35
	s_load_dword s55, s[36:37], 0x8
	s_load_dword s56, s[0:1], 0x6c
                                        ; implicit-def: $vgpr18_vgpr19
	s_waitcnt lgkmcnt(0)
	s_ashr_i32 s0, s55, 31
	v_or_b32_e32 v3, s0, v17
	v_cmp_ne_u64_e32 vcc, 0, v[2:3]
	s_and_saveexec_b64 s[36:37], vcc
	s_xor_b64 s[36:37], exec, s[36:37]
	s_cbranch_execz .LBB20_41
; %bb.40:                               ;   in Loop: Header=BB20_23 Depth=2
	s_ashr_i32 s38, s0, 31
	s_add_u32 s40, s55, s38
	s_mov_b32 s39, s38
	s_addc_u32 s41, s0, s38
	s_xor_b64 s[40:41], s[40:41], s[38:39]
	v_cvt_f32_u32_e32 v3, s40
	v_cvt_f32_u32_e32 v5, s41
	s_sub_u32 s16, 0, s40
	s_subb_u32 s31, 0, s41
	v_mac_f32_e32 v3, 0x4f800000, v5
	v_rcp_f32_e32 v3, v3
	v_mul_f32_e32 v3, 0x5f7ffffc, v3
	v_mul_f32_e32 v5, 0x2f800000, v3
	v_trunc_f32_e32 v5, v5
	v_mac_f32_e32 v3, 0xcf800000, v5
	v_cvt_u32_f32_e32 v5, v5
	v_cvt_u32_f32_e32 v3, v3
	v_readfirstlane_b32 s39, v5
	v_readfirstlane_b32 s0, v3
	s_mul_i32 s1, s16, s39
	s_mul_hi_u32 s58, s16, s0
	s_mul_i32 s57, s31, s0
	s_add_i32 s1, s58, s1
	s_add_i32 s1, s1, s57
	s_mul_i32 s59, s16, s0
	s_mul_i32 s58, s0, s1
	s_mul_hi_u32 s60, s0, s59
	s_mul_hi_u32 s57, s0, s1
	s_add_u32 s58, s60, s58
	s_addc_u32 s57, 0, s57
	s_mul_hi_u32 s61, s39, s59
	s_mul_i32 s59, s39, s59
	s_add_u32 s58, s58, s59
	s_mul_hi_u32 s60, s39, s1
	s_addc_u32 s57, s57, s61
	s_addc_u32 s58, s60, 0
	s_mul_i32 s1, s39, s1
	s_add_u32 s1, s57, s1
	s_addc_u32 s57, 0, s58
	s_add_u32 s58, s0, s1
	s_cselect_b64 s[0:1], -1, 0
	s_cmp_lg_u64 s[0:1], 0
	s_addc_u32 s39, s39, s57
	s_mul_i32 s0, s16, s39
	s_mul_hi_u32 s1, s16, s58
	s_add_i32 s0, s1, s0
	s_mul_i32 s31, s31, s58
	s_add_i32 s0, s0, s31
	s_mul_i32 s16, s16, s58
	s_mul_hi_u32 s31, s39, s16
	s_mul_i32 s57, s39, s16
	s_mul_i32 s60, s58, s0
	s_mul_hi_u32 s16, s58, s16
	s_mul_hi_u32 s59, s58, s0
	s_add_u32 s16, s16, s60
	s_addc_u32 s59, 0, s59
	s_add_u32 s16, s16, s57
	s_mul_hi_u32 s1, s39, s0
	s_addc_u32 s16, s59, s31
	s_addc_u32 s1, s1, 0
	s_mul_i32 s0, s39, s0
	s_add_u32 s0, s16, s0
	s_addc_u32 s16, 0, s1
	s_add_u32 s31, s58, s0
	s_cselect_b64 s[0:1], -1, 0
	v_ashrrev_i32_e32 v3, 31, v17
	s_cmp_lg_u64 s[0:1], 0
	v_add_co_u32_e32 v5, vcc, v16, v3
	s_addc_u32 s16, s39, s16
	v_xor_b32_e32 v5, v5, v3
	v_addc_co_u32_e32 v7, vcc, v17, v3, vcc
	v_mad_u64_u32 v[17:18], s[0:1], v5, s16, 0
	v_mul_hi_u32 v9, v5, s31
	v_xor_b32_e32 v7, v7, v3
	v_mad_u64_u32 v[19:20], s[0:1], v7, s16, 0
	v_add_co_u32_e32 v9, vcc, v9, v17
	v_addc_co_u32_e32 v11, vcc, 0, v18, vcc
	v_mad_u64_u32 v[17:18], s[0:1], v7, s31, 0
	v_xor_b32_e32 v3, s38, v3
	v_add_co_u32_e32 v9, vcc, v9, v17
	v_addc_co_u32_e32 v9, vcc, v11, v18, vcc
	v_addc_co_u32_e32 v11, vcc, 0, v20, vcc
	v_add_co_u32_e32 v9, vcc, v9, v19
	v_addc_co_u32_e32 v11, vcc, 0, v11, vcc
	v_mul_lo_u32 v13, s41, v9
	v_mul_lo_u32 v15, s40, v11
	v_mad_u64_u32 v[17:18], s[0:1], s40, v9, 0
	v_add3_u32 v13, v18, v15, v13
	v_sub_u32_e32 v15, v7, v13
	v_mov_b32_e32 v18, s41
	v_sub_co_u32_e32 v5, vcc, v5, v17
	v_subb_co_u32_e64 v15, s[0:1], v15, v18, vcc
	v_subrev_co_u32_e64 v17, s[0:1], s40, v5
	v_subbrev_co_u32_e64 v15, s[0:1], 0, v15, s[0:1]
	v_cmp_le_u32_e64 s[0:1], s41, v15
	v_cndmask_b32_e64 v18, 0, -1, s[0:1]
	v_cmp_le_u32_e64 s[0:1], s40, v17
	v_cndmask_b32_e64 v17, 0, -1, s[0:1]
	v_cmp_eq_u32_e64 s[0:1], s41, v15
	v_cndmask_b32_e64 v15, v18, v17, s[0:1]
	v_add_co_u32_e64 v17, s[0:1], 2, v9
	v_subb_co_u32_e32 v7, vcc, v7, v13, vcc
	v_addc_co_u32_e64 v18, s[0:1], 0, v11, s[0:1]
	v_cmp_le_u32_e32 vcc, s41, v7
	v_add_co_u32_e64 v19, s[0:1], 1, v9
	v_cndmask_b32_e64 v13, 0, -1, vcc
	v_cmp_le_u32_e32 vcc, s40, v5
	v_addc_co_u32_e64 v20, s[0:1], 0, v11, s[0:1]
	v_cndmask_b32_e64 v5, 0, -1, vcc
	v_cmp_eq_u32_e32 vcc, s41, v7
	v_cmp_ne_u32_e64 s[0:1], 0, v15
	v_cndmask_b32_e32 v5, v13, v5, vcc
	v_cmp_ne_u32_e32 vcc, 0, v5
	v_cndmask_b32_e64 v7, v19, v17, s[0:1]
	v_cndmask_b32_e64 v15, v20, v18, s[0:1]
	v_cndmask_b32_e32 v7, v9, v7, vcc
	v_cndmask_b32_e32 v5, v11, v15, vcc
	v_xor_b32_e32 v7, v7, v3
	v_xor_b32_e32 v5, v5, v3
	v_sub_co_u32_e32 v18, vcc, v7, v3
	v_subb_co_u32_e32 v19, vcc, v5, v3, vcc
.LBB20_41:                              ;   in Loop: Header=BB20_23 Depth=2
	s_andn2_saveexec_b64 s[0:1], s[36:37]
	s_cbranch_execz .LBB20_43
; %bb.42:                               ;   in Loop: Header=BB20_23 Depth=2
	v_cvt_f32_u32_e32 v3, s55
	s_sub_i32 s16, 0, s55
	v_mov_b32_e32 v19, v2
	v_rcp_iflag_f32_e32 v3, v3
	v_mul_f32_e32 v3, 0x4f7ffffe, v3
	v_cvt_u32_f32_e32 v3, v3
	v_mul_lo_u32 v5, s16, v3
	v_mul_hi_u32 v5, v3, v5
	v_add_u32_e32 v3, v3, v5
	v_mul_hi_u32 v3, v16, v3
	v_mul_lo_u32 v5, v3, s55
	v_add_u32_e32 v7, 1, v3
	v_sub_u32_e32 v5, v16, v5
	v_subrev_u32_e32 v9, s55, v5
	v_cmp_le_u32_e32 vcc, s55, v5
	v_cndmask_b32_e32 v5, v5, v9, vcc
	v_cndmask_b32_e32 v3, v3, v7, vcc
	v_add_u32_e32 v7, 1, v3
	v_cmp_le_u32_e32 vcc, s55, v5
	v_cndmask_b32_e32 v18, v3, v7, vcc
.LBB20_43:                              ;   in Loop: Header=BB20_23 Depth=2
	s_or_b64 exec, exec, s[0:1]
	s_add_u32 s0, s4, s34
	s_addc_u32 s1, s5, s35
	s_add_i32 s16, s30, 2
	s_lshl_b64 s[34:35], s[16:17], 2
	s_add_u32 s36, s42, s34
	s_addc_u32 s37, s43, s35
	s_load_dword s58, s[36:37], 0x8
	s_load_dword s57, s[0:1], 0x6c
                                        ; implicit-def: $vgpr20_vgpr21
	s_waitcnt lgkmcnt(0)
	s_ashr_i32 s0, s58, 31
	v_or_b32_e32 v3, s0, v19
	v_cmp_ne_u64_e32 vcc, 0, v[2:3]
	s_and_saveexec_b64 s[36:37], vcc
	s_xor_b64 s[36:37], exec, s[36:37]
	s_cbranch_execz .LBB20_45
; %bb.44:                               ;   in Loop: Header=BB20_23 Depth=2
	s_ashr_i32 s38, s0, 31
	s_add_u32 s40, s58, s38
	s_mov_b32 s39, s38
	s_addc_u32 s41, s0, s38
	s_xor_b64 s[40:41], s[40:41], s[38:39]
	v_cvt_f32_u32_e32 v3, s40
	v_cvt_f32_u32_e32 v5, s41
	s_sub_u32 s16, 0, s40
	s_subb_u32 s31, 0, s41
	v_mov_b32_e32 v17, s41
	v_mac_f32_e32 v3, 0x4f800000, v5
	v_rcp_f32_e32 v3, v3
	v_mul_f32_e32 v3, 0x5f7ffffc, v3
	v_mul_f32_e32 v5, 0x2f800000, v3
	v_trunc_f32_e32 v5, v5
	v_mac_f32_e32 v3, 0xcf800000, v5
	v_cvt_u32_f32_e32 v5, v5
	v_cvt_u32_f32_e32 v3, v3
	v_readfirstlane_b32 s39, v5
	v_readfirstlane_b32 s0, v3
	s_mul_i32 s1, s16, s39
	s_mul_hi_u32 s60, s16, s0
	s_mul_i32 s59, s31, s0
	s_add_i32 s1, s60, s1
	s_add_i32 s1, s1, s59
	s_mul_i32 s61, s16, s0
	s_mul_i32 s60, s0, s1
	s_mul_hi_u32 s62, s0, s61
	s_mul_hi_u32 s59, s0, s1
	s_add_u32 s60, s62, s60
	s_addc_u32 s59, 0, s59
	s_mul_hi_u32 s63, s39, s61
	s_mul_i32 s61, s39, s61
	s_add_u32 s60, s60, s61
	s_mul_hi_u32 s62, s39, s1
	s_addc_u32 s59, s59, s63
	s_addc_u32 s60, s62, 0
	s_mul_i32 s1, s39, s1
	s_add_u32 s1, s59, s1
	s_addc_u32 s59, 0, s60
	s_add_u32 s60, s0, s1
	s_cselect_b64 s[0:1], -1, 0
	s_cmp_lg_u64 s[0:1], 0
	s_addc_u32 s39, s39, s59
	s_mul_i32 s0, s16, s39
	s_mul_hi_u32 s1, s16, s60
	s_add_i32 s0, s1, s0
	s_mul_i32 s31, s31, s60
	s_add_i32 s0, s0, s31
	s_mul_i32 s16, s16, s60
	s_mul_hi_u32 s31, s39, s16
	s_mul_i32 s59, s39, s16
	s_mul_i32 s62, s60, s0
	s_mul_hi_u32 s16, s60, s16
	s_mul_hi_u32 s61, s60, s0
	s_add_u32 s16, s16, s62
	s_addc_u32 s61, 0, s61
	s_add_u32 s16, s16, s59
	s_mul_hi_u32 s1, s39, s0
	s_addc_u32 s16, s61, s31
	s_addc_u32 s1, s1, 0
	s_mul_i32 s0, s39, s0
	s_add_u32 s0, s16, s0
	s_addc_u32 s16, 0, s1
	s_add_u32 s31, s60, s0
	s_cselect_b64 s[0:1], -1, 0
	v_ashrrev_i32_e32 v3, 31, v19
	s_cmp_lg_u64 s[0:1], 0
	v_add_co_u32_e32 v5, vcc, v18, v3
	s_addc_u32 s16, s39, s16
	v_xor_b32_e32 v5, v5, v3
	v_addc_co_u32_e32 v7, vcc, v19, v3, vcc
	v_mad_u64_u32 v[19:20], s[0:1], v5, s16, 0
	v_mul_hi_u32 v9, v5, s31
	v_xor_b32_e32 v7, v7, v3
	v_mad_u64_u32 v[21:22], s[0:1], v7, s16, 0
	v_add_co_u32_e32 v9, vcc, v9, v19
	v_addc_co_u32_e32 v11, vcc, 0, v20, vcc
	v_mad_u64_u32 v[19:20], s[0:1], v7, s31, 0
	v_xor_b32_e32 v3, s38, v3
	v_add_co_u32_e32 v9, vcc, v9, v19
	v_addc_co_u32_e32 v9, vcc, v11, v20, vcc
	v_addc_co_u32_e32 v11, vcc, 0, v22, vcc
	v_add_co_u32_e32 v9, vcc, v9, v21
	v_addc_co_u32_e32 v11, vcc, 0, v11, vcc
	v_mul_lo_u32 v13, s41, v9
	v_mul_lo_u32 v15, s40, v11
	v_mad_u64_u32 v[19:20], s[0:1], s40, v9, 0
	v_add3_u32 v13, v20, v15, v13
	v_sub_u32_e32 v15, v7, v13
	v_sub_co_u32_e32 v5, vcc, v5, v19
	v_subb_co_u32_e64 v15, s[0:1], v15, v17, vcc
	v_subrev_co_u32_e64 v17, s[0:1], s40, v5
	v_subbrev_co_u32_e64 v15, s[0:1], 0, v15, s[0:1]
	v_cmp_le_u32_e64 s[0:1], s41, v15
	v_cndmask_b32_e64 v19, 0, -1, s[0:1]
	v_cmp_le_u32_e64 s[0:1], s40, v17
	v_cndmask_b32_e64 v17, 0, -1, s[0:1]
	v_cmp_eq_u32_e64 s[0:1], s41, v15
	v_cndmask_b32_e64 v15, v19, v17, s[0:1]
	v_add_co_u32_e64 v17, s[0:1], 2, v9
	v_subb_co_u32_e32 v7, vcc, v7, v13, vcc
	v_addc_co_u32_e64 v19, s[0:1], 0, v11, s[0:1]
	v_cmp_le_u32_e32 vcc, s41, v7
	v_add_co_u32_e64 v20, s[0:1], 1, v9
	v_cndmask_b32_e64 v13, 0, -1, vcc
	v_cmp_le_u32_e32 vcc, s40, v5
	v_addc_co_u32_e64 v21, s[0:1], 0, v11, s[0:1]
	v_cndmask_b32_e64 v5, 0, -1, vcc
	v_cmp_eq_u32_e32 vcc, s41, v7
	v_cmp_ne_u32_e64 s[0:1], 0, v15
	v_cndmask_b32_e32 v5, v13, v5, vcc
	v_cmp_ne_u32_e32 vcc, 0, v5
	v_cndmask_b32_e64 v7, v20, v17, s[0:1]
	v_cndmask_b32_e64 v15, v21, v19, s[0:1]
	v_cndmask_b32_e32 v7, v9, v7, vcc
	v_cndmask_b32_e32 v5, v11, v15, vcc
	v_xor_b32_e32 v7, v7, v3
	v_xor_b32_e32 v5, v5, v3
	v_sub_co_u32_e32 v20, vcc, v7, v3
	v_subb_co_u32_e32 v21, vcc, v5, v3, vcc
.LBB20_45:                              ;   in Loop: Header=BB20_23 Depth=2
	s_andn2_saveexec_b64 s[0:1], s[36:37]
	s_cbranch_execz .LBB20_47
; %bb.46:                               ;   in Loop: Header=BB20_23 Depth=2
	v_cvt_f32_u32_e32 v3, s58
	s_sub_i32 s16, 0, s58
	v_mov_b32_e32 v21, v2
	v_rcp_iflag_f32_e32 v3, v3
	v_mul_f32_e32 v3, 0x4f7ffffe, v3
	v_cvt_u32_f32_e32 v3, v3
	v_mul_lo_u32 v5, s16, v3
	v_mul_hi_u32 v5, v3, v5
	v_add_u32_e32 v3, v3, v5
	v_mul_hi_u32 v3, v18, v3
	v_mul_lo_u32 v5, v3, s58
	v_add_u32_e32 v7, 1, v3
	v_sub_u32_e32 v5, v18, v5
	v_subrev_u32_e32 v9, s58, v5
	v_cmp_le_u32_e32 vcc, s58, v5
	v_cndmask_b32_e32 v5, v5, v9, vcc
	v_cndmask_b32_e32 v3, v3, v7, vcc
	v_add_u32_e32 v7, 1, v3
	v_cmp_le_u32_e32 vcc, s58, v5
	v_cndmask_b32_e32 v20, v3, v7, vcc
.LBB20_47:                              ;   in Loop: Header=BB20_23 Depth=2
	s_or_b64 exec, exec, s[0:1]
	s_add_u32 s0, s4, s34
	s_addc_u32 s1, s5, s35
	s_add_i32 s16, s30, 1
	s_lshl_b64 s[34:35], s[16:17], 2
	s_add_u32 s36, s42, s34
	s_addc_u32 s37, s43, s35
	s_load_dword s59, s[36:37], 0x8
	s_load_dword s16, s[0:1], 0x6c
                                        ; implicit-def: $vgpr22_vgpr23
	s_waitcnt lgkmcnt(0)
	s_ashr_i32 s0, s59, 31
	v_or_b32_e32 v3, s0, v21
	v_cmp_ne_u64_e32 vcc, 0, v[2:3]
	s_and_saveexec_b64 s[36:37], vcc
	s_xor_b64 s[36:37], exec, s[36:37]
	s_cbranch_execz .LBB20_49
; %bb.48:                               ;   in Loop: Header=BB20_23 Depth=2
	s_ashr_i32 s38, s0, 31
	s_add_u32 s40, s59, s38
	s_mov_b32 s39, s38
	s_addc_u32 s41, s0, s38
	s_xor_b64 s[40:41], s[40:41], s[38:39]
	v_cvt_f32_u32_e32 v3, s40
	v_cvt_f32_u32_e32 v5, s41
	s_sub_u32 s31, 0, s40
	s_subb_u32 s39, 0, s41
	v_mov_b32_e32 v17, s41
	v_mac_f32_e32 v3, 0x4f800000, v5
	v_rcp_f32_e32 v3, v3
	v_mul_f32_e32 v3, 0x5f7ffffc, v3
	v_mul_f32_e32 v5, 0x2f800000, v3
	v_trunc_f32_e32 v5, v5
	v_mac_f32_e32 v3, 0xcf800000, v5
	v_cvt_u32_f32_e32 v5, v5
	v_cvt_u32_f32_e32 v3, v3
	v_readfirstlane_b32 s60, v5
	v_readfirstlane_b32 s0, v3
	s_mul_i32 s1, s31, s60
	s_mul_hi_u32 s62, s31, s0
	s_mul_i32 s61, s39, s0
	s_add_i32 s1, s62, s1
	s_add_i32 s1, s1, s61
	s_mul_i32 s63, s31, s0
	s_mul_i32 s62, s0, s1
	s_mul_hi_u32 s64, s0, s63
	s_mul_hi_u32 s61, s0, s1
	s_add_u32 s62, s64, s62
	s_addc_u32 s61, 0, s61
	s_mul_hi_u32 s65, s60, s63
	s_mul_i32 s63, s60, s63
	s_add_u32 s62, s62, s63
	s_mul_hi_u32 s64, s60, s1
	s_addc_u32 s61, s61, s65
	s_addc_u32 s62, s64, 0
	s_mul_i32 s1, s60, s1
	s_add_u32 s1, s61, s1
	s_addc_u32 s61, 0, s62
	s_add_u32 s62, s0, s1
	s_cselect_b64 s[0:1], -1, 0
	s_cmp_lg_u64 s[0:1], 0
	s_addc_u32 s60, s60, s61
	s_mul_i32 s0, s31, s60
	s_mul_hi_u32 s1, s31, s62
	s_add_i32 s0, s1, s0
	s_mul_i32 s39, s39, s62
	s_add_i32 s0, s0, s39
	s_mul_i32 s31, s31, s62
	s_mul_hi_u32 s39, s60, s31
	s_mul_i32 s61, s60, s31
	s_mul_i32 s64, s62, s0
	s_mul_hi_u32 s31, s62, s31
	s_mul_hi_u32 s63, s62, s0
	s_add_u32 s31, s31, s64
	s_addc_u32 s63, 0, s63
	s_add_u32 s31, s31, s61
	s_mul_hi_u32 s1, s60, s0
	s_addc_u32 s31, s63, s39
	s_addc_u32 s1, s1, 0
	s_mul_i32 s0, s60, s0
	s_add_u32 s0, s31, s0
	s_addc_u32 s31, 0, s1
	s_add_u32 s39, s62, s0
	s_cselect_b64 s[0:1], -1, 0
	v_ashrrev_i32_e32 v3, 31, v21
	s_cmp_lg_u64 s[0:1], 0
	v_add_co_u32_e32 v5, vcc, v20, v3
	s_addc_u32 s31, s60, s31
	v_xor_b32_e32 v5, v5, v3
	v_addc_co_u32_e32 v7, vcc, v21, v3, vcc
	v_mad_u64_u32 v[21:22], s[0:1], v5, s31, 0
	v_mul_hi_u32 v9, v5, s39
	v_xor_b32_e32 v7, v7, v3
	v_mad_u64_u32 v[23:24], s[0:1], v7, s31, 0
	v_add_co_u32_e32 v9, vcc, v9, v21
	v_addc_co_u32_e32 v11, vcc, 0, v22, vcc
	v_mad_u64_u32 v[21:22], s[0:1], v7, s39, 0
	v_xor_b32_e32 v3, s38, v3
	v_add_co_u32_e32 v9, vcc, v9, v21
	v_addc_co_u32_e32 v9, vcc, v11, v22, vcc
	v_addc_co_u32_e32 v11, vcc, 0, v24, vcc
	v_add_co_u32_e32 v9, vcc, v9, v23
	v_addc_co_u32_e32 v11, vcc, 0, v11, vcc
	v_mul_lo_u32 v13, s41, v9
	v_mul_lo_u32 v15, s40, v11
	v_mad_u64_u32 v[21:22], s[0:1], s40, v9, 0
	v_add3_u32 v13, v22, v15, v13
	v_sub_u32_e32 v15, v7, v13
	v_sub_co_u32_e32 v5, vcc, v5, v21
	v_subb_co_u32_e64 v15, s[0:1], v15, v17, vcc
	v_subrev_co_u32_e64 v17, s[0:1], s40, v5
	v_subbrev_co_u32_e64 v15, s[0:1], 0, v15, s[0:1]
	v_cmp_le_u32_e64 s[0:1], s41, v15
	v_cndmask_b32_e64 v19, 0, -1, s[0:1]
	v_cmp_le_u32_e64 s[0:1], s40, v17
	v_cndmask_b32_e64 v17, 0, -1, s[0:1]
	v_cmp_eq_u32_e64 s[0:1], s41, v15
	v_cndmask_b32_e64 v15, v19, v17, s[0:1]
	v_add_co_u32_e64 v17, s[0:1], 2, v9
	v_subb_co_u32_e32 v7, vcc, v7, v13, vcc
	v_addc_co_u32_e64 v19, s[0:1], 0, v11, s[0:1]
	v_cmp_le_u32_e32 vcc, s41, v7
	v_add_co_u32_e64 v21, s[0:1], 1, v9
	v_cndmask_b32_e64 v13, 0, -1, vcc
	v_cmp_le_u32_e32 vcc, s40, v5
	v_addc_co_u32_e64 v22, s[0:1], 0, v11, s[0:1]
	v_cndmask_b32_e64 v5, 0, -1, vcc
	v_cmp_eq_u32_e32 vcc, s41, v7
	v_cmp_ne_u32_e64 s[0:1], 0, v15
	v_cndmask_b32_e32 v5, v13, v5, vcc
	v_cmp_ne_u32_e32 vcc, 0, v5
	v_cndmask_b32_e64 v7, v21, v17, s[0:1]
	v_cndmask_b32_e64 v15, v22, v19, s[0:1]
	v_cndmask_b32_e32 v7, v9, v7, vcc
	v_cndmask_b32_e32 v5, v11, v15, vcc
	v_xor_b32_e32 v7, v7, v3
	v_xor_b32_e32 v5, v5, v3
	v_sub_co_u32_e32 v22, vcc, v7, v3
	v_subb_co_u32_e32 v23, vcc, v5, v3, vcc
.LBB20_49:                              ;   in Loop: Header=BB20_23 Depth=2
	s_andn2_saveexec_b64 s[0:1], s[36:37]
	s_cbranch_execz .LBB20_51
; %bb.50:                               ;   in Loop: Header=BB20_23 Depth=2
	v_cvt_f32_u32_e32 v3, s59
	s_sub_i32 s31, 0, s59
	v_mov_b32_e32 v23, v2
	v_rcp_iflag_f32_e32 v3, v3
	v_mul_f32_e32 v3, 0x4f7ffffe, v3
	v_cvt_u32_f32_e32 v3, v3
	v_mul_lo_u32 v5, s31, v3
	v_mul_hi_u32 v5, v3, v5
	v_add_u32_e32 v3, v3, v5
	v_mul_hi_u32 v3, v20, v3
	v_mul_lo_u32 v5, v3, s59
	v_add_u32_e32 v7, 1, v3
	v_sub_u32_e32 v5, v20, v5
	v_subrev_u32_e32 v9, s59, v5
	v_cmp_le_u32_e32 vcc, s59, v5
	v_cndmask_b32_e32 v5, v5, v9, vcc
	v_cndmask_b32_e32 v3, v3, v7, vcc
	v_add_u32_e32 v7, 1, v3
	v_cmp_le_u32_e32 vcc, s59, v5
	v_cndmask_b32_e32 v22, v3, v7, vcc
.LBB20_51:                              ;   in Loop: Header=BB20_23 Depth=2
	s_or_b64 exec, exec, s[0:1]
	s_add_u32 s0, s4, s34
	s_mov_b32 s31, s17
	s_addc_u32 s1, s5, s35
	s_lshl_b64 s[34:35], s[30:31], 2
	s_add_u32 s36, s42, s34
	s_addc_u32 s37, s43, s35
	s_load_dword s60, s[36:37], 0x8
	s_load_dword s31, s[0:1], 0x6c
                                        ; implicit-def: $vgpr24_vgpr25
	s_waitcnt lgkmcnt(0)
	s_ashr_i32 s0, s60, 31
	v_or_b32_e32 v3, s0, v23
	v_cmp_ne_u64_e32 vcc, 0, v[2:3]
	s_and_saveexec_b64 s[36:37], vcc
	s_xor_b64 s[36:37], exec, s[36:37]
	s_cbranch_execz .LBB20_53
; %bb.52:                               ;   in Loop: Header=BB20_23 Depth=2
	s_ashr_i32 s38, s0, 31
	s_add_u32 s40, s60, s38
	s_mov_b32 s39, s38
	s_addc_u32 s41, s0, s38
	s_xor_b64 s[40:41], s[40:41], s[38:39]
	v_cvt_f32_u32_e32 v3, s40
	v_cvt_f32_u32_e32 v5, s41
	s_sub_u32 s39, 0, s40
	s_subb_u32 s61, 0, s41
	v_mov_b32_e32 v17, s41
	v_mac_f32_e32 v3, 0x4f800000, v5
	v_rcp_f32_e32 v3, v3
	v_mul_f32_e32 v3, 0x5f7ffffc, v3
	v_mul_f32_e32 v5, 0x2f800000, v3
	v_trunc_f32_e32 v5, v5
	v_mac_f32_e32 v3, 0xcf800000, v5
	v_cvt_u32_f32_e32 v5, v5
	v_cvt_u32_f32_e32 v3, v3
	v_readfirstlane_b32 s62, v5
	v_readfirstlane_b32 s0, v3
	s_mul_i32 s1, s39, s62
	s_mul_hi_u32 s64, s39, s0
	s_mul_i32 s63, s61, s0
	s_add_i32 s1, s64, s1
	s_add_i32 s1, s1, s63
	s_mul_i32 s65, s39, s0
	s_mul_i32 s64, s0, s1
	s_mul_hi_u32 s66, s0, s65
	s_mul_hi_u32 s63, s0, s1
	s_add_u32 s64, s66, s64
	s_addc_u32 s63, 0, s63
	s_mul_hi_u32 s67, s62, s65
	s_mul_i32 s65, s62, s65
	s_add_u32 s64, s64, s65
	s_mul_hi_u32 s66, s62, s1
	s_addc_u32 s63, s63, s67
	s_addc_u32 s64, s66, 0
	s_mul_i32 s1, s62, s1
	s_add_u32 s1, s63, s1
	s_addc_u32 s63, 0, s64
	s_add_u32 s64, s0, s1
	s_cselect_b64 s[0:1], -1, 0
	s_cmp_lg_u64 s[0:1], 0
	s_addc_u32 s62, s62, s63
	s_mul_i32 s0, s39, s62
	s_mul_hi_u32 s1, s39, s64
	s_add_i32 s0, s1, s0
	s_mul_i32 s61, s61, s64
	s_add_i32 s0, s0, s61
	s_mul_i32 s39, s39, s64
	s_mul_hi_u32 s61, s62, s39
	s_mul_i32 s63, s62, s39
	s_mul_i32 s66, s64, s0
	s_mul_hi_u32 s39, s64, s39
	s_mul_hi_u32 s65, s64, s0
	s_add_u32 s39, s39, s66
	s_addc_u32 s65, 0, s65
	s_add_u32 s39, s39, s63
	s_mul_hi_u32 s1, s62, s0
	s_addc_u32 s39, s65, s61
	s_addc_u32 s1, s1, 0
	s_mul_i32 s0, s62, s0
	s_add_u32 s0, s39, s0
	s_addc_u32 s39, 0, s1
	s_add_u32 s61, s64, s0
	s_cselect_b64 s[0:1], -1, 0
	v_ashrrev_i32_e32 v3, 31, v23
	s_cmp_lg_u64 s[0:1], 0
	v_add_co_u32_e32 v5, vcc, v22, v3
	s_addc_u32 s39, s62, s39
	v_xor_b32_e32 v5, v5, v3
	v_addc_co_u32_e32 v7, vcc, v23, v3, vcc
	v_mad_u64_u32 v[23:24], s[0:1], v5, s39, 0
	v_mul_hi_u32 v9, v5, s61
	v_xor_b32_e32 v7, v7, v3
	v_mad_u64_u32 v[28:29], s[0:1], v7, s39, 0
	v_add_co_u32_e32 v9, vcc, v9, v23
	v_addc_co_u32_e32 v11, vcc, 0, v24, vcc
	v_mad_u64_u32 v[23:24], s[0:1], v7, s61, 0
	v_xor_b32_e32 v3, s38, v3
	v_add_co_u32_e32 v9, vcc, v9, v23
	v_addc_co_u32_e32 v9, vcc, v11, v24, vcc
	v_addc_co_u32_e32 v11, vcc, 0, v29, vcc
	v_add_co_u32_e32 v9, vcc, v9, v28
	v_addc_co_u32_e32 v11, vcc, 0, v11, vcc
	v_mul_lo_u32 v13, s41, v9
	v_mul_lo_u32 v15, s40, v11
	v_mad_u64_u32 v[23:24], s[0:1], s40, v9, 0
	v_add3_u32 v13, v24, v15, v13
	v_sub_u32_e32 v15, v7, v13
	v_sub_co_u32_e32 v5, vcc, v5, v23
	v_subb_co_u32_e64 v15, s[0:1], v15, v17, vcc
	v_subrev_co_u32_e64 v17, s[0:1], s40, v5
	v_subbrev_co_u32_e64 v15, s[0:1], 0, v15, s[0:1]
	v_cmp_le_u32_e64 s[0:1], s41, v15
	v_cndmask_b32_e64 v19, 0, -1, s[0:1]
	v_cmp_le_u32_e64 s[0:1], s40, v17
	v_cndmask_b32_e64 v17, 0, -1, s[0:1]
	v_cmp_eq_u32_e64 s[0:1], s41, v15
	v_cndmask_b32_e64 v15, v19, v17, s[0:1]
	v_add_co_u32_e64 v17, s[0:1], 2, v9
	v_subb_co_u32_e32 v7, vcc, v7, v13, vcc
	v_addc_co_u32_e64 v19, s[0:1], 0, v11, s[0:1]
	v_cmp_le_u32_e32 vcc, s41, v7
	v_add_co_u32_e64 v21, s[0:1], 1, v9
	v_cndmask_b32_e64 v13, 0, -1, vcc
	v_cmp_le_u32_e32 vcc, s40, v5
	v_addc_co_u32_e64 v23, s[0:1], 0, v11, s[0:1]
	v_cndmask_b32_e64 v5, 0, -1, vcc
	v_cmp_eq_u32_e32 vcc, s41, v7
	v_cmp_ne_u32_e64 s[0:1], 0, v15
	v_cndmask_b32_e32 v5, v13, v5, vcc
	v_cmp_ne_u32_e32 vcc, 0, v5
	v_cndmask_b32_e64 v7, v21, v17, s[0:1]
	v_cndmask_b32_e64 v15, v23, v19, s[0:1]
	v_cndmask_b32_e32 v7, v9, v7, vcc
	v_cndmask_b32_e32 v5, v11, v15, vcc
	v_xor_b32_e32 v7, v7, v3
	v_xor_b32_e32 v5, v5, v3
	v_sub_co_u32_e32 v24, vcc, v7, v3
	v_subb_co_u32_e32 v25, vcc, v5, v3, vcc
.LBB20_53:                              ;   in Loop: Header=BB20_23 Depth=2
	s_andn2_saveexec_b64 s[0:1], s[36:37]
	s_cbranch_execz .LBB20_55
; %bb.54:                               ;   in Loop: Header=BB20_23 Depth=2
	v_cvt_f32_u32_e32 v3, s60
	s_sub_i32 s36, 0, s60
	v_mov_b32_e32 v25, v2
	v_rcp_iflag_f32_e32 v3, v3
	v_mul_f32_e32 v3, 0x4f7ffffe, v3
	v_cvt_u32_f32_e32 v3, v3
	v_mul_lo_u32 v5, s36, v3
	v_mul_hi_u32 v5, v3, v5
	v_add_u32_e32 v3, v3, v5
	v_mul_hi_u32 v3, v22, v3
	v_mul_lo_u32 v5, v3, s60
	v_add_u32_e32 v7, 1, v3
	v_sub_u32_e32 v5, v22, v5
	v_subrev_u32_e32 v9, s60, v5
	v_cmp_le_u32_e32 vcc, s60, v5
	v_cndmask_b32_e32 v5, v5, v9, vcc
	v_cndmask_b32_e32 v3, v3, v7, vcc
	v_add_u32_e32 v7, 1, v3
	v_cmp_le_u32_e32 vcc, s60, v5
	v_cndmask_b32_e32 v24, v3, v7, vcc
.LBB20_55:                              ;   in Loop: Header=BB20_23 Depth=2
	s_or_b64 exec, exec, s[0:1]
	v_mul_lo_u32 v3, v10, s25
	v_mul_lo_u32 v5, v12, s50
	;; [unrolled: 1-line block ×3, first 2 shown]
	s_add_u32 s0, s4, s34
	v_sub_u32_e32 v3, v8, v3
	v_mul_lo_u32 v8, v16, s54
	v_sub_u32_e32 v5, v10, v5
	v_mul_lo_u32 v3, s28, v3
	v_mul_lo_u32 v5, s51, v5
	v_sub_u32_e32 v7, v12, v7
	v_sub_u32_e32 v8, v14, v8
	v_mul_lo_u32 v7, s53, v7
	v_mul_lo_u32 v8, s56, v8
	;; [unrolled: 1-line block ×3, first 2 shown]
	v_add3_u32 v3, v3, v6, v5
	v_mul_lo_u32 v5, v20, s58
	s_addc_u32 s1, s5, s35
	v_add3_u32 v3, v7, v3, v8
	v_mul_lo_u32 v7, v22, s59
	v_mul_lo_u32 v8, v24, s60
	s_load_dword s0, s[0:1], 0x6c
	v_sub_u32_e32 v6, v16, v9
	v_sub_u32_e32 v5, v18, v5
	v_mul_lo_u32 v6, s57, v6
	v_mul_lo_u32 v5, s16, v5
	v_sub_u32_e32 v7, v20, v7
	v_sub_u32_e32 v8, v22, v8
	v_mul_lo_u32 v7, s31, v7
	s_waitcnt lgkmcnt(0)
	v_mul_lo_u32 v8, s0, v8
	v_add3_u32 v3, v6, v3, v5
	s_add_i32 s30, s30, -8
	s_cmp_eq_u32 s30, -8
	v_add3_u32 v6, v7, v3, v8
	s_cbranch_scc1 .LBB20_57
; %bb.56:                               ;   in Loop: Header=BB20_23 Depth=2
	v_mov_b32_e32 v8, v24
	v_mov_b32_e32 v9, v25
	s_branch .LBB20_23
.LBB20_57:                              ;   in Loop: Header=BB20_3 Depth=1
	s_load_dword s16, s[2:3], 0x4
	s_waitcnt lgkmcnt(0)
	v_cmp_gt_i32_e32 vcc, s16, v27
	s_and_b64 exec, exec, vcc
	s_cbranch_execz .LBB20_2
; %bb.58:                               ;   in Loop: Header=BB20_3 Depth=1
	v_ashrrev_i32_e32 v5, 31, v4
	v_cmp_lt_i64_e32 vcc, s[8:9], v[4:5]
	s_and_saveexec_b64 s[0:1], vcc
	s_cbranch_execz .LBB20_60
; %bb.59:                               ;   in Loop: Header=BB20_3 Depth=1
	v_ashrrev_i32_e32 v7, 31, v6
	v_lshlrev_b64 v[3:4], 3, v[6:7]
	v_mov_b32_e32 v5, s13
	v_add_co_u32_e32 v7, vcc, s12, v3
	v_addc_co_u32_e32 v8, vcc, v5, v4, vcc
	v_mov_b32_e32 v3, v2
	global_store_dwordx2 v[7:8], v[2:3], off
.LBB20_60:                              ;   in Loop: Header=BB20_3 Depth=1
	s_or_b64 exec, exec, s[0:1]
	v_add_u32_e32 v3, 1, v27
	v_cmp_gt_i32_e32 vcc, s16, v3
	s_and_b64 exec, exec, vcc
	s_cbranch_execz .LBB20_2
; %bb.61:                               ;   in Loop: Header=BB20_3 Depth=1
	v_sub_u32_e32 v3, v3, v26
	v_ashrrev_i32_e32 v4, 31, v3
	v_cmp_lt_i64_e32 vcc, s[8:9], v[3:4]
	s_and_b64 exec, exec, vcc
	s_cbranch_execz .LBB20_2
; %bb.62:                               ;   in Loop: Header=BB20_3 Depth=1
	v_add_u32_e32 v3, s29, v6
	v_ashrrev_i32_e32 v4, 31, v3
	v_lshlrev_b64 v[3:4], 3, v[3:4]
	v_mov_b32_e32 v6, s13
	v_add_co_u32_e32 v5, vcc, s12, v3
	v_addc_co_u32_e32 v6, vcc, v6, v4, vcc
	v_mov_b32_e32 v3, v2
	global_store_dwordx2 v[5:6], v[2:3], off
	s_branch .LBB20_2
.LBB20_63:
	s_endpgm
	.section	.rodata,"a",@progbits
	.p2align	6, 0x0
	.amdhsa_kernel _ZN2at6native16triu_tril_kernelIdiLb0ELi2ELb1EEEvNS_4cuda6detail10TensorInfoIT_T0_EENS4_IKS5_S6_EEllS6_
		.amdhsa_group_segment_fixed_size 0
		.amdhsa_private_segment_fixed_size 0
		.amdhsa_kernarg_size 712
		.amdhsa_user_sgpr_count 6
		.amdhsa_user_sgpr_private_segment_buffer 1
		.amdhsa_user_sgpr_dispatch_ptr 0
		.amdhsa_user_sgpr_queue_ptr 0
		.amdhsa_user_sgpr_kernarg_segment_ptr 1
		.amdhsa_user_sgpr_dispatch_id 0
		.amdhsa_user_sgpr_flat_scratch_init 0
		.amdhsa_user_sgpr_private_segment_size 0
		.amdhsa_uses_dynamic_stack 0
		.amdhsa_system_sgpr_private_segment_wavefront_offset 0
		.amdhsa_system_sgpr_workgroup_id_x 1
		.amdhsa_system_sgpr_workgroup_id_y 0
		.amdhsa_system_sgpr_workgroup_id_z 0
		.amdhsa_system_sgpr_workgroup_info 0
		.amdhsa_system_vgpr_workitem_id 0
		.amdhsa_next_free_vgpr 30
		.amdhsa_next_free_sgpr 68
		.amdhsa_reserve_vcc 1
		.amdhsa_reserve_flat_scratch 0
		.amdhsa_float_round_mode_32 0
		.amdhsa_float_round_mode_16_64 0
		.amdhsa_float_denorm_mode_32 3
		.amdhsa_float_denorm_mode_16_64 3
		.amdhsa_dx10_clamp 1
		.amdhsa_ieee_mode 1
		.amdhsa_fp16_overflow 0
		.amdhsa_exception_fp_ieee_invalid_op 0
		.amdhsa_exception_fp_denorm_src 0
		.amdhsa_exception_fp_ieee_div_zero 0
		.amdhsa_exception_fp_ieee_overflow 0
		.amdhsa_exception_fp_ieee_underflow 0
		.amdhsa_exception_fp_ieee_inexact 0
		.amdhsa_exception_int_div_zero 0
	.end_amdhsa_kernel
	.section	.text._ZN2at6native16triu_tril_kernelIdiLb0ELi2ELb1EEEvNS_4cuda6detail10TensorInfoIT_T0_EENS4_IKS5_S6_EEllS6_,"axG",@progbits,_ZN2at6native16triu_tril_kernelIdiLb0ELi2ELb1EEEvNS_4cuda6detail10TensorInfoIT_T0_EENS4_IKS5_S6_EEllS6_,comdat
.Lfunc_end20:
	.size	_ZN2at6native16triu_tril_kernelIdiLb0ELi2ELb1EEEvNS_4cuda6detail10TensorInfoIT_T0_EENS4_IKS5_S6_EEllS6_, .Lfunc_end20-_ZN2at6native16triu_tril_kernelIdiLb0ELi2ELb1EEEvNS_4cuda6detail10TensorInfoIT_T0_EENS4_IKS5_S6_EEllS6_
                                        ; -- End function
	.set _ZN2at6native16triu_tril_kernelIdiLb0ELi2ELb1EEEvNS_4cuda6detail10TensorInfoIT_T0_EENS4_IKS5_S6_EEllS6_.num_vgpr, 30
	.set _ZN2at6native16triu_tril_kernelIdiLb0ELi2ELb1EEEvNS_4cuda6detail10TensorInfoIT_T0_EENS4_IKS5_S6_EEllS6_.num_agpr, 0
	.set _ZN2at6native16triu_tril_kernelIdiLb0ELi2ELb1EEEvNS_4cuda6detail10TensorInfoIT_T0_EENS4_IKS5_S6_EEllS6_.numbered_sgpr, 68
	.set _ZN2at6native16triu_tril_kernelIdiLb0ELi2ELb1EEEvNS_4cuda6detail10TensorInfoIT_T0_EENS4_IKS5_S6_EEllS6_.num_named_barrier, 0
	.set _ZN2at6native16triu_tril_kernelIdiLb0ELi2ELb1EEEvNS_4cuda6detail10TensorInfoIT_T0_EENS4_IKS5_S6_EEllS6_.private_seg_size, 0
	.set _ZN2at6native16triu_tril_kernelIdiLb0ELi2ELb1EEEvNS_4cuda6detail10TensorInfoIT_T0_EENS4_IKS5_S6_EEllS6_.uses_vcc, 1
	.set _ZN2at6native16triu_tril_kernelIdiLb0ELi2ELb1EEEvNS_4cuda6detail10TensorInfoIT_T0_EENS4_IKS5_S6_EEllS6_.uses_flat_scratch, 0
	.set _ZN2at6native16triu_tril_kernelIdiLb0ELi2ELb1EEEvNS_4cuda6detail10TensorInfoIT_T0_EENS4_IKS5_S6_EEllS6_.has_dyn_sized_stack, 0
	.set _ZN2at6native16triu_tril_kernelIdiLb0ELi2ELb1EEEvNS_4cuda6detail10TensorInfoIT_T0_EENS4_IKS5_S6_EEllS6_.has_recursion, 0
	.set _ZN2at6native16triu_tril_kernelIdiLb0ELi2ELb1EEEvNS_4cuda6detail10TensorInfoIT_T0_EENS4_IKS5_S6_EEllS6_.has_indirect_call, 0
	.section	.AMDGPU.csdata,"",@progbits
; Kernel info:
; codeLenInByte = 9348
; TotalNumSgprs: 72
; NumVgprs: 30
; ScratchSize: 0
; MemoryBound: 0
; FloatMode: 240
; IeeeMode: 1
; LDSByteSize: 0 bytes/workgroup (compile time only)
; SGPRBlocks: 8
; VGPRBlocks: 7
; NumSGPRsForWavesPerEU: 72
; NumVGPRsForWavesPerEU: 30
; Occupancy: 8
; WaveLimiterHint : 0
; COMPUTE_PGM_RSRC2:SCRATCH_EN: 0
; COMPUTE_PGM_RSRC2:USER_SGPR: 6
; COMPUTE_PGM_RSRC2:TRAP_HANDLER: 0
; COMPUTE_PGM_RSRC2:TGID_X_EN: 1
; COMPUTE_PGM_RSRC2:TGID_Y_EN: 0
; COMPUTE_PGM_RSRC2:TGID_Z_EN: 0
; COMPUTE_PGM_RSRC2:TIDIG_COMP_CNT: 0
	.section	.text._ZN2at6native16triu_tril_kernelIdiLb0ELi2ELb0EEEvNS_4cuda6detail10TensorInfoIT_T0_EENS4_IKS5_S6_EEllS6_,"axG",@progbits,_ZN2at6native16triu_tril_kernelIdiLb0ELi2ELb0EEEvNS_4cuda6detail10TensorInfoIT_T0_EENS4_IKS5_S6_EEllS6_,comdat
	.protected	_ZN2at6native16triu_tril_kernelIdiLb0ELi2ELb0EEEvNS_4cuda6detail10TensorInfoIT_T0_EENS4_IKS5_S6_EEllS6_ ; -- Begin function _ZN2at6native16triu_tril_kernelIdiLb0ELi2ELb0EEEvNS_4cuda6detail10TensorInfoIT_T0_EENS4_IKS5_S6_EEllS6_
	.globl	_ZN2at6native16triu_tril_kernelIdiLb0ELi2ELb0EEEvNS_4cuda6detail10TensorInfoIT_T0_EENS4_IKS5_S6_EEllS6_
	.p2align	8
	.type	_ZN2at6native16triu_tril_kernelIdiLb0ELi2ELb0EEEvNS_4cuda6detail10TensorInfoIT_T0_EENS4_IKS5_S6_EEllS6_,@function
_ZN2at6native16triu_tril_kernelIdiLb0ELi2ELb0EEEvNS_4cuda6detail10TensorInfoIT_T0_EENS4_IKS5_S6_EEllS6_: ; @_ZN2at6native16triu_tril_kernelIdiLb0ELi2ELb0EEEvNS_4cuda6detail10TensorInfoIT_T0_EENS4_IKS5_S6_EEllS6_
; %bb.0:
	s_load_dword s2, s[4:5], 0x1d4
	s_load_dwordx4 s[8:11], s[4:5], 0x1b0
	s_add_u32 s0, s4, 0x1c8
	v_mov_b32_e32 v2, 0
	s_addc_u32 s1, s5, 0
	s_waitcnt lgkmcnt(0)
	s_and_b32 s12, s2, 0xffff
	v_mov_b32_e32 v1, v2
	v_mov_b32_e32 v3, s6
	v_mad_u64_u32 v[0:1], s[2:3], s12, v3, v[0:1]
	v_lshlrev_b64 v[0:1], 1, v[0:1]
	v_cmp_gt_i64_e32 vcc, s[10:11], v[0:1]
	s_and_saveexec_b64 s[2:3], vcc
	s_cbranch_execz .LBB21_48
; %bb.1:
	s_load_dword s33, s[4:5], 0x1c0
	s_load_dwordx2 s[2:3], s[4:5], 0xd8
	s_load_dwordx2 s[18:19], s[4:5], 0x0
	s_load_dword s20, s[4:5], 0x1a8
	s_load_dword s13, s[0:1], 0x0
	s_add_u32 s46, s4, 0xd8
	s_addc_u32 s47, s5, 0
	s_waitcnt lgkmcnt(0)
	s_ashr_i32 s48, s33, 31
	s_ashr_i32 s21, s20, 31
	s_lshl_b64 s[0:1], s[20:21], 2
	s_add_u32 s16, s46, s0
	s_addc_u32 s17, s47, s1
	s_load_dwordx2 s[6:7], s[16:17], 0x0
	s_load_dwordx2 s[14:15], s[16:17], 0x64
	s_mul_i32 s22, s13, s12
	v_cmp_gt_i64_e64 s[12:13], s[20:21], 2
	s_mov_b32 s21, 0
	s_waitcnt lgkmcnt(0)
	s_ashr_i32 s49, s6, 31
	s_add_u32 s0, s4, s0
	s_addc_u32 s1, s5, s1
	s_load_dwordx2 s[16:17], s[0:1], 0x64
	s_add_i32 s50, s20, -3
	s_lshl_b32 s51, s22, 1
	s_and_b32 s52, s20, 3
	s_cmp_lg_u32 s52, 2
	s_cselect_b64 s[22:23], -1, 0
	s_cmp_gt_u32 s50, 2
	s_cselect_b64 s[24:25], -1, 0
	s_ashr_i32 s27, s15, 31
	s_mov_b32 s26, s15
	s_waitcnt lgkmcnt(0)
	s_ashr_i32 s29, s17, 31
	s_mov_b32 s28, s17
	s_mov_b64 s[30:31], 0
	s_ashr_i32 s34, s48, 31
	s_branch .LBB21_3
.LBB21_2:                               ;   in Loop: Header=BB21_3 Depth=1
	s_or_b64 exec, exec, s[0:1]
	v_add_co_u32_e32 v0, vcc, s51, v0
	v_addc_co_u32_e32 v1, vcc, 0, v1, vcc
	v_cmp_le_i64_e32 vcc, s[10:11], v[0:1]
	s_or_b64 s[30:31], vcc, s[30:31]
	s_andn2_b64 exec, exec, s[30:31]
	s_cbranch_execz .LBB21_48
.LBB21_3:                               ; =>This Loop Header: Depth=1
                                        ;     Child Loop BB21_13 Depth 2
                                        ;     Child Loop BB21_21 Depth 2
	v_or_b32_e32 v3, s48, v1
	v_cmp_ne_u64_e32 vcc, 0, v[2:3]
                                        ; implicit-def: $vgpr4_vgpr5
	s_and_saveexec_b64 s[0:1], vcc
	s_xor_b64 s[36:37], exec, s[0:1]
	s_cbranch_execz .LBB21_5
; %bb.4:                                ;   in Loop: Header=BB21_3 Depth=1
	s_add_u32 s0, s33, s34
	s_mov_b32 s35, s34
	s_addc_u32 s1, s48, s34
	s_xor_b64 s[38:39], s[0:1], s[34:35]
	v_cvt_f32_u32_e32 v3, s38
	v_cvt_f32_u32_e32 v4, s39
	s_sub_u32 s15, 0, s38
	s_subb_u32 s17, 0, s39
	v_ashrrev_i32_e32 v7, 31, v1
	v_mac_f32_e32 v3, 0x4f800000, v4
	v_rcp_f32_e32 v3, v3
	v_mul_f32_e32 v3, 0x5f7ffffc, v3
	v_mul_f32_e32 v4, 0x2f800000, v3
	v_trunc_f32_e32 v4, v4
	v_mac_f32_e32 v3, 0xcf800000, v4
	v_cvt_u32_f32_e32 v4, v4
	v_cvt_u32_f32_e32 v3, v3
	v_readfirstlane_b32 s20, v4
	v_readfirstlane_b32 s0, v3
	s_mul_i32 s1, s15, s20
	s_mul_hi_u32 s40, s15, s0
	s_mul_i32 s35, s17, s0
	s_add_i32 s1, s40, s1
	s_add_i32 s1, s1, s35
	s_mul_i32 s41, s15, s0
	s_mul_i32 s40, s0, s1
	s_mul_hi_u32 s42, s0, s41
	s_mul_hi_u32 s35, s0, s1
	s_add_u32 s40, s42, s40
	s_addc_u32 s35, 0, s35
	s_mul_hi_u32 s43, s20, s41
	s_mul_i32 s41, s20, s41
	s_add_u32 s40, s40, s41
	s_mul_hi_u32 s42, s20, s1
	s_addc_u32 s35, s35, s43
	s_addc_u32 s40, s42, 0
	s_mul_i32 s1, s20, s1
	s_add_u32 s1, s35, s1
	s_addc_u32 s35, 0, s40
	s_add_u32 s40, s0, s1
	s_cselect_b64 s[0:1], -1, 0
	s_cmp_lg_u64 s[0:1], 0
	s_addc_u32 s20, s20, s35
	s_mul_i32 s0, s15, s20
	s_mul_hi_u32 s1, s15, s40
	s_add_i32 s0, s1, s0
	s_mul_i32 s17, s17, s40
	s_add_i32 s0, s0, s17
	s_mul_i32 s15, s15, s40
	s_mul_hi_u32 s17, s20, s15
	s_mul_i32 s35, s20, s15
	s_mul_i32 s42, s40, s0
	s_mul_hi_u32 s15, s40, s15
	s_mul_hi_u32 s41, s40, s0
	s_add_u32 s15, s15, s42
	s_addc_u32 s41, 0, s41
	s_add_u32 s15, s15, s35
	s_mul_hi_u32 s1, s20, s0
	s_addc_u32 s15, s41, s17
	s_addc_u32 s1, s1, 0
	s_mul_i32 s0, s20, s0
	s_add_u32 s0, s15, s0
	s_addc_u32 s15, 0, s1
	s_add_u32 s17, s40, s0
	s_cselect_b64 s[0:1], -1, 0
	s_cmp_lg_u64 s[0:1], 0
	v_add_co_u32_e32 v3, vcc, v0, v7
	s_addc_u32 s15, s20, s15
	v_xor_b32_e32 v8, v3, v7
	v_mad_u64_u32 v[3:4], s[0:1], v8, s15, 0
	v_mul_hi_u32 v6, v8, s17
	v_addc_co_u32_e32 v5, vcc, v1, v7, vcc
	v_xor_b32_e32 v9, v5, v7
	v_add_co_u32_e32 v10, vcc, v6, v3
	v_addc_co_u32_e32 v11, vcc, 0, v4, vcc
	v_mad_u64_u32 v[3:4], s[0:1], v9, s17, 0
	v_mad_u64_u32 v[5:6], s[0:1], v9, s15, 0
	v_add_co_u32_e32 v3, vcc, v10, v3
	v_addc_co_u32_e32 v3, vcc, v11, v4, vcc
	v_addc_co_u32_e32 v4, vcc, 0, v6, vcc
	v_add_co_u32_e32 v5, vcc, v3, v5
	v_addc_co_u32_e32 v6, vcc, 0, v4, vcc
	v_mul_lo_u32 v10, s39, v5
	v_mul_lo_u32 v11, s38, v6
	v_mad_u64_u32 v[3:4], s[0:1], s38, v5, 0
	v_add3_u32 v4, v4, v11, v10
	v_sub_u32_e32 v10, v9, v4
	v_mov_b32_e32 v11, s39
	v_sub_co_u32_e32 v3, vcc, v8, v3
	v_subb_co_u32_e64 v8, s[0:1], v10, v11, vcc
	v_subrev_co_u32_e64 v10, s[0:1], s38, v3
	v_subbrev_co_u32_e64 v8, s[0:1], 0, v8, s[0:1]
	v_cmp_le_u32_e64 s[0:1], s39, v8
	v_cndmask_b32_e64 v11, 0, -1, s[0:1]
	v_cmp_le_u32_e64 s[0:1], s38, v10
	v_cndmask_b32_e64 v10, 0, -1, s[0:1]
	v_cmp_eq_u32_e64 s[0:1], s39, v8
	v_cndmask_b32_e64 v8, v11, v10, s[0:1]
	v_add_co_u32_e64 v10, s[0:1], 2, v5
	v_subb_co_u32_e32 v4, vcc, v9, v4, vcc
	v_addc_co_u32_e64 v11, s[0:1], 0, v6, s[0:1]
	v_cmp_le_u32_e32 vcc, s39, v4
	v_add_co_u32_e64 v12, s[0:1], 1, v5
	v_cndmask_b32_e64 v9, 0, -1, vcc
	v_cmp_le_u32_e32 vcc, s38, v3
	v_addc_co_u32_e64 v13, s[0:1], 0, v6, s[0:1]
	v_cndmask_b32_e64 v3, 0, -1, vcc
	v_cmp_eq_u32_e32 vcc, s39, v4
	v_cmp_ne_u32_e64 s[0:1], 0, v8
	v_cndmask_b32_e32 v3, v9, v3, vcc
	v_cmp_ne_u32_e32 vcc, 0, v3
	v_cndmask_b32_e64 v4, v12, v10, s[0:1]
	v_cndmask_b32_e64 v8, v13, v11, s[0:1]
	v_cndmask_b32_e32 v4, v5, v4, vcc
	v_xor_b32_e32 v5, s34, v7
	v_cndmask_b32_e32 v3, v6, v8, vcc
	v_xor_b32_e32 v4, v4, v5
	v_xor_b32_e32 v3, v3, v5
	v_sub_co_u32_e32 v4, vcc, v4, v5
	v_subb_co_u32_e32 v5, vcc, v3, v5, vcc
.LBB21_5:                               ;   in Loop: Header=BB21_3 Depth=1
	s_andn2_saveexec_b64 s[0:1], s[36:37]
	s_cbranch_execz .LBB21_7
; %bb.6:                                ;   in Loop: Header=BB21_3 Depth=1
	v_cvt_f32_u32_e32 v3, s33
	s_sub_i32 s15, 0, s33
	v_rcp_iflag_f32_e32 v3, v3
	v_mul_f32_e32 v3, 0x4f7ffffe, v3
	v_cvt_u32_f32_e32 v3, v3
	v_mul_lo_u32 v4, s15, v3
	v_mul_hi_u32 v4, v3, v4
	v_add_u32_e32 v3, v3, v4
	v_mul_hi_u32 v3, v0, v3
	v_mul_lo_u32 v4, v3, s33
	v_add_u32_e32 v5, 1, v3
	v_sub_u32_e32 v4, v0, v4
	v_subrev_u32_e32 v6, s33, v4
	v_cmp_le_u32_e32 vcc, s33, v4
	v_cndmask_b32_e32 v4, v4, v6, vcc
	v_cndmask_b32_e32 v3, v3, v5, vcc
	v_add_u32_e32 v5, 1, v3
	v_cmp_le_u32_e32 vcc, s33, v4
	v_cndmask_b32_e32 v4, v3, v5, vcc
	v_mov_b32_e32 v5, v2
.LBB21_7:                               ;   in Loop: Header=BB21_3 Depth=1
	s_or_b64 exec, exec, s[0:1]
	v_or_b32_e32 v3, s49, v5
	v_cmp_ne_u64_e32 vcc, 0, v[2:3]
                                        ; implicit-def: $vgpr8_vgpr9
	s_and_saveexec_b64 s[0:1], vcc
	s_xor_b64 s[36:37], exec, s[0:1]
	s_cbranch_execz .LBB21_9
; %bb.8:                                ;   in Loop: Header=BB21_3 Depth=1
	s_ashr_i32 s38, s49, 31
	s_add_u32 s0, s6, s38
	s_mov_b32 s39, s38
	s_addc_u32 s1, s49, s38
	s_xor_b64 s[40:41], s[0:1], s[38:39]
	v_cvt_f32_u32_e32 v3, s40
	v_cvt_f32_u32_e32 v6, s41
	s_sub_u32 s15, 0, s40
	s_subb_u32 s17, 0, s41
	v_mac_f32_e32 v3, 0x4f800000, v6
	v_rcp_f32_e32 v3, v3
	v_mul_f32_e32 v3, 0x5f7ffffc, v3
	v_mul_f32_e32 v6, 0x2f800000, v3
	v_trunc_f32_e32 v6, v6
	v_mac_f32_e32 v3, 0xcf800000, v6
	v_cvt_u32_f32_e32 v6, v6
	v_cvt_u32_f32_e32 v3, v3
	v_readfirstlane_b32 s20, v6
	v_readfirstlane_b32 s0, v3
	s_mul_i32 s1, s15, s20
	s_mul_hi_u32 s39, s15, s0
	s_mul_i32 s35, s17, s0
	s_add_i32 s1, s39, s1
	s_add_i32 s1, s1, s35
	s_mul_i32 s42, s15, s0
	s_mul_i32 s39, s0, s1
	s_mul_hi_u32 s43, s0, s42
	s_mul_hi_u32 s35, s0, s1
	s_add_u32 s39, s43, s39
	s_addc_u32 s35, 0, s35
	s_mul_hi_u32 s44, s20, s42
	s_mul_i32 s42, s20, s42
	s_add_u32 s39, s39, s42
	s_mul_hi_u32 s43, s20, s1
	s_addc_u32 s35, s35, s44
	s_addc_u32 s39, s43, 0
	s_mul_i32 s1, s20, s1
	s_add_u32 s1, s35, s1
	s_addc_u32 s35, 0, s39
	s_add_u32 s39, s0, s1
	s_cselect_b64 s[0:1], -1, 0
	s_cmp_lg_u64 s[0:1], 0
	s_addc_u32 s20, s20, s35
	s_mul_i32 s0, s15, s20
	s_mul_hi_u32 s1, s15, s39
	s_add_i32 s0, s1, s0
	s_mul_i32 s17, s17, s39
	s_add_i32 s0, s0, s17
	s_mul_i32 s15, s15, s39
	s_mul_hi_u32 s17, s20, s15
	s_mul_i32 s35, s20, s15
	s_mul_i32 s43, s39, s0
	s_mul_hi_u32 s15, s39, s15
	s_mul_hi_u32 s42, s39, s0
	s_add_u32 s15, s15, s43
	s_addc_u32 s42, 0, s42
	s_add_u32 s15, s15, s35
	s_mul_hi_u32 s1, s20, s0
	s_addc_u32 s15, s42, s17
	s_addc_u32 s1, s1, 0
	s_mul_i32 s0, s20, s0
	s_add_u32 s0, s15, s0
	s_addc_u32 s15, 0, s1
	s_add_u32 s17, s39, s0
	s_cselect_b64 s[0:1], -1, 0
	v_ashrrev_i32_e32 v3, 31, v5
	s_cmp_lg_u64 s[0:1], 0
	v_add_co_u32_e32 v6, vcc, v4, v3
	s_addc_u32 s15, s20, s15
	v_xor_b32_e32 v9, v6, v3
	v_addc_co_u32_e32 v7, vcc, v5, v3, vcc
	v_mad_u64_u32 v[5:6], s[0:1], v9, s15, 0
	v_mul_hi_u32 v8, v9, s17
	v_xor_b32_e32 v10, v7, v3
	v_xor_b32_e32 v3, s38, v3
	v_add_co_u32_e32 v11, vcc, v8, v5
	v_addc_co_u32_e32 v12, vcc, 0, v6, vcc
	v_mad_u64_u32 v[5:6], s[0:1], v10, s17, 0
	v_mad_u64_u32 v[7:8], s[0:1], v10, s15, 0
	v_add_co_u32_e32 v5, vcc, v11, v5
	v_addc_co_u32_e32 v5, vcc, v12, v6, vcc
	v_addc_co_u32_e32 v6, vcc, 0, v8, vcc
	v_add_co_u32_e32 v7, vcc, v5, v7
	v_addc_co_u32_e32 v8, vcc, 0, v6, vcc
	v_mul_lo_u32 v11, s41, v7
	v_mul_lo_u32 v12, s40, v8
	v_mad_u64_u32 v[5:6], s[0:1], s40, v7, 0
	v_add3_u32 v6, v6, v12, v11
	v_sub_u32_e32 v11, v10, v6
	v_mov_b32_e32 v12, s41
	v_sub_co_u32_e32 v5, vcc, v9, v5
	v_subb_co_u32_e64 v9, s[0:1], v11, v12, vcc
	v_subrev_co_u32_e64 v11, s[0:1], s40, v5
	v_subbrev_co_u32_e64 v9, s[0:1], 0, v9, s[0:1]
	v_cmp_le_u32_e64 s[0:1], s41, v9
	v_cndmask_b32_e64 v12, 0, -1, s[0:1]
	v_cmp_le_u32_e64 s[0:1], s40, v11
	v_cndmask_b32_e64 v11, 0, -1, s[0:1]
	v_cmp_eq_u32_e64 s[0:1], s41, v9
	v_cndmask_b32_e64 v9, v12, v11, s[0:1]
	v_add_co_u32_e64 v11, s[0:1], 2, v7
	v_subb_co_u32_e32 v6, vcc, v10, v6, vcc
	v_addc_co_u32_e64 v12, s[0:1], 0, v8, s[0:1]
	v_cmp_le_u32_e32 vcc, s41, v6
	v_add_co_u32_e64 v13, s[0:1], 1, v7
	v_cndmask_b32_e64 v10, 0, -1, vcc
	v_cmp_le_u32_e32 vcc, s40, v5
	v_addc_co_u32_e64 v14, s[0:1], 0, v8, s[0:1]
	v_cndmask_b32_e64 v5, 0, -1, vcc
	v_cmp_eq_u32_e32 vcc, s41, v6
	v_cmp_ne_u32_e64 s[0:1], 0, v9
	v_cndmask_b32_e32 v5, v10, v5, vcc
	v_cmp_ne_u32_e32 vcc, 0, v5
	v_cndmask_b32_e64 v6, v13, v11, s[0:1]
	v_cndmask_b32_e64 v9, v14, v12, s[0:1]
	v_cndmask_b32_e32 v6, v7, v6, vcc
	v_cndmask_b32_e32 v5, v8, v9, vcc
	v_xor_b32_e32 v6, v6, v3
	v_xor_b32_e32 v5, v5, v3
	v_sub_co_u32_e32 v8, vcc, v6, v3
	v_subb_co_u32_e32 v9, vcc, v5, v3, vcc
.LBB21_9:                               ;   in Loop: Header=BB21_3 Depth=1
	s_andn2_saveexec_b64 s[0:1], s[36:37]
	s_cbranch_execz .LBB21_11
; %bb.10:                               ;   in Loop: Header=BB21_3 Depth=1
	v_cvt_f32_u32_e32 v3, s6
	s_sub_i32 s15, 0, s6
	v_mov_b32_e32 v9, v2
	v_rcp_iflag_f32_e32 v3, v3
	v_mul_f32_e32 v3, 0x4f7ffffe, v3
	v_cvt_u32_f32_e32 v3, v3
	v_mul_lo_u32 v5, s15, v3
	v_mul_hi_u32 v5, v3, v5
	v_add_u32_e32 v3, v3, v5
	v_mul_hi_u32 v3, v4, v3
	v_mul_lo_u32 v5, v3, s6
	v_add_u32_e32 v6, 1, v3
	v_sub_u32_e32 v5, v4, v5
	v_subrev_u32_e32 v7, s6, v5
	v_cmp_le_u32_e32 vcc, s6, v5
	v_cndmask_b32_e32 v5, v5, v7, vcc
	v_cndmask_b32_e32 v3, v3, v6, vcc
	v_add_u32_e32 v6, 1, v3
	v_cmp_le_u32_e32 vcc, s6, v5
	v_cndmask_b32_e32 v8, v3, v6, vcc
.LBB21_11:                              ;   in Loop: Header=BB21_3 Depth=1
	s_or_b64 exec, exec, s[0:1]
	v_mad_u64_u32 v[5:6], s[0:1], v4, s33, 0
	v_mad_u64_u32 v[6:7], s[0:1], v8, s6, 0
	v_sub_co_u32_e32 v18, vcc, v0, v5
	v_mul_lo_u32 v3, s26, v18
	v_sub_co_u32_e32 v19, vcc, v4, v6
	v_mul_lo_u32 v4, s28, v18
	s_andn2_b64 vcc, exec, s[12:13]
	v_mad_u64_u32 v[6:7], s[0:1], s14, v19, v[3:4]
	v_mad_u64_u32 v[4:5], s[0:1], s16, v19, v[4:5]
	s_cbranch_vccnz .LBB21_39
; %bb.12:                               ;   in Loop: Header=BB21_3 Depth=1
	s_mov_b32 s15, 1
	s_andn2_b64 vcc, exec, s[22:23]
	s_mov_b32 s20, s50
	s_mov_b32 s0, s50
	s_cbranch_vccnz .LBB21_20
.LBB21_13:                              ;   Parent Loop BB21_3 Depth=1
                                        ; =>  This Inner Loop Header: Depth=2
	s_lshl_b64 s[36:37], s[20:21], 2
	s_add_u32 s38, s46, s36
	s_addc_u32 s39, s47, s37
	s_load_dword s17, s[38:39], 0x8
                                        ; implicit-def: $vgpr10_vgpr11
	s_waitcnt lgkmcnt(0)
	s_ashr_i32 s0, s17, 31
	v_or_b32_e32 v3, s0, v9
	v_cmp_ne_u64_e32 vcc, 0, v[2:3]
	s_and_saveexec_b64 s[40:41], vcc
	s_xor_b64 s[40:41], exec, s[40:41]
	s_cbranch_execz .LBB21_15
; %bb.14:                               ;   in Loop: Header=BB21_13 Depth=2
	s_ashr_i32 s42, s0, 31
	s_add_u32 s44, s17, s42
	s_mov_b32 s43, s42
	s_addc_u32 s45, s0, s42
	s_xor_b64 s[44:45], s[44:45], s[42:43]
	v_cvt_f32_u32_e32 v3, s44
	v_cvt_f32_u32_e32 v5, s45
	s_sub_u32 s35, 0, s44
	s_subb_u32 s43, 0, s45
	v_mac_f32_e32 v3, 0x4f800000, v5
	v_rcp_f32_e32 v3, v3
	v_mul_f32_e32 v3, 0x5f7ffffc, v3
	v_mul_f32_e32 v5, 0x2f800000, v3
	v_trunc_f32_e32 v5, v5
	v_mac_f32_e32 v3, 0xcf800000, v5
	v_cvt_u32_f32_e32 v5, v5
	v_cvt_u32_f32_e32 v3, v3
	v_readfirstlane_b32 s53, v5
	v_readfirstlane_b32 s0, v3
	s_mul_i32 s1, s35, s53
	s_mul_hi_u32 s55, s35, s0
	s_mul_i32 s54, s43, s0
	s_add_i32 s1, s55, s1
	s_add_i32 s1, s1, s54
	s_mul_i32 s56, s35, s0
	s_mul_i32 s55, s0, s1
	s_mul_hi_u32 s57, s0, s56
	s_mul_hi_u32 s54, s0, s1
	s_add_u32 s55, s57, s55
	s_addc_u32 s54, 0, s54
	s_mul_hi_u32 s58, s53, s56
	s_mul_i32 s56, s53, s56
	s_add_u32 s55, s55, s56
	s_mul_hi_u32 s57, s53, s1
	s_addc_u32 s54, s54, s58
	s_addc_u32 s55, s57, 0
	s_mul_i32 s1, s53, s1
	s_add_u32 s1, s54, s1
	s_addc_u32 s54, 0, s55
	s_add_u32 s55, s0, s1
	s_cselect_b64 s[0:1], -1, 0
	s_cmp_lg_u64 s[0:1], 0
	s_addc_u32 s53, s53, s54
	s_mul_i32 s0, s35, s53
	s_mul_hi_u32 s1, s35, s55
	s_add_i32 s0, s1, s0
	s_mul_i32 s43, s43, s55
	s_add_i32 s0, s0, s43
	s_mul_i32 s35, s35, s55
	s_mul_hi_u32 s43, s53, s35
	s_mul_i32 s54, s53, s35
	s_mul_i32 s57, s55, s0
	s_mul_hi_u32 s35, s55, s35
	s_mul_hi_u32 s56, s55, s0
	s_add_u32 s35, s35, s57
	s_addc_u32 s56, 0, s56
	s_add_u32 s35, s35, s54
	s_mul_hi_u32 s1, s53, s0
	s_addc_u32 s35, s56, s43
	s_addc_u32 s1, s1, 0
	s_mul_i32 s0, s53, s0
	s_add_u32 s0, s35, s0
	s_addc_u32 s35, 0, s1
	s_add_u32 s43, s55, s0
	s_cselect_b64 s[0:1], -1, 0
	v_ashrrev_i32_e32 v3, 31, v9
	s_cmp_lg_u64 s[0:1], 0
	v_add_co_u32_e32 v5, vcc, v8, v3
	s_addc_u32 s35, s53, s35
	v_xor_b32_e32 v5, v5, v3
	v_addc_co_u32_e32 v7, vcc, v9, v3, vcc
	v_mad_u64_u32 v[9:10], s[0:1], v5, s35, 0
	v_mul_hi_u32 v11, v5, s43
	v_xor_b32_e32 v7, v7, v3
	v_xor_b32_e32 v3, s42, v3
	v_add_co_u32_e32 v13, vcc, v11, v9
	v_addc_co_u32_e32 v14, vcc, 0, v10, vcc
	v_mad_u64_u32 v[9:10], s[0:1], v7, s43, 0
	v_mad_u64_u32 v[11:12], s[0:1], v7, s35, 0
	v_add_co_u32_e32 v9, vcc, v13, v9
	v_addc_co_u32_e32 v9, vcc, v14, v10, vcc
	v_addc_co_u32_e32 v10, vcc, 0, v12, vcc
	v_add_co_u32_e32 v11, vcc, v9, v11
	v_addc_co_u32_e32 v12, vcc, 0, v10, vcc
	v_mul_lo_u32 v13, s45, v11
	v_mul_lo_u32 v14, s44, v12
	v_mad_u64_u32 v[9:10], s[0:1], s44, v11, 0
	v_add3_u32 v10, v10, v14, v13
	v_sub_u32_e32 v13, v7, v10
	v_mov_b32_e32 v14, s45
	v_sub_co_u32_e32 v5, vcc, v5, v9
	v_subb_co_u32_e64 v9, s[0:1], v13, v14, vcc
	v_subrev_co_u32_e64 v13, s[0:1], s44, v5
	v_subbrev_co_u32_e64 v9, s[0:1], 0, v9, s[0:1]
	v_cmp_le_u32_e64 s[0:1], s45, v9
	v_cndmask_b32_e64 v14, 0, -1, s[0:1]
	v_cmp_le_u32_e64 s[0:1], s44, v13
	v_cndmask_b32_e64 v13, 0, -1, s[0:1]
	v_cmp_eq_u32_e64 s[0:1], s45, v9
	v_cndmask_b32_e64 v9, v14, v13, s[0:1]
	v_add_co_u32_e64 v13, s[0:1], 2, v11
	v_subb_co_u32_e32 v7, vcc, v7, v10, vcc
	v_addc_co_u32_e64 v14, s[0:1], 0, v12, s[0:1]
	v_cmp_le_u32_e32 vcc, s45, v7
	v_add_co_u32_e64 v15, s[0:1], 1, v11
	v_cndmask_b32_e64 v10, 0, -1, vcc
	v_cmp_le_u32_e32 vcc, s44, v5
	v_addc_co_u32_e64 v16, s[0:1], 0, v12, s[0:1]
	v_cndmask_b32_e64 v5, 0, -1, vcc
	v_cmp_eq_u32_e32 vcc, s45, v7
	v_cmp_ne_u32_e64 s[0:1], 0, v9
	v_cndmask_b32_e32 v5, v10, v5, vcc
	v_cmp_ne_u32_e32 vcc, 0, v5
	v_cndmask_b32_e64 v7, v15, v13, s[0:1]
	v_cndmask_b32_e64 v9, v16, v14, s[0:1]
	v_cndmask_b32_e32 v7, v11, v7, vcc
	v_cndmask_b32_e32 v5, v12, v9, vcc
	v_xor_b32_e32 v7, v7, v3
	v_xor_b32_e32 v5, v5, v3
	v_sub_co_u32_e32 v10, vcc, v7, v3
	v_subb_co_u32_e32 v11, vcc, v5, v3, vcc
.LBB21_15:                              ;   in Loop: Header=BB21_13 Depth=2
	s_andn2_saveexec_b64 s[0:1], s[40:41]
	s_cbranch_execz .LBB21_17
; %bb.16:                               ;   in Loop: Header=BB21_13 Depth=2
	v_cvt_f32_u32_e32 v3, s17
	s_sub_i32 s35, 0, s17
	v_mov_b32_e32 v11, v2
	v_rcp_iflag_f32_e32 v3, v3
	v_mul_f32_e32 v3, 0x4f7ffffe, v3
	v_cvt_u32_f32_e32 v3, v3
	v_mul_lo_u32 v5, s35, v3
	v_mul_hi_u32 v5, v3, v5
	v_add_u32_e32 v3, v3, v5
	v_mul_hi_u32 v3, v8, v3
	v_mul_lo_u32 v5, v3, s17
	v_add_u32_e32 v7, 1, v3
	v_sub_u32_e32 v5, v8, v5
	v_subrev_u32_e32 v9, s17, v5
	v_cmp_le_u32_e32 vcc, s17, v5
	v_cndmask_b32_e32 v5, v5, v9, vcc
	v_cndmask_b32_e32 v3, v3, v7, vcc
	v_add_u32_e32 v7, 1, v3
	v_cmp_le_u32_e32 vcc, s17, v5
	v_cndmask_b32_e32 v10, v3, v7, vcc
.LBB21_17:                              ;   in Loop: Header=BB21_13 Depth=2
	s_or_b64 exec, exec, s[0:1]
	s_add_u32 s0, s4, s36
	s_addc_u32 s1, s5, s37
	v_mul_lo_u32 v3, v10, s17
	s_load_dword s17, s[38:39], 0x6c
	s_load_dword s35, s[0:1], 0x6c
	s_add_i32 s20, s20, -1
	v_sub_u32_e32 v3, v8, v3
	s_waitcnt lgkmcnt(0)
	v_mad_u64_u32 v[6:7], s[0:1], s17, v3, v[6:7]
	v_mad_u64_u32 v[4:5], s[0:1], s35, v3, v[4:5]
	s_xor_b32 s0, s52, s15
	s_add_i32 s15, s15, 1
	s_cmp_lg_u32 s0, 2
	s_cbranch_scc0 .LBB21_19
; %bb.18:                               ;   in Loop: Header=BB21_13 Depth=2
	v_mov_b32_e32 v8, v10
	v_mov_b32_e32 v9, v11
	s_branch .LBB21_13
.LBB21_19:                              ;   in Loop: Header=BB21_3 Depth=1
	v_mov_b32_e32 v8, v10
	s_mov_b32 s0, s20
	v_mov_b32_e32 v9, v11
.LBB21_20:                              ;   in Loop: Header=BB21_3 Depth=1
	s_and_b64 vcc, exec, s[24:25]
	s_mov_b32 s20, s0
	s_cbranch_vccz .LBB21_39
.LBB21_21:                              ;   Parent Loop BB21_3 Depth=1
                                        ; =>  This Inner Loop Header: Depth=2
	s_lshl_b64 s[36:37], s[20:21], 2
	s_add_u32 s38, s46, s36
	s_addc_u32 s39, s47, s37
	s_load_dword s15, s[38:39], 0x8
                                        ; implicit-def: $vgpr10_vgpr11
	s_waitcnt lgkmcnt(0)
	s_ashr_i32 s0, s15, 31
	v_or_b32_e32 v3, s0, v9
	v_cmp_ne_u64_e32 vcc, 0, v[2:3]
	s_and_saveexec_b64 s[40:41], vcc
	s_xor_b64 s[40:41], exec, s[40:41]
	s_cbranch_execz .LBB21_23
; %bb.22:                               ;   in Loop: Header=BB21_21 Depth=2
	s_ashr_i32 s42, s0, 31
	s_add_u32 s44, s15, s42
	s_mov_b32 s43, s42
	s_addc_u32 s45, s0, s42
	s_xor_b64 s[44:45], s[44:45], s[42:43]
	v_cvt_f32_u32_e32 v3, s44
	v_cvt_f32_u32_e32 v5, s45
	s_sub_u32 s17, 0, s44
	s_subb_u32 s35, 0, s45
	v_mac_f32_e32 v3, 0x4f800000, v5
	v_rcp_f32_e32 v3, v3
	v_mul_f32_e32 v3, 0x5f7ffffc, v3
	v_mul_f32_e32 v5, 0x2f800000, v3
	v_trunc_f32_e32 v5, v5
	v_mac_f32_e32 v3, 0xcf800000, v5
	v_cvt_u32_f32_e32 v5, v5
	v_cvt_u32_f32_e32 v3, v3
	v_readfirstlane_b32 s43, v5
	v_readfirstlane_b32 s0, v3
	s_mul_i32 s1, s17, s43
	s_mul_hi_u32 s54, s17, s0
	s_mul_i32 s53, s35, s0
	s_add_i32 s1, s54, s1
	s_add_i32 s1, s1, s53
	s_mul_i32 s55, s17, s0
	s_mul_i32 s54, s0, s1
	s_mul_hi_u32 s56, s0, s55
	s_mul_hi_u32 s53, s0, s1
	s_add_u32 s54, s56, s54
	s_addc_u32 s53, 0, s53
	s_mul_hi_u32 s57, s43, s55
	s_mul_i32 s55, s43, s55
	s_add_u32 s54, s54, s55
	s_mul_hi_u32 s56, s43, s1
	s_addc_u32 s53, s53, s57
	s_addc_u32 s54, s56, 0
	s_mul_i32 s1, s43, s1
	s_add_u32 s1, s53, s1
	s_addc_u32 s53, 0, s54
	s_add_u32 s54, s0, s1
	s_cselect_b64 s[0:1], -1, 0
	s_cmp_lg_u64 s[0:1], 0
	s_addc_u32 s43, s43, s53
	s_mul_i32 s0, s17, s43
	s_mul_hi_u32 s1, s17, s54
	s_add_i32 s0, s1, s0
	s_mul_i32 s35, s35, s54
	s_add_i32 s0, s0, s35
	s_mul_i32 s17, s17, s54
	s_mul_hi_u32 s35, s43, s17
	s_mul_i32 s53, s43, s17
	s_mul_i32 s56, s54, s0
	s_mul_hi_u32 s17, s54, s17
	s_mul_hi_u32 s55, s54, s0
	s_add_u32 s17, s17, s56
	s_addc_u32 s55, 0, s55
	s_add_u32 s17, s17, s53
	s_mul_hi_u32 s1, s43, s0
	s_addc_u32 s17, s55, s35
	s_addc_u32 s1, s1, 0
	s_mul_i32 s0, s43, s0
	s_add_u32 s0, s17, s0
	s_addc_u32 s17, 0, s1
	s_add_u32 s35, s54, s0
	s_cselect_b64 s[0:1], -1, 0
	v_ashrrev_i32_e32 v3, 31, v9
	s_cmp_lg_u64 s[0:1], 0
	v_add_co_u32_e32 v5, vcc, v8, v3
	s_addc_u32 s17, s43, s17
	v_xor_b32_e32 v5, v5, v3
	v_addc_co_u32_e32 v7, vcc, v9, v3, vcc
	v_mad_u64_u32 v[9:10], s[0:1], v5, s17, 0
	v_mul_hi_u32 v11, v5, s35
	v_xor_b32_e32 v7, v7, v3
	v_xor_b32_e32 v3, s42, v3
	v_add_co_u32_e32 v13, vcc, v11, v9
	v_addc_co_u32_e32 v14, vcc, 0, v10, vcc
	v_mad_u64_u32 v[9:10], s[0:1], v7, s35, 0
	v_mad_u64_u32 v[11:12], s[0:1], v7, s17, 0
	v_add_co_u32_e32 v9, vcc, v13, v9
	v_addc_co_u32_e32 v9, vcc, v14, v10, vcc
	v_addc_co_u32_e32 v10, vcc, 0, v12, vcc
	v_add_co_u32_e32 v11, vcc, v9, v11
	v_addc_co_u32_e32 v12, vcc, 0, v10, vcc
	v_mul_lo_u32 v13, s45, v11
	v_mul_lo_u32 v14, s44, v12
	v_mad_u64_u32 v[9:10], s[0:1], s44, v11, 0
	v_add3_u32 v10, v10, v14, v13
	v_sub_u32_e32 v13, v7, v10
	v_mov_b32_e32 v14, s45
	v_sub_co_u32_e32 v5, vcc, v5, v9
	v_subb_co_u32_e64 v9, s[0:1], v13, v14, vcc
	v_subrev_co_u32_e64 v13, s[0:1], s44, v5
	v_subbrev_co_u32_e64 v9, s[0:1], 0, v9, s[0:1]
	v_cmp_le_u32_e64 s[0:1], s45, v9
	v_cndmask_b32_e64 v14, 0, -1, s[0:1]
	v_cmp_le_u32_e64 s[0:1], s44, v13
	v_cndmask_b32_e64 v13, 0, -1, s[0:1]
	v_cmp_eq_u32_e64 s[0:1], s45, v9
	v_cndmask_b32_e64 v9, v14, v13, s[0:1]
	v_add_co_u32_e64 v13, s[0:1], 2, v11
	v_subb_co_u32_e32 v7, vcc, v7, v10, vcc
	v_addc_co_u32_e64 v14, s[0:1], 0, v12, s[0:1]
	v_cmp_le_u32_e32 vcc, s45, v7
	v_add_co_u32_e64 v15, s[0:1], 1, v11
	v_cndmask_b32_e64 v10, 0, -1, vcc
	v_cmp_le_u32_e32 vcc, s44, v5
	v_addc_co_u32_e64 v16, s[0:1], 0, v12, s[0:1]
	v_cndmask_b32_e64 v5, 0, -1, vcc
	v_cmp_eq_u32_e32 vcc, s45, v7
	v_cmp_ne_u32_e64 s[0:1], 0, v9
	v_cndmask_b32_e32 v5, v10, v5, vcc
	v_cmp_ne_u32_e32 vcc, 0, v5
	v_cndmask_b32_e64 v7, v15, v13, s[0:1]
	v_cndmask_b32_e64 v9, v16, v14, s[0:1]
	v_cndmask_b32_e32 v7, v11, v7, vcc
	v_cndmask_b32_e32 v5, v12, v9, vcc
	v_xor_b32_e32 v7, v7, v3
	v_xor_b32_e32 v5, v5, v3
	v_sub_co_u32_e32 v10, vcc, v7, v3
	v_subb_co_u32_e32 v11, vcc, v5, v3, vcc
.LBB21_23:                              ;   in Loop: Header=BB21_21 Depth=2
	s_andn2_saveexec_b64 s[0:1], s[40:41]
	s_cbranch_execz .LBB21_25
; %bb.24:                               ;   in Loop: Header=BB21_21 Depth=2
	v_cvt_f32_u32_e32 v3, s15
	s_sub_i32 s17, 0, s15
	v_mov_b32_e32 v11, v2
	v_rcp_iflag_f32_e32 v3, v3
	v_mul_f32_e32 v3, 0x4f7ffffe, v3
	v_cvt_u32_f32_e32 v3, v3
	v_mul_lo_u32 v5, s17, v3
	v_mul_hi_u32 v5, v3, v5
	v_add_u32_e32 v3, v3, v5
	v_mul_hi_u32 v3, v8, v3
	v_mul_lo_u32 v5, v3, s15
	v_add_u32_e32 v7, 1, v3
	v_sub_u32_e32 v5, v8, v5
	v_subrev_u32_e32 v9, s15, v5
	v_cmp_le_u32_e32 vcc, s15, v5
	v_cndmask_b32_e32 v5, v5, v9, vcc
	v_cndmask_b32_e32 v3, v3, v7, vcc
	v_add_u32_e32 v7, 1, v3
	v_cmp_le_u32_e32 vcc, s15, v5
	v_cndmask_b32_e32 v10, v3, v7, vcc
.LBB21_25:                              ;   in Loop: Header=BB21_21 Depth=2
	s_or_b64 exec, exec, s[0:1]
	s_add_u32 s0, s4, s36
	s_addc_u32 s1, s5, s37
	s_add_i32 s36, s20, -1
	s_mov_b32 s37, s21
	s_lshl_b64 s[40:41], s[36:37], 2
	s_add_u32 s36, s46, s40
	s_addc_u32 s37, s47, s41
	s_load_dword s53, s[36:37], 0x8
	s_load_dword s35, s[38:39], 0x6c
	;; [unrolled: 1-line block ×3, first 2 shown]
                                        ; implicit-def: $vgpr12_vgpr13
	s_waitcnt lgkmcnt(0)
	s_ashr_i32 s0, s53, 31
	v_or_b32_e32 v3, s0, v11
	v_cmp_ne_u64_e32 vcc, 0, v[2:3]
	s_and_saveexec_b64 s[38:39], vcc
	s_xor_b64 s[38:39], exec, s[38:39]
	s_cbranch_execz .LBB21_27
; %bb.26:                               ;   in Loop: Header=BB21_21 Depth=2
	s_ashr_i32 s42, s0, 31
	s_add_u32 s44, s53, s42
	s_mov_b32 s43, s42
	s_addc_u32 s45, s0, s42
	s_xor_b64 s[44:45], s[44:45], s[42:43]
	v_cvt_f32_u32_e32 v3, s44
	v_cvt_f32_u32_e32 v5, s45
	s_sub_u32 s43, 0, s44
	s_subb_u32 s54, 0, s45
	v_mac_f32_e32 v3, 0x4f800000, v5
	v_rcp_f32_e32 v3, v3
	v_mul_f32_e32 v3, 0x5f7ffffc, v3
	v_mul_f32_e32 v5, 0x2f800000, v3
	v_trunc_f32_e32 v5, v5
	v_mac_f32_e32 v3, 0xcf800000, v5
	v_cvt_u32_f32_e32 v5, v5
	v_cvt_u32_f32_e32 v3, v3
	v_readfirstlane_b32 s55, v5
	v_readfirstlane_b32 s0, v3
	s_mul_i32 s1, s43, s55
	s_mul_hi_u32 s57, s43, s0
	s_mul_i32 s56, s54, s0
	s_add_i32 s1, s57, s1
	s_add_i32 s1, s1, s56
	s_mul_i32 s58, s43, s0
	s_mul_i32 s57, s0, s1
	s_mul_hi_u32 s59, s0, s58
	s_mul_hi_u32 s56, s0, s1
	s_add_u32 s57, s59, s57
	s_addc_u32 s56, 0, s56
	s_mul_hi_u32 s60, s55, s58
	s_mul_i32 s58, s55, s58
	s_add_u32 s57, s57, s58
	s_mul_hi_u32 s59, s55, s1
	s_addc_u32 s56, s56, s60
	s_addc_u32 s57, s59, 0
	s_mul_i32 s1, s55, s1
	s_add_u32 s1, s56, s1
	s_addc_u32 s56, 0, s57
	s_add_u32 s57, s0, s1
	s_cselect_b64 s[0:1], -1, 0
	s_cmp_lg_u64 s[0:1], 0
	s_addc_u32 s55, s55, s56
	s_mul_i32 s0, s43, s55
	s_mul_hi_u32 s1, s43, s57
	s_add_i32 s0, s1, s0
	s_mul_i32 s54, s54, s57
	s_add_i32 s0, s0, s54
	s_mul_i32 s43, s43, s57
	s_mul_hi_u32 s54, s55, s43
	s_mul_i32 s56, s55, s43
	s_mul_i32 s59, s57, s0
	s_mul_hi_u32 s43, s57, s43
	s_mul_hi_u32 s58, s57, s0
	s_add_u32 s43, s43, s59
	s_addc_u32 s58, 0, s58
	s_add_u32 s43, s43, s56
	s_mul_hi_u32 s1, s55, s0
	s_addc_u32 s43, s58, s54
	s_addc_u32 s1, s1, 0
	s_mul_i32 s0, s55, s0
	s_add_u32 s0, s43, s0
	s_addc_u32 s43, 0, s1
	s_add_u32 s54, s57, s0
	s_cselect_b64 s[0:1], -1, 0
	v_ashrrev_i32_e32 v3, 31, v11
	s_cmp_lg_u64 s[0:1], 0
	v_add_co_u32_e32 v5, vcc, v10, v3
	s_addc_u32 s43, s55, s43
	v_xor_b32_e32 v5, v5, v3
	v_addc_co_u32_e32 v7, vcc, v11, v3, vcc
	v_mad_u64_u32 v[11:12], s[0:1], v5, s43, 0
	v_mul_hi_u32 v9, v5, s54
	v_xor_b32_e32 v7, v7, v3
	v_mad_u64_u32 v[13:14], s[0:1], v7, s43, 0
	v_add_co_u32_e32 v9, vcc, v9, v11
	v_addc_co_u32_e32 v15, vcc, 0, v12, vcc
	v_mad_u64_u32 v[11:12], s[0:1], v7, s54, 0
	v_xor_b32_e32 v3, s42, v3
	v_add_co_u32_e32 v9, vcc, v9, v11
	v_addc_co_u32_e32 v9, vcc, v15, v12, vcc
	v_addc_co_u32_e32 v11, vcc, 0, v14, vcc
	v_add_co_u32_e32 v9, vcc, v9, v13
	v_addc_co_u32_e32 v13, vcc, 0, v11, vcc
	v_mul_lo_u32 v14, s45, v9
	v_mul_lo_u32 v15, s44, v13
	v_mad_u64_u32 v[11:12], s[0:1], s44, v9, 0
	v_add3_u32 v12, v12, v15, v14
	v_sub_u32_e32 v14, v7, v12
	v_mov_b32_e32 v15, s45
	v_sub_co_u32_e32 v5, vcc, v5, v11
	v_subb_co_u32_e64 v11, s[0:1], v14, v15, vcc
	v_subrev_co_u32_e64 v14, s[0:1], s44, v5
	v_subbrev_co_u32_e64 v11, s[0:1], 0, v11, s[0:1]
	v_cmp_le_u32_e64 s[0:1], s45, v11
	v_cndmask_b32_e64 v15, 0, -1, s[0:1]
	v_cmp_le_u32_e64 s[0:1], s44, v14
	v_cndmask_b32_e64 v14, 0, -1, s[0:1]
	v_cmp_eq_u32_e64 s[0:1], s45, v11
	v_cndmask_b32_e64 v11, v15, v14, s[0:1]
	v_add_co_u32_e64 v14, s[0:1], 2, v9
	v_subb_co_u32_e32 v7, vcc, v7, v12, vcc
	v_addc_co_u32_e64 v15, s[0:1], 0, v13, s[0:1]
	v_cmp_le_u32_e32 vcc, s45, v7
	v_add_co_u32_e64 v16, s[0:1], 1, v9
	v_cndmask_b32_e64 v12, 0, -1, vcc
	v_cmp_le_u32_e32 vcc, s44, v5
	v_addc_co_u32_e64 v17, s[0:1], 0, v13, s[0:1]
	v_cndmask_b32_e64 v5, 0, -1, vcc
	v_cmp_eq_u32_e32 vcc, s45, v7
	v_cmp_ne_u32_e64 s[0:1], 0, v11
	v_cndmask_b32_e32 v5, v12, v5, vcc
	v_cmp_ne_u32_e32 vcc, 0, v5
	v_cndmask_b32_e64 v7, v16, v14, s[0:1]
	v_cndmask_b32_e64 v11, v17, v15, s[0:1]
	v_cndmask_b32_e32 v7, v9, v7, vcc
	v_cndmask_b32_e32 v5, v13, v11, vcc
	v_xor_b32_e32 v7, v7, v3
	v_xor_b32_e32 v5, v5, v3
	v_sub_co_u32_e32 v12, vcc, v7, v3
	v_subb_co_u32_e32 v13, vcc, v5, v3, vcc
.LBB21_27:                              ;   in Loop: Header=BB21_21 Depth=2
	s_andn2_saveexec_b64 s[0:1], s[38:39]
	s_cbranch_execz .LBB21_29
; %bb.28:                               ;   in Loop: Header=BB21_21 Depth=2
	v_cvt_f32_u32_e32 v3, s53
	s_sub_i32 s38, 0, s53
	v_mov_b32_e32 v13, v2
	v_rcp_iflag_f32_e32 v3, v3
	v_mul_f32_e32 v3, 0x4f7ffffe, v3
	v_cvt_u32_f32_e32 v3, v3
	v_mul_lo_u32 v5, s38, v3
	v_mul_hi_u32 v5, v3, v5
	v_add_u32_e32 v3, v3, v5
	v_mul_hi_u32 v3, v10, v3
	v_mul_lo_u32 v5, v3, s53
	v_add_u32_e32 v7, 1, v3
	v_sub_u32_e32 v5, v10, v5
	v_subrev_u32_e32 v9, s53, v5
	v_cmp_le_u32_e32 vcc, s53, v5
	v_cndmask_b32_e32 v5, v5, v9, vcc
	v_cndmask_b32_e32 v3, v3, v7, vcc
	v_add_u32_e32 v7, 1, v3
	v_cmp_le_u32_e32 vcc, s53, v5
	v_cndmask_b32_e32 v12, v3, v7, vcc
.LBB21_29:                              ;   in Loop: Header=BB21_21 Depth=2
	s_or_b64 exec, exec, s[0:1]
	s_add_u32 s0, s4, s40
	s_addc_u32 s1, s5, s41
	s_add_i32 s38, s20, -2
	s_mov_b32 s39, s21
	s_lshl_b64 s[38:39], s[38:39], 2
	s_add_u32 s40, s46, s38
	s_addc_u32 s41, s47, s39
	s_load_dword s55, s[40:41], 0x8
	s_load_dword s56, s[36:37], 0x6c
	;; [unrolled: 1-line block ×3, first 2 shown]
                                        ; implicit-def: $vgpr14_vgpr15
	s_waitcnt lgkmcnt(0)
	s_ashr_i32 s0, s55, 31
	v_or_b32_e32 v3, s0, v13
	v_cmp_ne_u64_e32 vcc, 0, v[2:3]
	s_and_saveexec_b64 s[36:37], vcc
	s_xor_b64 s[36:37], exec, s[36:37]
	s_cbranch_execz .LBB21_31
; %bb.30:                               ;   in Loop: Header=BB21_21 Depth=2
	s_ashr_i32 s42, s0, 31
	s_add_u32 s44, s55, s42
	s_mov_b32 s43, s42
	s_addc_u32 s45, s0, s42
	s_xor_b64 s[44:45], s[44:45], s[42:43]
	v_cvt_f32_u32_e32 v3, s44
	v_cvt_f32_u32_e32 v5, s45
	s_sub_u32 s43, 0, s44
	s_subb_u32 s57, 0, s45
	v_mac_f32_e32 v3, 0x4f800000, v5
	v_rcp_f32_e32 v3, v3
	v_mul_f32_e32 v3, 0x5f7ffffc, v3
	v_mul_f32_e32 v5, 0x2f800000, v3
	v_trunc_f32_e32 v5, v5
	v_mac_f32_e32 v3, 0xcf800000, v5
	v_cvt_u32_f32_e32 v5, v5
	v_cvt_u32_f32_e32 v3, v3
	v_readfirstlane_b32 s58, v5
	v_readfirstlane_b32 s0, v3
	s_mul_i32 s1, s43, s58
	s_mul_hi_u32 s60, s43, s0
	s_mul_i32 s59, s57, s0
	s_add_i32 s1, s60, s1
	s_add_i32 s1, s1, s59
	s_mul_i32 s61, s43, s0
	s_mul_i32 s60, s0, s1
	s_mul_hi_u32 s62, s0, s61
	s_mul_hi_u32 s59, s0, s1
	s_add_u32 s60, s62, s60
	s_addc_u32 s59, 0, s59
	s_mul_hi_u32 s63, s58, s61
	s_mul_i32 s61, s58, s61
	s_add_u32 s60, s60, s61
	s_mul_hi_u32 s62, s58, s1
	s_addc_u32 s59, s59, s63
	s_addc_u32 s60, s62, 0
	s_mul_i32 s1, s58, s1
	s_add_u32 s1, s59, s1
	s_addc_u32 s59, 0, s60
	s_add_u32 s60, s0, s1
	s_cselect_b64 s[0:1], -1, 0
	s_cmp_lg_u64 s[0:1], 0
	s_addc_u32 s58, s58, s59
	s_mul_i32 s0, s43, s58
	s_mul_hi_u32 s1, s43, s60
	s_add_i32 s0, s1, s0
	s_mul_i32 s57, s57, s60
	s_add_i32 s0, s0, s57
	s_mul_i32 s43, s43, s60
	s_mul_hi_u32 s57, s58, s43
	s_mul_i32 s59, s58, s43
	s_mul_i32 s62, s60, s0
	s_mul_hi_u32 s43, s60, s43
	s_mul_hi_u32 s61, s60, s0
	s_add_u32 s43, s43, s62
	s_addc_u32 s61, 0, s61
	s_add_u32 s43, s43, s59
	s_mul_hi_u32 s1, s58, s0
	s_addc_u32 s43, s61, s57
	s_addc_u32 s1, s1, 0
	s_mul_i32 s0, s58, s0
	s_add_u32 s0, s43, s0
	s_addc_u32 s43, 0, s1
	s_add_u32 s57, s60, s0
	s_cselect_b64 s[0:1], -1, 0
	v_ashrrev_i32_e32 v3, 31, v13
	s_cmp_lg_u64 s[0:1], 0
	v_add_co_u32_e32 v5, vcc, v12, v3
	s_addc_u32 s43, s58, s43
	v_xor_b32_e32 v5, v5, v3
	v_addc_co_u32_e32 v7, vcc, v13, v3, vcc
	v_mad_u64_u32 v[13:14], s[0:1], v5, s43, 0
	v_mul_hi_u32 v9, v5, s57
	v_xor_b32_e32 v7, v7, v3
	v_mad_u64_u32 v[15:16], s[0:1], v7, s43, 0
	v_add_co_u32_e32 v9, vcc, v9, v13
	v_addc_co_u32_e32 v11, vcc, 0, v14, vcc
	v_mad_u64_u32 v[13:14], s[0:1], v7, s57, 0
	v_xor_b32_e32 v3, s42, v3
	v_add_co_u32_e32 v9, vcc, v9, v13
	v_addc_co_u32_e32 v9, vcc, v11, v14, vcc
	v_addc_co_u32_e32 v11, vcc, 0, v16, vcc
	v_add_co_u32_e32 v9, vcc, v9, v15
	v_addc_co_u32_e32 v11, vcc, 0, v11, vcc
	v_mul_lo_u32 v15, s45, v9
	v_mul_lo_u32 v16, s44, v11
	v_mad_u64_u32 v[13:14], s[0:1], s44, v9, 0
	v_add3_u32 v14, v14, v16, v15
	v_sub_u32_e32 v15, v7, v14
	v_mov_b32_e32 v16, s45
	v_sub_co_u32_e32 v5, vcc, v5, v13
	v_subb_co_u32_e64 v13, s[0:1], v15, v16, vcc
	v_subrev_co_u32_e64 v15, s[0:1], s44, v5
	v_subbrev_co_u32_e64 v13, s[0:1], 0, v13, s[0:1]
	v_cmp_le_u32_e64 s[0:1], s45, v13
	v_cndmask_b32_e64 v16, 0, -1, s[0:1]
	v_cmp_le_u32_e64 s[0:1], s44, v15
	v_cndmask_b32_e64 v15, 0, -1, s[0:1]
	v_cmp_eq_u32_e64 s[0:1], s45, v13
	v_cndmask_b32_e64 v13, v16, v15, s[0:1]
	v_add_co_u32_e64 v15, s[0:1], 2, v9
	v_subb_co_u32_e32 v7, vcc, v7, v14, vcc
	v_addc_co_u32_e64 v16, s[0:1], 0, v11, s[0:1]
	v_cmp_le_u32_e32 vcc, s45, v7
	v_add_co_u32_e64 v17, s[0:1], 1, v9
	v_cndmask_b32_e64 v14, 0, -1, vcc
	v_cmp_le_u32_e32 vcc, s44, v5
	v_addc_co_u32_e64 v20, s[0:1], 0, v11, s[0:1]
	v_cndmask_b32_e64 v5, 0, -1, vcc
	v_cmp_eq_u32_e32 vcc, s45, v7
	v_cmp_ne_u32_e64 s[0:1], 0, v13
	v_cndmask_b32_e32 v5, v14, v5, vcc
	v_cmp_ne_u32_e32 vcc, 0, v5
	v_cndmask_b32_e64 v7, v17, v15, s[0:1]
	v_cndmask_b32_e64 v13, v20, v16, s[0:1]
	v_cndmask_b32_e32 v7, v9, v7, vcc
	v_cndmask_b32_e32 v5, v11, v13, vcc
	v_xor_b32_e32 v7, v7, v3
	v_xor_b32_e32 v5, v5, v3
	v_sub_co_u32_e32 v14, vcc, v7, v3
	v_subb_co_u32_e32 v15, vcc, v5, v3, vcc
.LBB21_31:                              ;   in Loop: Header=BB21_21 Depth=2
	s_andn2_saveexec_b64 s[0:1], s[36:37]
	s_cbranch_execz .LBB21_33
; %bb.32:                               ;   in Loop: Header=BB21_21 Depth=2
	v_cvt_f32_u32_e32 v3, s55
	s_sub_i32 s36, 0, s55
	v_mov_b32_e32 v15, v2
	v_rcp_iflag_f32_e32 v3, v3
	v_mul_f32_e32 v3, 0x4f7ffffe, v3
	v_cvt_u32_f32_e32 v3, v3
	v_mul_lo_u32 v5, s36, v3
	v_mul_hi_u32 v5, v3, v5
	v_add_u32_e32 v3, v3, v5
	v_mul_hi_u32 v3, v12, v3
	v_mul_lo_u32 v5, v3, s55
	v_add_u32_e32 v7, 1, v3
	v_sub_u32_e32 v5, v12, v5
	v_subrev_u32_e32 v9, s55, v5
	v_cmp_le_u32_e32 vcc, s55, v5
	v_cndmask_b32_e32 v5, v5, v9, vcc
	v_cndmask_b32_e32 v3, v3, v7, vcc
	v_add_u32_e32 v7, 1, v3
	v_cmp_le_u32_e32 vcc, s55, v5
	v_cndmask_b32_e32 v14, v3, v7, vcc
.LBB21_33:                              ;   in Loop: Header=BB21_21 Depth=2
	s_or_b64 exec, exec, s[0:1]
	s_add_u32 s0, s4, s38
	s_addc_u32 s1, s5, s39
	s_add_i32 s36, s20, -3
	s_mov_b32 s37, s21
	s_lshl_b64 s[36:37], s[36:37], 2
	s_add_u32 s38, s46, s36
	s_addc_u32 s39, s47, s37
	s_load_dword s58, s[38:39], 0x8
	s_load_dword s59, s[40:41], 0x6c
	;; [unrolled: 1-line block ×3, first 2 shown]
                                        ; implicit-def: $vgpr16_vgpr17
	s_waitcnt lgkmcnt(0)
	s_ashr_i32 s0, s58, 31
	v_or_b32_e32 v3, s0, v15
	v_cmp_ne_u64_e32 vcc, 0, v[2:3]
	s_and_saveexec_b64 s[40:41], vcc
	s_xor_b64 s[40:41], exec, s[40:41]
	s_cbranch_execz .LBB21_35
; %bb.34:                               ;   in Loop: Header=BB21_21 Depth=2
	s_ashr_i32 s42, s0, 31
	s_add_u32 s44, s58, s42
	s_mov_b32 s43, s42
	s_addc_u32 s45, s0, s42
	s_xor_b64 s[44:45], s[44:45], s[42:43]
	v_cvt_f32_u32_e32 v3, s44
	v_cvt_f32_u32_e32 v5, s45
	s_sub_u32 s43, 0, s44
	s_subb_u32 s60, 0, s45
	v_mac_f32_e32 v3, 0x4f800000, v5
	v_rcp_f32_e32 v3, v3
	v_mul_f32_e32 v3, 0x5f7ffffc, v3
	v_mul_f32_e32 v5, 0x2f800000, v3
	v_trunc_f32_e32 v5, v5
	v_mac_f32_e32 v3, 0xcf800000, v5
	v_cvt_u32_f32_e32 v5, v5
	v_cvt_u32_f32_e32 v3, v3
	v_readfirstlane_b32 s61, v5
	v_readfirstlane_b32 s0, v3
	s_mul_i32 s1, s43, s61
	s_mul_hi_u32 s63, s43, s0
	s_mul_i32 s62, s60, s0
	s_add_i32 s1, s63, s1
	s_add_i32 s1, s1, s62
	s_mul_i32 s64, s43, s0
	s_mul_i32 s63, s0, s1
	s_mul_hi_u32 s65, s0, s64
	s_mul_hi_u32 s62, s0, s1
	s_add_u32 s63, s65, s63
	s_addc_u32 s62, 0, s62
	s_mul_hi_u32 s66, s61, s64
	s_mul_i32 s64, s61, s64
	s_add_u32 s63, s63, s64
	s_mul_hi_u32 s65, s61, s1
	s_addc_u32 s62, s62, s66
	s_addc_u32 s63, s65, 0
	s_mul_i32 s1, s61, s1
	s_add_u32 s1, s62, s1
	s_addc_u32 s62, 0, s63
	s_add_u32 s63, s0, s1
	s_cselect_b64 s[0:1], -1, 0
	s_cmp_lg_u64 s[0:1], 0
	s_addc_u32 s61, s61, s62
	s_mul_i32 s0, s43, s61
	s_mul_hi_u32 s1, s43, s63
	s_add_i32 s0, s1, s0
	s_mul_i32 s60, s60, s63
	s_add_i32 s0, s0, s60
	s_mul_i32 s43, s43, s63
	s_mul_hi_u32 s60, s61, s43
	s_mul_i32 s62, s61, s43
	s_mul_i32 s65, s63, s0
	s_mul_hi_u32 s43, s63, s43
	s_mul_hi_u32 s64, s63, s0
	s_add_u32 s43, s43, s65
	s_addc_u32 s64, 0, s64
	s_add_u32 s43, s43, s62
	s_mul_hi_u32 s1, s61, s0
	s_addc_u32 s43, s64, s60
	s_addc_u32 s1, s1, 0
	s_mul_i32 s0, s61, s0
	s_add_u32 s0, s43, s0
	s_addc_u32 s43, 0, s1
	s_add_u32 s60, s63, s0
	s_cselect_b64 s[0:1], -1, 0
	v_ashrrev_i32_e32 v3, 31, v15
	s_cmp_lg_u64 s[0:1], 0
	v_add_co_u32_e32 v5, vcc, v14, v3
	s_addc_u32 s43, s61, s43
	v_xor_b32_e32 v5, v5, v3
	v_addc_co_u32_e32 v7, vcc, v15, v3, vcc
	v_mad_u64_u32 v[15:16], s[0:1], v5, s43, 0
	v_mul_hi_u32 v9, v5, s60
	v_xor_b32_e32 v7, v7, v3
	v_mad_u64_u32 v[20:21], s[0:1], v7, s43, 0
	v_add_co_u32_e32 v9, vcc, v9, v15
	v_addc_co_u32_e32 v11, vcc, 0, v16, vcc
	v_mad_u64_u32 v[15:16], s[0:1], v7, s60, 0
	v_xor_b32_e32 v3, s42, v3
	v_add_co_u32_e32 v9, vcc, v9, v15
	v_addc_co_u32_e32 v9, vcc, v11, v16, vcc
	v_addc_co_u32_e32 v11, vcc, 0, v21, vcc
	v_add_co_u32_e32 v9, vcc, v9, v20
	v_addc_co_u32_e32 v11, vcc, 0, v11, vcc
	v_mul_lo_u32 v13, s45, v9
	v_mul_lo_u32 v17, s44, v11
	v_mad_u64_u32 v[15:16], s[0:1], s44, v9, 0
	v_add3_u32 v13, v16, v17, v13
	v_sub_u32_e32 v16, v7, v13
	v_mov_b32_e32 v17, s45
	v_sub_co_u32_e32 v5, vcc, v5, v15
	v_subb_co_u32_e64 v15, s[0:1], v16, v17, vcc
	v_subrev_co_u32_e64 v16, s[0:1], s44, v5
	v_subbrev_co_u32_e64 v15, s[0:1], 0, v15, s[0:1]
	v_cmp_le_u32_e64 s[0:1], s45, v15
	v_cndmask_b32_e64 v17, 0, -1, s[0:1]
	v_cmp_le_u32_e64 s[0:1], s44, v16
	v_cndmask_b32_e64 v16, 0, -1, s[0:1]
	v_cmp_eq_u32_e64 s[0:1], s45, v15
	v_cndmask_b32_e64 v15, v17, v16, s[0:1]
	v_add_co_u32_e64 v16, s[0:1], 2, v9
	v_subb_co_u32_e32 v7, vcc, v7, v13, vcc
	v_addc_co_u32_e64 v17, s[0:1], 0, v11, s[0:1]
	v_cmp_le_u32_e32 vcc, s45, v7
	v_add_co_u32_e64 v20, s[0:1], 1, v9
	v_cndmask_b32_e64 v13, 0, -1, vcc
	v_cmp_le_u32_e32 vcc, s44, v5
	v_addc_co_u32_e64 v21, s[0:1], 0, v11, s[0:1]
	v_cndmask_b32_e64 v5, 0, -1, vcc
	v_cmp_eq_u32_e32 vcc, s45, v7
	v_cmp_ne_u32_e64 s[0:1], 0, v15
	v_cndmask_b32_e32 v5, v13, v5, vcc
	v_cmp_ne_u32_e32 vcc, 0, v5
	v_cndmask_b32_e64 v7, v20, v16, s[0:1]
	v_cndmask_b32_e64 v15, v21, v17, s[0:1]
	v_cndmask_b32_e32 v7, v9, v7, vcc
	v_cndmask_b32_e32 v5, v11, v15, vcc
	v_xor_b32_e32 v7, v7, v3
	v_xor_b32_e32 v5, v5, v3
	v_sub_co_u32_e32 v16, vcc, v7, v3
	v_subb_co_u32_e32 v17, vcc, v5, v3, vcc
.LBB21_35:                              ;   in Loop: Header=BB21_21 Depth=2
	s_andn2_saveexec_b64 s[0:1], s[40:41]
	s_cbranch_execz .LBB21_37
; %bb.36:                               ;   in Loop: Header=BB21_21 Depth=2
	v_cvt_f32_u32_e32 v3, s58
	s_sub_i32 s40, 0, s58
	v_mov_b32_e32 v17, v2
	v_rcp_iflag_f32_e32 v3, v3
	v_mul_f32_e32 v3, 0x4f7ffffe, v3
	v_cvt_u32_f32_e32 v3, v3
	v_mul_lo_u32 v5, s40, v3
	v_mul_hi_u32 v5, v3, v5
	v_add_u32_e32 v3, v3, v5
	v_mul_hi_u32 v3, v14, v3
	v_mul_lo_u32 v5, v3, s58
	v_add_u32_e32 v7, 1, v3
	v_sub_u32_e32 v5, v14, v5
	v_subrev_u32_e32 v9, s58, v5
	v_cmp_le_u32_e32 vcc, s58, v5
	v_cndmask_b32_e32 v5, v5, v9, vcc
	v_cndmask_b32_e32 v3, v3, v7, vcc
	v_add_u32_e32 v7, 1, v3
	v_cmp_le_u32_e32 vcc, s58, v5
	v_cndmask_b32_e32 v16, v3, v7, vcc
.LBB21_37:                              ;   in Loop: Header=BB21_21 Depth=2
	s_or_b64 exec, exec, s[0:1]
	v_mul_lo_u32 v3, v10, s15
	v_mul_lo_u32 v5, v12, s53
	;; [unrolled: 1-line block ×3, first 2 shown]
	s_add_u32 s0, s4, s36
	v_sub_u32_e32 v3, v8, v3
	v_sub_u32_e32 v5, v10, v5
	v_mul_lo_u32 v7, s35, v3
	v_mul_lo_u32 v8, s56, v5
	s_addc_u32 s1, s5, s37
	s_load_dword s15, s[38:39], 0x6c
	v_mul_lo_u32 v3, s17, v3
	v_add3_u32 v6, v7, v6, v8
	v_sub_u32_e32 v7, v12, v9
	v_mul_lo_u32 v9, v16, s58
	s_load_dword s0, s[0:1], 0x6c
	v_mul_lo_u32 v5, s54, v5
	v_mul_lo_u32 v8, s59, v7
	v_sub_u32_e32 v9, v14, v9
	s_waitcnt lgkmcnt(0)
	v_mul_lo_u32 v10, s15, v9
	v_add3_u32 v3, v3, v4, v5
	v_mul_lo_u32 v4, s57, v7
	v_mul_lo_u32 v5, s0, v9
	s_add_i32 s20, s20, -4
	v_add3_u32 v6, v8, v6, v10
	s_cmp_eq_u32 s20, -1
	v_add3_u32 v4, v4, v3, v5
	s_cbranch_scc1 .LBB21_39
; %bb.38:                               ;   in Loop: Header=BB21_21 Depth=2
	v_mov_b32_e32 v8, v16
	v_mov_b32_e32 v9, v17
	s_branch .LBB21_21
.LBB21_39:                              ;   in Loop: Header=BB21_3 Depth=1
	v_sub_u32_e32 v8, v18, v19
	v_ashrrev_i32_e32 v9, 31, v8
	v_cmp_ge_i64_e32 vcc, s[8:9], v[8:9]
	v_mov_b32_e32 v10, 0
	v_mov_b32_e32 v12, 0
	;; [unrolled: 1-line block ×4, first 2 shown]
	s_and_saveexec_b64 s[0:1], vcc
	s_cbranch_execz .LBB21_45
; %bb.40:                               ;   in Loop: Header=BB21_3 Depth=1
	v_mov_b32_e32 v10, 0
	v_mov_b32_e32 v14, 0
	;; [unrolled: 1-line block ×4, first 2 shown]
	v_cmp_gt_i32_e32 vcc, s7, v18
	s_and_saveexec_b64 s[36:37], vcc
	s_cbranch_execz .LBB21_44
; %bb.41:                               ;   in Loop: Header=BB21_3 Depth=1
	v_ashrrev_i32_e32 v7, 31, v6
	v_lshlrev_b64 v[5:6], 3, v[6:7]
	v_mov_b32_e32 v3, s3
	v_add_co_u32_e32 v5, vcc, s2, v5
	v_addc_co_u32_e32 v6, vcc, v3, v6, vcc
	global_load_dwordx2 v[10:11], v[5:6], off
	v_add_u32_e32 v3, 1, v18
	v_mov_b32_e32 v14, 0
	v_mov_b32_e32 v15, 0
	v_cmp_gt_i32_e32 vcc, s7, v3
	s_and_saveexec_b64 s[38:39], vcc
	s_xor_b64 s[38:39], exec, s[38:39]
	s_cbranch_execz .LBB21_43
; %bb.42:                               ;   in Loop: Header=BB21_3 Depth=1
	s_lshl_b64 s[40:41], s[26:27], 3
	v_mov_b32_e32 v3, s41
	v_add_co_u32_e32 v5, vcc, s40, v5
	v_addc_co_u32_e32 v6, vcc, v6, v3, vcc
	global_load_dwordx2 v[14:15], v[5:6], off
.LBB21_43:                              ;   in Loop: Header=BB21_3 Depth=1
	s_or_b64 exec, exec, s[38:39]
.LBB21_44:                              ;   in Loop: Header=BB21_3 Depth=1
	s_or_b64 exec, exec, s[36:37]
	v_cmp_ge_i64_e32 vcc, s[8:9], v[8:9]
	v_add_u32_e32 v5, 1, v8
	v_ashrrev_i32_e32 v6, 31, v5
	s_waitcnt vmcnt(0)
	v_cndmask_b32_e32 v13, 0, v11, vcc
	v_cndmask_b32_e32 v12, 0, v10, vcc
	v_cmp_ge_i64_e32 vcc, s[8:9], v[5:6]
	v_cndmask_b32_e32 v11, 0, v15, vcc
	v_cndmask_b32_e32 v10, 0, v14, vcc
.LBB21_45:                              ;   in Loop: Header=BB21_3 Depth=1
	s_or_b64 exec, exec, s[0:1]
	v_cmp_gt_i32_e32 vcc, s7, v18
	s_and_saveexec_b64 s[0:1], vcc
	s_cbranch_execz .LBB21_2
; %bb.46:                               ;   in Loop: Header=BB21_3 Depth=1
	v_ashrrev_i32_e32 v5, 31, v4
	v_lshlrev_b64 v[3:4], 3, v[4:5]
	v_mov_b32_e32 v5, s19
	v_add_co_u32_e32 v3, vcc, s18, v3
	v_addc_co_u32_e32 v4, vcc, v5, v4, vcc
	v_add_u32_e32 v5, 1, v18
	v_cmp_gt_i32_e32 vcc, s7, v5
	global_store_dwordx2 v[3:4], v[12:13], off
	s_and_saveexec_b64 s[36:37], vcc
	s_xor_b64 s[36:37], exec, s[36:37]
	s_cbranch_execz .LBB21_2
; %bb.47:                               ;   in Loop: Header=BB21_3 Depth=1
	s_lshl_b64 s[36:37], s[28:29], 3
	v_mov_b32_e32 v5, s37
	v_add_co_u32_e32 v3, vcc, s36, v3
	v_addc_co_u32_e32 v4, vcc, v4, v5, vcc
	global_store_dwordx2 v[3:4], v[10:11], off
	s_branch .LBB21_2
.LBB21_48:
	s_endpgm
	.section	.rodata,"a",@progbits
	.p2align	6, 0x0
	.amdhsa_kernel _ZN2at6native16triu_tril_kernelIdiLb0ELi2ELb0EEEvNS_4cuda6detail10TensorInfoIT_T0_EENS4_IKS5_S6_EEllS6_
		.amdhsa_group_segment_fixed_size 0
		.amdhsa_private_segment_fixed_size 0
		.amdhsa_kernarg_size 712
		.amdhsa_user_sgpr_count 6
		.amdhsa_user_sgpr_private_segment_buffer 1
		.amdhsa_user_sgpr_dispatch_ptr 0
		.amdhsa_user_sgpr_queue_ptr 0
		.amdhsa_user_sgpr_kernarg_segment_ptr 1
		.amdhsa_user_sgpr_dispatch_id 0
		.amdhsa_user_sgpr_flat_scratch_init 0
		.amdhsa_user_sgpr_private_segment_size 0
		.amdhsa_uses_dynamic_stack 0
		.amdhsa_system_sgpr_private_segment_wavefront_offset 0
		.amdhsa_system_sgpr_workgroup_id_x 1
		.amdhsa_system_sgpr_workgroup_id_y 0
		.amdhsa_system_sgpr_workgroup_id_z 0
		.amdhsa_system_sgpr_workgroup_info 0
		.amdhsa_system_vgpr_workitem_id 0
		.amdhsa_next_free_vgpr 22
		.amdhsa_next_free_sgpr 67
		.amdhsa_reserve_vcc 1
		.amdhsa_reserve_flat_scratch 0
		.amdhsa_float_round_mode_32 0
		.amdhsa_float_round_mode_16_64 0
		.amdhsa_float_denorm_mode_32 3
		.amdhsa_float_denorm_mode_16_64 3
		.amdhsa_dx10_clamp 1
		.amdhsa_ieee_mode 1
		.amdhsa_fp16_overflow 0
		.amdhsa_exception_fp_ieee_invalid_op 0
		.amdhsa_exception_fp_denorm_src 0
		.amdhsa_exception_fp_ieee_div_zero 0
		.amdhsa_exception_fp_ieee_overflow 0
		.amdhsa_exception_fp_ieee_underflow 0
		.amdhsa_exception_fp_ieee_inexact 0
		.amdhsa_exception_int_div_zero 0
	.end_amdhsa_kernel
	.section	.text._ZN2at6native16triu_tril_kernelIdiLb0ELi2ELb0EEEvNS_4cuda6detail10TensorInfoIT_T0_EENS4_IKS5_S6_EEllS6_,"axG",@progbits,_ZN2at6native16triu_tril_kernelIdiLb0ELi2ELb0EEEvNS_4cuda6detail10TensorInfoIT_T0_EENS4_IKS5_S6_EEllS6_,comdat
.Lfunc_end21:
	.size	_ZN2at6native16triu_tril_kernelIdiLb0ELi2ELb0EEEvNS_4cuda6detail10TensorInfoIT_T0_EENS4_IKS5_S6_EEllS6_, .Lfunc_end21-_ZN2at6native16triu_tril_kernelIdiLb0ELi2ELb0EEEvNS_4cuda6detail10TensorInfoIT_T0_EENS4_IKS5_S6_EEllS6_
                                        ; -- End function
	.set _ZN2at6native16triu_tril_kernelIdiLb0ELi2ELb0EEEvNS_4cuda6detail10TensorInfoIT_T0_EENS4_IKS5_S6_EEllS6_.num_vgpr, 22
	.set _ZN2at6native16triu_tril_kernelIdiLb0ELi2ELb0EEEvNS_4cuda6detail10TensorInfoIT_T0_EENS4_IKS5_S6_EEllS6_.num_agpr, 0
	.set _ZN2at6native16triu_tril_kernelIdiLb0ELi2ELb0EEEvNS_4cuda6detail10TensorInfoIT_T0_EENS4_IKS5_S6_EEllS6_.numbered_sgpr, 67
	.set _ZN2at6native16triu_tril_kernelIdiLb0ELi2ELb0EEEvNS_4cuda6detail10TensorInfoIT_T0_EENS4_IKS5_S6_EEllS6_.num_named_barrier, 0
	.set _ZN2at6native16triu_tril_kernelIdiLb0ELi2ELb0EEEvNS_4cuda6detail10TensorInfoIT_T0_EENS4_IKS5_S6_EEllS6_.private_seg_size, 0
	.set _ZN2at6native16triu_tril_kernelIdiLb0ELi2ELb0EEEvNS_4cuda6detail10TensorInfoIT_T0_EENS4_IKS5_S6_EEllS6_.uses_vcc, 1
	.set _ZN2at6native16triu_tril_kernelIdiLb0ELi2ELb0EEEvNS_4cuda6detail10TensorInfoIT_T0_EENS4_IKS5_S6_EEllS6_.uses_flat_scratch, 0
	.set _ZN2at6native16triu_tril_kernelIdiLb0ELi2ELb0EEEvNS_4cuda6detail10TensorInfoIT_T0_EENS4_IKS5_S6_EEllS6_.has_dyn_sized_stack, 0
	.set _ZN2at6native16triu_tril_kernelIdiLb0ELi2ELb0EEEvNS_4cuda6detail10TensorInfoIT_T0_EENS4_IKS5_S6_EEllS6_.has_recursion, 0
	.set _ZN2at6native16triu_tril_kernelIdiLb0ELi2ELb0EEEvNS_4cuda6detail10TensorInfoIT_T0_EENS4_IKS5_S6_EEllS6_.has_indirect_call, 0
	.section	.AMDGPU.csdata,"",@progbits
; Kernel info:
; codeLenInByte = 6368
; TotalNumSgprs: 71
; NumVgprs: 22
; ScratchSize: 0
; MemoryBound: 0
; FloatMode: 240
; IeeeMode: 1
; LDSByteSize: 0 bytes/workgroup (compile time only)
; SGPRBlocks: 8
; VGPRBlocks: 5
; NumSGPRsForWavesPerEU: 71
; NumVGPRsForWavesPerEU: 22
; Occupancy: 10
; WaveLimiterHint : 1
; COMPUTE_PGM_RSRC2:SCRATCH_EN: 0
; COMPUTE_PGM_RSRC2:USER_SGPR: 6
; COMPUTE_PGM_RSRC2:TRAP_HANDLER: 0
; COMPUTE_PGM_RSRC2:TGID_X_EN: 1
; COMPUTE_PGM_RSRC2:TGID_Y_EN: 0
; COMPUTE_PGM_RSRC2:TGID_Z_EN: 0
; COMPUTE_PGM_RSRC2:TIDIG_COMP_CNT: 0
	.section	.text._ZN2at6native16triu_tril_kernelIdlLb0ELi2ELb1EEEvNS_4cuda6detail10TensorInfoIT_T0_EENS4_IKS5_S6_EEllS6_,"axG",@progbits,_ZN2at6native16triu_tril_kernelIdlLb0ELi2ELb1EEEvNS_4cuda6detail10TensorInfoIT_T0_EENS4_IKS5_S6_EEllS6_,comdat
	.protected	_ZN2at6native16triu_tril_kernelIdlLb0ELi2ELb1EEEvNS_4cuda6detail10TensorInfoIT_T0_EENS4_IKS5_S6_EEllS6_ ; -- Begin function _ZN2at6native16triu_tril_kernelIdlLb0ELi2ELb1EEEvNS_4cuda6detail10TensorInfoIT_T0_EENS4_IKS5_S6_EEllS6_
	.globl	_ZN2at6native16triu_tril_kernelIdlLb0ELi2ELb1EEEvNS_4cuda6detail10TensorInfoIT_T0_EENS4_IKS5_S6_EEllS6_
	.p2align	8
	.type	_ZN2at6native16triu_tril_kernelIdlLb0ELi2ELb1EEEvNS_4cuda6detail10TensorInfoIT_T0_EENS4_IKS5_S6_EEllS6_,@function
_ZN2at6native16triu_tril_kernelIdlLb0ELi2ELb1EEEvNS_4cuda6detail10TensorInfoIT_T0_EENS4_IKS5_S6_EEllS6_: ; @_ZN2at6native16triu_tril_kernelIdlLb0ELi2ELb1EEEvNS_4cuda6detail10TensorInfoIT_T0_EENS4_IKS5_S6_EEllS6_
; %bb.0:
	s_load_dword s2, s[4:5], 0x364
	s_load_dwordx4 s[8:11], s[4:5], 0x340
	s_add_u32 s0, s4, 0x358
	v_mov_b32_e32 v2, 0
	s_addc_u32 s1, s5, 0
	s_waitcnt lgkmcnt(0)
	s_and_b32 s2, s2, 0xffff
	v_mov_b32_e32 v1, v2
	v_mov_b32_e32 v3, s6
	v_mad_u64_u32 v[0:1], s[6:7], s2, v3, v[0:1]
	v_lshlrev_b64 v[0:1], 1, v[0:1]
	v_cmp_gt_i64_e32 vcc, s[10:11], v[0:1]
	s_and_saveexec_b64 s[6:7], vcc
	s_cbranch_execz .LBB22_43
; %bb.1:
	s_load_dword s1, s[0:1], 0x0
	s_add_u32 s34, s4, 0x1a0
	s_load_dword s0, s[4:5], 0x338
	s_addc_u32 s35, s5, 0
	s_load_dwordx2 s[6:7], s[4:5], 0x350
	s_load_dwordx2 s[12:13], s[4:5], 0x0
	s_waitcnt lgkmcnt(0)
	s_mul_i32 s24, s1, s2
	s_mov_b32 s25, 0
	s_add_i32 s2, s0, -2
	s_ashr_i32 s3, s2, 31
	s_ashr_i32 s1, s0, 31
	s_lshl_b64 s[16:17], s[2:3], 3
	s_add_u32 s16, s34, s16
	s_addc_u32 s17, s35, s17
	s_lshl_b64 s[22:23], s[0:1], 3
	s_add_u32 s18, s4, s22
	s_addc_u32 s19, s5, s23
	s_add_i32 s20, s0, -3
	s_ashr_i32 s21, s20, 31
	s_add_u32 s22, s34, s22
	v_cmp_gt_i64_e64 s[14:15], s[0:1], 2
	s_addc_u32 s23, s35, s23
	s_lshl_b32 s33, s24, 1
	s_and_b32 s24, s2, 3
	s_and_b32 s0, s20, 3
	s_cmp_lg_u32 s0, 3
	s_cselect_b64 s[26:27], -1, 0
	s_cmp_gt_u32 s20, 2
	s_cselect_b64 s[28:29], -1, 0
	s_lshl_b64 s[0:1], s[20:21], 3
	s_add_u32 s2, s4, s0
	s_addc_u32 s3, s5, s1
	s_add_u32 s30, s2, 0xd0
	s_addc_u32 s31, s3, 0
	;; [unrolled: 2-line block ×3, first 2 shown]
	s_add_u32 s34, s0, 8
	s_load_dwordx2 s[16:17], s[16:17], 0x8
	s_addc_u32 s35, s1, 0
	s_add_u32 s64, s4, 0xb8
	s_addc_u32 s65, s5, 0
	s_add_u32 s66, s4, 0x190
	s_addc_u32 s67, s5, 0
	s_mov_b64 s[4:5], 0
	s_branch .LBB22_3
.LBB22_2:                               ;   in Loop: Header=BB22_3 Depth=1
	s_or_b64 exec, exec, s[36:37]
	v_add_co_u32_e32 v0, vcc, s33, v0
	v_addc_co_u32_e32 v1, vcc, 0, v1, vcc
	v_cmp_le_i64_e32 vcc, s[10:11], v[0:1]
	s_or_b64 s[4:5], vcc, s[4:5]
	s_andn2_b64 exec, exec, s[4:5]
	s_cbranch_execz .LBB22_43
.LBB22_3:                               ; =>This Loop Header: Depth=1
                                        ;     Child Loop BB22_17 Depth 2
                                        ;     Child Loop BB22_22 Depth 2
	v_or_b32_e32 v3, s7, v1
	v_cmp_ne_u64_e32 vcc, 0, v[2:3]
                                        ; implicit-def: $vgpr6_vgpr7
	s_and_saveexec_b64 s[0:1], vcc
	s_xor_b64 s[2:3], exec, s[0:1]
	s_cbranch_execz .LBB22_5
; %bb.4:                                ;   in Loop: Header=BB22_3 Depth=1
	s_ashr_i32 s36, s7, 31
	s_add_u32 s0, s6, s36
	s_mov_b32 s37, s36
	s_addc_u32 s1, s7, s36
	s_xor_b64 s[38:39], s[0:1], s[36:37]
	v_cvt_f32_u32_e32 v3, s38
	v_cvt_f32_u32_e32 v4, s39
	s_sub_u32 s37, 0, s38
	s_subb_u32 s40, 0, s39
	v_ashrrev_i32_e32 v7, 31, v1
	v_mac_f32_e32 v3, 0x4f800000, v4
	v_rcp_f32_e32 v3, v3
	v_mul_f32_e32 v3, 0x5f7ffffc, v3
	v_mul_f32_e32 v4, 0x2f800000, v3
	v_trunc_f32_e32 v4, v4
	v_mac_f32_e32 v3, 0xcf800000, v4
	v_cvt_u32_f32_e32 v4, v4
	v_cvt_u32_f32_e32 v3, v3
	v_readfirstlane_b32 s41, v4
	v_readfirstlane_b32 s0, v3
	s_mul_i32 s1, s37, s41
	s_mul_hi_u32 s43, s37, s0
	s_mul_i32 s42, s40, s0
	s_add_i32 s1, s43, s1
	s_add_i32 s1, s1, s42
	s_mul_i32 s44, s37, s0
	s_mul_i32 s43, s0, s1
	s_mul_hi_u32 s45, s0, s44
	s_mul_hi_u32 s42, s0, s1
	s_add_u32 s43, s45, s43
	s_addc_u32 s42, 0, s42
	s_mul_hi_u32 s46, s41, s44
	s_mul_i32 s44, s41, s44
	s_add_u32 s43, s43, s44
	s_mul_hi_u32 s45, s41, s1
	s_addc_u32 s42, s42, s46
	s_addc_u32 s43, s45, 0
	s_mul_i32 s1, s41, s1
	s_add_u32 s1, s42, s1
	s_addc_u32 s42, 0, s43
	s_add_u32 s43, s0, s1
	s_cselect_b64 s[0:1], -1, 0
	s_cmp_lg_u64 s[0:1], 0
	s_addc_u32 s41, s41, s42
	s_mul_i32 s0, s37, s41
	s_mul_hi_u32 s1, s37, s43
	s_add_i32 s0, s1, s0
	s_mul_i32 s40, s40, s43
	s_add_i32 s0, s0, s40
	s_mul_i32 s37, s37, s43
	s_mul_hi_u32 s40, s41, s37
	s_mul_i32 s42, s41, s37
	s_mul_i32 s45, s43, s0
	s_mul_hi_u32 s37, s43, s37
	s_mul_hi_u32 s44, s43, s0
	s_add_u32 s37, s37, s45
	s_addc_u32 s44, 0, s44
	s_add_u32 s37, s37, s42
	s_mul_hi_u32 s1, s41, s0
	s_addc_u32 s37, s44, s40
	s_addc_u32 s1, s1, 0
	s_mul_i32 s0, s41, s0
	s_add_u32 s0, s37, s0
	s_addc_u32 s37, 0, s1
	s_add_u32 s40, s43, s0
	s_cselect_b64 s[0:1], -1, 0
	s_cmp_lg_u64 s[0:1], 0
	v_add_co_u32_e32 v3, vcc, v0, v7
	s_addc_u32 s37, s41, s37
	v_xor_b32_e32 v8, v3, v7
	v_mad_u64_u32 v[3:4], s[0:1], v8, s37, 0
	v_mul_hi_u32 v6, v8, s40
	v_addc_co_u32_e32 v5, vcc, v1, v7, vcc
	v_xor_b32_e32 v9, v5, v7
	v_add_co_u32_e32 v10, vcc, v6, v3
	v_addc_co_u32_e32 v11, vcc, 0, v4, vcc
	v_mad_u64_u32 v[3:4], s[0:1], v9, s40, 0
	v_mad_u64_u32 v[5:6], s[0:1], v9, s37, 0
	v_add_co_u32_e32 v3, vcc, v10, v3
	v_addc_co_u32_e32 v3, vcc, v11, v4, vcc
	v_addc_co_u32_e32 v4, vcc, 0, v6, vcc
	v_add_co_u32_e32 v5, vcc, v3, v5
	v_addc_co_u32_e32 v6, vcc, 0, v4, vcc
	v_mul_lo_u32 v10, s39, v5
	v_mul_lo_u32 v11, s38, v6
	v_mad_u64_u32 v[3:4], s[0:1], s38, v5, 0
	v_add3_u32 v4, v4, v11, v10
	v_sub_u32_e32 v10, v9, v4
	v_mov_b32_e32 v11, s39
	v_sub_co_u32_e32 v3, vcc, v8, v3
	v_subb_co_u32_e64 v8, s[0:1], v10, v11, vcc
	v_subrev_co_u32_e64 v10, s[0:1], s38, v3
	v_subbrev_co_u32_e64 v8, s[0:1], 0, v8, s[0:1]
	v_cmp_le_u32_e64 s[0:1], s39, v8
	v_cndmask_b32_e64 v11, 0, -1, s[0:1]
	v_cmp_le_u32_e64 s[0:1], s38, v10
	v_cndmask_b32_e64 v10, 0, -1, s[0:1]
	v_cmp_eq_u32_e64 s[0:1], s39, v8
	v_cndmask_b32_e64 v8, v11, v10, s[0:1]
	v_add_co_u32_e64 v10, s[0:1], 2, v5
	v_subb_co_u32_e32 v4, vcc, v9, v4, vcc
	v_addc_co_u32_e64 v11, s[0:1], 0, v6, s[0:1]
	v_cmp_le_u32_e32 vcc, s39, v4
	v_add_co_u32_e64 v12, s[0:1], 1, v5
	v_cndmask_b32_e64 v9, 0, -1, vcc
	v_cmp_le_u32_e32 vcc, s38, v3
	v_addc_co_u32_e64 v13, s[0:1], 0, v6, s[0:1]
	v_cndmask_b32_e64 v3, 0, -1, vcc
	v_cmp_eq_u32_e32 vcc, s39, v4
	v_cmp_ne_u32_e64 s[0:1], 0, v8
	v_cndmask_b32_e32 v3, v9, v3, vcc
	v_cmp_ne_u32_e32 vcc, 0, v3
	v_cndmask_b32_e64 v4, v12, v10, s[0:1]
	v_cndmask_b32_e64 v8, v13, v11, s[0:1]
	v_cndmask_b32_e32 v4, v5, v4, vcc
	v_xor_b32_e32 v5, s36, v7
	v_cndmask_b32_e32 v3, v6, v8, vcc
	v_xor_b32_e32 v4, v4, v5
	v_xor_b32_e32 v3, v3, v5
	v_sub_co_u32_e32 v6, vcc, v4, v5
	v_subb_co_u32_e32 v7, vcc, v3, v5, vcc
.LBB22_5:                               ;   in Loop: Header=BB22_3 Depth=1
	s_andn2_saveexec_b64 s[0:1], s[2:3]
	s_cbranch_execz .LBB22_7
; %bb.6:                                ;   in Loop: Header=BB22_3 Depth=1
	v_cvt_f32_u32_e32 v3, s6
	s_sub_i32 s2, 0, s6
	v_mov_b32_e32 v7, v2
	v_rcp_iflag_f32_e32 v3, v3
	v_mul_f32_e32 v3, 0x4f7ffffe, v3
	v_cvt_u32_f32_e32 v3, v3
	v_mul_lo_u32 v4, s2, v3
	v_mul_hi_u32 v4, v3, v4
	v_add_u32_e32 v3, v3, v4
	v_mul_hi_u32 v3, v0, v3
	v_mul_lo_u32 v4, v3, s6
	v_add_u32_e32 v5, 1, v3
	v_sub_u32_e32 v4, v0, v4
	v_subrev_u32_e32 v6, s6, v4
	v_cmp_le_u32_e32 vcc, s6, v4
	v_cndmask_b32_e32 v4, v4, v6, vcc
	v_cndmask_b32_e32 v3, v3, v5, vcc
	v_add_u32_e32 v5, 1, v3
	v_cmp_le_u32_e32 vcc, s6, v4
	v_cndmask_b32_e32 v6, v3, v5, vcc
.LBB22_7:                               ;   in Loop: Header=BB22_3 Depth=1
	s_or_b64 exec, exec, s[0:1]
	s_waitcnt lgkmcnt(0)
	v_or_b32_e32 v3, s17, v7
	v_cmp_ne_u64_e32 vcc, 0, v[2:3]
                                        ; implicit-def: $vgpr10_vgpr11
	s_and_saveexec_b64 s[0:1], vcc
	s_xor_b64 s[2:3], exec, s[0:1]
	s_cbranch_execz .LBB22_9
; %bb.8:                                ;   in Loop: Header=BB22_3 Depth=1
	s_ashr_i32 s36, s17, 31
	s_add_u32 s0, s16, s36
	s_mov_b32 s37, s36
	s_addc_u32 s1, s17, s36
	s_xor_b64 s[38:39], s[0:1], s[36:37]
	v_cvt_f32_u32_e32 v3, s38
	v_cvt_f32_u32_e32 v4, s39
	s_sub_u32 s37, 0, s38
	s_subb_u32 s40, 0, s39
	v_ashrrev_i32_e32 v5, 31, v7
	v_mac_f32_e32 v3, 0x4f800000, v4
	v_rcp_f32_e32 v3, v3
	v_mul_f32_e32 v3, 0x5f7ffffc, v3
	v_mul_f32_e32 v4, 0x2f800000, v3
	v_trunc_f32_e32 v4, v4
	v_mac_f32_e32 v3, 0xcf800000, v4
	v_cvt_u32_f32_e32 v4, v4
	v_cvt_u32_f32_e32 v3, v3
	v_readfirstlane_b32 s41, v4
	v_readfirstlane_b32 s0, v3
	s_mul_i32 s1, s37, s41
	s_mul_hi_u32 s43, s37, s0
	s_mul_i32 s42, s40, s0
	s_add_i32 s1, s43, s1
	s_add_i32 s1, s1, s42
	s_mul_i32 s44, s37, s0
	s_mul_i32 s43, s0, s1
	s_mul_hi_u32 s45, s0, s44
	s_mul_hi_u32 s42, s0, s1
	s_add_u32 s43, s45, s43
	s_addc_u32 s42, 0, s42
	s_mul_hi_u32 s46, s41, s44
	s_mul_i32 s44, s41, s44
	s_add_u32 s43, s43, s44
	s_mul_hi_u32 s45, s41, s1
	s_addc_u32 s42, s42, s46
	s_addc_u32 s43, s45, 0
	s_mul_i32 s1, s41, s1
	s_add_u32 s1, s42, s1
	s_addc_u32 s42, 0, s43
	s_add_u32 s43, s0, s1
	s_cselect_b64 s[0:1], -1, 0
	s_cmp_lg_u64 s[0:1], 0
	s_addc_u32 s41, s41, s42
	s_mul_i32 s0, s37, s41
	s_mul_hi_u32 s1, s37, s43
	s_add_i32 s0, s1, s0
	s_mul_i32 s40, s40, s43
	s_add_i32 s0, s0, s40
	s_mul_i32 s37, s37, s43
	s_mul_hi_u32 s40, s41, s37
	s_mul_i32 s42, s41, s37
	s_mul_i32 s45, s43, s0
	s_mul_hi_u32 s37, s43, s37
	s_mul_hi_u32 s44, s43, s0
	s_add_u32 s37, s37, s45
	s_addc_u32 s44, 0, s44
	s_add_u32 s37, s37, s42
	s_mul_hi_u32 s1, s41, s0
	s_addc_u32 s37, s44, s40
	s_addc_u32 s1, s1, 0
	s_mul_i32 s0, s41, s0
	s_add_u32 s0, s37, s0
	s_addc_u32 s37, 0, s1
	s_add_u32 s40, s43, s0
	s_cselect_b64 s[0:1], -1, 0
	s_cmp_lg_u64 s[0:1], 0
	v_add_co_u32_e32 v3, vcc, v6, v5
	s_addc_u32 s37, s41, s37
	v_xor_b32_e32 v10, v3, v5
	v_mad_u64_u32 v[3:4], s[0:1], v10, s37, 0
	v_mul_hi_u32 v9, v10, s40
	v_addc_co_u32_e32 v8, vcc, v7, v5, vcc
	v_xor_b32_e32 v11, v8, v5
	v_add_co_u32_e32 v12, vcc, v9, v3
	v_addc_co_u32_e32 v13, vcc, 0, v4, vcc
	v_mad_u64_u32 v[3:4], s[0:1], v11, s40, 0
	v_mad_u64_u32 v[8:9], s[0:1], v11, s37, 0
	v_add_co_u32_e32 v3, vcc, v12, v3
	v_addc_co_u32_e32 v3, vcc, v13, v4, vcc
	v_addc_co_u32_e32 v4, vcc, 0, v9, vcc
	v_add_co_u32_e32 v8, vcc, v3, v8
	v_addc_co_u32_e32 v9, vcc, 0, v4, vcc
	v_mul_lo_u32 v12, s39, v8
	v_mul_lo_u32 v13, s38, v9
	v_mad_u64_u32 v[3:4], s[0:1], s38, v8, 0
	v_xor_b32_e32 v5, s36, v5
	v_add3_u32 v4, v4, v13, v12
	v_sub_u32_e32 v12, v11, v4
	v_mov_b32_e32 v13, s39
	v_sub_co_u32_e32 v3, vcc, v10, v3
	v_subb_co_u32_e64 v10, s[0:1], v12, v13, vcc
	v_subrev_co_u32_e64 v12, s[0:1], s38, v3
	v_subbrev_co_u32_e64 v10, s[0:1], 0, v10, s[0:1]
	v_cmp_le_u32_e64 s[0:1], s39, v10
	v_cndmask_b32_e64 v13, 0, -1, s[0:1]
	v_cmp_le_u32_e64 s[0:1], s38, v12
	v_cndmask_b32_e64 v12, 0, -1, s[0:1]
	v_cmp_eq_u32_e64 s[0:1], s39, v10
	v_cndmask_b32_e64 v10, v13, v12, s[0:1]
	v_add_co_u32_e64 v12, s[0:1], 2, v8
	v_subb_co_u32_e32 v4, vcc, v11, v4, vcc
	v_addc_co_u32_e64 v13, s[0:1], 0, v9, s[0:1]
	v_cmp_le_u32_e32 vcc, s39, v4
	v_add_co_u32_e64 v14, s[0:1], 1, v8
	v_cndmask_b32_e64 v11, 0, -1, vcc
	v_cmp_le_u32_e32 vcc, s38, v3
	v_addc_co_u32_e64 v15, s[0:1], 0, v9, s[0:1]
	v_cndmask_b32_e64 v3, 0, -1, vcc
	v_cmp_eq_u32_e32 vcc, s39, v4
	v_cmp_ne_u32_e64 s[0:1], 0, v10
	v_cndmask_b32_e32 v3, v11, v3, vcc
	v_cmp_ne_u32_e32 vcc, 0, v3
	v_cndmask_b32_e64 v4, v14, v12, s[0:1]
	v_cndmask_b32_e64 v10, v15, v13, s[0:1]
	v_cndmask_b32_e32 v4, v8, v4, vcc
	v_cndmask_b32_e32 v3, v9, v10, vcc
	v_xor_b32_e32 v4, v4, v5
	v_xor_b32_e32 v3, v3, v5
	v_sub_co_u32_e32 v10, vcc, v4, v5
	v_subb_co_u32_e32 v11, vcc, v3, v5, vcc
.LBB22_9:                               ;   in Loop: Header=BB22_3 Depth=1
	s_andn2_saveexec_b64 s[0:1], s[2:3]
	s_cbranch_execz .LBB22_11
; %bb.10:                               ;   in Loop: Header=BB22_3 Depth=1
	v_cvt_f32_u32_e32 v3, s16
	s_sub_i32 s2, 0, s16
	v_mov_b32_e32 v11, v2
	v_rcp_iflag_f32_e32 v3, v3
	v_mul_f32_e32 v3, 0x4f7ffffe, v3
	v_cvt_u32_f32_e32 v3, v3
	v_mul_lo_u32 v4, s2, v3
	v_mul_hi_u32 v4, v3, v4
	v_add_u32_e32 v3, v3, v4
	v_mul_hi_u32 v3, v6, v3
	v_mul_lo_u32 v4, v3, s16
	v_add_u32_e32 v5, 1, v3
	v_sub_u32_e32 v4, v6, v4
	v_subrev_u32_e32 v8, s16, v4
	v_cmp_le_u32_e32 vcc, s16, v4
	v_cndmask_b32_e32 v4, v4, v8, vcc
	v_cndmask_b32_e32 v3, v3, v5, vcc
	v_add_u32_e32 v5, 1, v3
	v_cmp_le_u32_e32 vcc, s16, v4
	v_cndmask_b32_e32 v10, v3, v5, vcc
.LBB22_11:                              ;   in Loop: Header=BB22_3 Depth=1
	s_or_b64 exec, exec, s[0:1]
	v_mul_lo_u32 v5, v7, s6
	v_mul_lo_u32 v8, v6, s7
	v_mad_u64_u32 v[3:4], s[0:1], v6, s6, 0
	v_mul_lo_u32 v12, v11, s16
	v_mul_lo_u32 v13, v10, s17
	v_add3_u32 v5, v4, v8, v5
	v_mad_u64_u32 v[8:9], s[0:1], v10, s16, 0
	v_sub_co_u32_e32 v4, vcc, v0, v3
	v_subb_co_u32_e32 v5, vcc, v1, v5, vcc
	v_add3_u32 v3, v9, v13, v12
	v_sub_co_u32_e32 v20, vcc, v6, v8
	v_subb_co_u32_e32 v21, vcc, v7, v3, vcc
	v_sub_co_u32_e32 v6, vcc, v4, v20
	v_subb_co_u32_e32 v7, vcc, v5, v21, vcc
	v_add_co_u32_e32 v8, vcc, 2, v6
	v_addc_co_u32_e32 v9, vcc, 0, v7, vcc
	v_cmp_lt_i64_e32 vcc, s[8:9], v[8:9]
	s_and_saveexec_b64 s[36:37], vcc
	s_cbranch_execz .LBB22_2
; %bb.12:                               ;   in Loop: Header=BB22_3 Depth=1
	s_load_dwordx4 s[0:3], s[18:19], 0xc0
	s_andn2_b64 vcc, exec, s[14:15]
	s_waitcnt lgkmcnt(0)
	v_mul_lo_u32 v3, s3, v4
	v_mul_lo_u32 v12, s2, v5
	v_mad_u64_u32 v[8:9], s[38:39], s2, v4, 0
	v_mul_lo_u32 v13, s0, v21
	v_add3_u32 v9, v9, v12, v3
	v_mad_u64_u32 v[8:9], s[38:39], s0, v20, v[8:9]
	v_mul_lo_u32 v3, s1, v20
	v_add3_u32 v9, v3, v9, v13
	s_cbranch_vccnz .LBB22_38
; %bb.13:                               ;   in Loop: Header=BB22_3 Depth=1
	s_andn2_b64 vcc, exec, s[26:27]
	s_mov_b64 s[38:39], s[24:25]
	s_mov_b64 s[40:41], s[34:35]
	;; [unrolled: 1-line block ×4, first 2 shown]
	s_cbranch_vccz .LBB22_17
.LBB22_14:                              ;   in Loop: Header=BB22_3 Depth=1
	s_andn2_b64 vcc, exec, s[28:29]
	s_cbranch_vccnz .LBB22_38
; %bb.15:                               ;   in Loop: Header=BB22_3 Depth=1
	s_lshl_b64 s[0:1], s[42:43], 3
	s_add_u32 s38, s64, s0
	s_addc_u32 s39, s65, s1
	s_add_u32 s40, s66, s0
	s_addc_u32 s41, s67, s1
	;; [unrolled: 2-line block ×3, first 2 shown]
	s_branch .LBB22_22
.LBB22_16:                              ;   in Loop: Header=BB22_17 Depth=2
	s_or_b64 exec, exec, s[0:1]
	v_mul_lo_u32 v3, v13, s46
	v_mul_lo_u32 v16, v12, s47
	v_mad_u64_u32 v[14:15], s[0:1], v12, s46, 0
	s_load_dwordx2 s[0:1], s[44:45], 0x0
	s_add_u32 s42, s42, -1
	v_add3_u32 v3, v15, v16, v3
	v_sub_co_u32_e32 v10, vcc, v10, v14
	s_addc_u32 s43, s43, -1
	v_subb_co_u32_e32 v3, vcc, v11, v3, vcc
	s_add_u32 s44, s44, -8
	s_waitcnt lgkmcnt(0)
	v_mul_lo_u32 v3, s0, v3
	v_mul_lo_u32 v11, s1, v10
	v_mad_u64_u32 v[8:9], s[0:1], s0, v10, v[8:9]
	s_addc_u32 s45, s45, -1
	s_add_u32 s40, s40, -8
	s_addc_u32 s41, s41, -1
	s_add_u32 s38, s38, -1
	s_addc_u32 s39, s39, -1
	v_add3_u32 v9, v11, v9, v3
	v_mov_b32_e32 v10, v12
	s_cmp_lg_u64 s[38:39], 0
	v_mov_b32_e32 v11, v13
	s_cbranch_scc0 .LBB22_14
.LBB22_17:                              ;   Parent Loop BB22_3 Depth=1
                                        ; =>  This Inner Loop Header: Depth=2
	s_load_dwordx2 s[46:47], s[40:41], 0x0
                                        ; implicit-def: $vgpr12_vgpr13
	s_waitcnt lgkmcnt(0)
	v_or_b32_e32 v3, s47, v11
	v_cmp_ne_u64_e32 vcc, 0, v[2:3]
	s_and_saveexec_b64 s[0:1], vcc
	s_xor_b64 s[48:49], exec, s[0:1]
	s_cbranch_execz .LBB22_19
; %bb.18:                               ;   in Loop: Header=BB22_17 Depth=2
	s_ashr_i32 s50, s47, 31
	s_add_u32 s0, s46, s50
	s_mov_b32 s51, s50
	s_addc_u32 s1, s47, s50
	s_xor_b64 s[52:53], s[0:1], s[50:51]
	v_cvt_f32_u32_e32 v3, s52
	v_cvt_f32_u32_e32 v12, s53
	s_sub_u32 s51, 0, s52
	s_subb_u32 s54, 0, s53
	v_mac_f32_e32 v3, 0x4f800000, v12
	v_rcp_f32_e32 v3, v3
	v_mul_f32_e32 v3, 0x5f7ffffc, v3
	v_mul_f32_e32 v12, 0x2f800000, v3
	v_trunc_f32_e32 v12, v12
	v_mac_f32_e32 v3, 0xcf800000, v12
	v_cvt_u32_f32_e32 v12, v12
	v_cvt_u32_f32_e32 v3, v3
	v_readfirstlane_b32 s55, v12
	v_readfirstlane_b32 s0, v3
	s_mul_i32 s1, s51, s55
	s_mul_hi_u32 s57, s51, s0
	s_mul_i32 s56, s54, s0
	s_add_i32 s1, s57, s1
	s_add_i32 s1, s1, s56
	s_mul_i32 s58, s51, s0
	s_mul_i32 s57, s0, s1
	s_mul_hi_u32 s59, s0, s58
	s_mul_hi_u32 s56, s0, s1
	s_add_u32 s57, s59, s57
	s_addc_u32 s56, 0, s56
	s_mul_hi_u32 s60, s55, s58
	s_mul_i32 s58, s55, s58
	s_add_u32 s57, s57, s58
	s_mul_hi_u32 s59, s55, s1
	s_addc_u32 s56, s56, s60
	s_addc_u32 s57, s59, 0
	s_mul_i32 s1, s55, s1
	s_add_u32 s1, s56, s1
	s_addc_u32 s56, 0, s57
	s_add_u32 s57, s0, s1
	s_cselect_b64 s[0:1], -1, 0
	s_cmp_lg_u64 s[0:1], 0
	s_addc_u32 s55, s55, s56
	s_mul_i32 s0, s51, s55
	s_mul_hi_u32 s1, s51, s57
	s_add_i32 s0, s1, s0
	s_mul_i32 s54, s54, s57
	s_add_i32 s0, s0, s54
	s_mul_i32 s51, s51, s57
	s_mul_hi_u32 s54, s55, s51
	s_mul_i32 s56, s55, s51
	s_mul_i32 s59, s57, s0
	s_mul_hi_u32 s51, s57, s51
	s_mul_hi_u32 s58, s57, s0
	s_add_u32 s51, s51, s59
	s_addc_u32 s58, 0, s58
	s_add_u32 s51, s51, s56
	s_mul_hi_u32 s1, s55, s0
	s_addc_u32 s51, s58, s54
	s_addc_u32 s1, s1, 0
	s_mul_i32 s0, s55, s0
	s_add_u32 s0, s51, s0
	s_addc_u32 s51, 0, s1
	s_add_u32 s54, s57, s0
	s_cselect_b64 s[0:1], -1, 0
	v_ashrrev_i32_e32 v3, 31, v11
	s_cmp_lg_u64 s[0:1], 0
	v_add_co_u32_e32 v12, vcc, v10, v3
	s_addc_u32 s51, s55, s51
	v_xor_b32_e32 v16, v12, v3
	v_mad_u64_u32 v[12:13], s[0:1], v16, s51, 0
	v_mul_hi_u32 v15, v16, s54
	v_addc_co_u32_e32 v14, vcc, v11, v3, vcc
	v_xor_b32_e32 v17, v14, v3
	v_add_co_u32_e32 v18, vcc, v15, v12
	v_addc_co_u32_e32 v19, vcc, 0, v13, vcc
	v_mad_u64_u32 v[12:13], s[0:1], v17, s54, 0
	v_mad_u64_u32 v[14:15], s[0:1], v17, s51, 0
	v_add_co_u32_e32 v12, vcc, v18, v12
	v_addc_co_u32_e32 v12, vcc, v19, v13, vcc
	v_addc_co_u32_e32 v13, vcc, 0, v15, vcc
	v_add_co_u32_e32 v14, vcc, v12, v14
	v_addc_co_u32_e32 v15, vcc, 0, v13, vcc
	v_mul_lo_u32 v18, s53, v14
	v_mul_lo_u32 v19, s52, v15
	v_mad_u64_u32 v[12:13], s[0:1], s52, v14, 0
	v_xor_b32_e32 v3, s50, v3
	v_add3_u32 v13, v13, v19, v18
	v_sub_u32_e32 v18, v17, v13
	v_mov_b32_e32 v19, s53
	v_sub_co_u32_e32 v12, vcc, v16, v12
	v_subb_co_u32_e64 v16, s[0:1], v18, v19, vcc
	v_subrev_co_u32_e64 v18, s[0:1], s52, v12
	v_subbrev_co_u32_e64 v16, s[0:1], 0, v16, s[0:1]
	v_cmp_le_u32_e64 s[0:1], s53, v16
	v_cndmask_b32_e64 v19, 0, -1, s[0:1]
	v_cmp_le_u32_e64 s[0:1], s52, v18
	v_cndmask_b32_e64 v18, 0, -1, s[0:1]
	v_cmp_eq_u32_e64 s[0:1], s53, v16
	v_cndmask_b32_e64 v16, v19, v18, s[0:1]
	v_add_co_u32_e64 v18, s[0:1], 2, v14
	v_subb_co_u32_e32 v13, vcc, v17, v13, vcc
	v_addc_co_u32_e64 v19, s[0:1], 0, v15, s[0:1]
	v_cmp_le_u32_e32 vcc, s53, v13
	v_add_co_u32_e64 v22, s[0:1], 1, v14
	v_cndmask_b32_e64 v17, 0, -1, vcc
	v_cmp_le_u32_e32 vcc, s52, v12
	v_addc_co_u32_e64 v23, s[0:1], 0, v15, s[0:1]
	v_cndmask_b32_e64 v12, 0, -1, vcc
	v_cmp_eq_u32_e32 vcc, s53, v13
	v_cmp_ne_u32_e64 s[0:1], 0, v16
	v_cndmask_b32_e32 v12, v17, v12, vcc
	v_cndmask_b32_e64 v16, v23, v19, s[0:1]
	v_cmp_ne_u32_e32 vcc, 0, v12
	v_cndmask_b32_e64 v13, v22, v18, s[0:1]
	v_cndmask_b32_e32 v12, v15, v16, vcc
	v_cndmask_b32_e32 v13, v14, v13, vcc
	v_xor_b32_e32 v14, v12, v3
	v_xor_b32_e32 v12, v13, v3
	v_sub_co_u32_e32 v12, vcc, v12, v3
	v_subb_co_u32_e32 v13, vcc, v14, v3, vcc
.LBB22_19:                              ;   in Loop: Header=BB22_17 Depth=2
	s_andn2_saveexec_b64 s[0:1], s[48:49]
	s_cbranch_execz .LBB22_16
; %bb.20:                               ;   in Loop: Header=BB22_17 Depth=2
	v_cvt_f32_u32_e32 v3, s46
	s_sub_i32 s48, 0, s46
	v_rcp_iflag_f32_e32 v3, v3
	v_mul_f32_e32 v3, 0x4f7ffffe, v3
	v_cvt_u32_f32_e32 v3, v3
	v_mul_lo_u32 v12, s48, v3
	v_mul_hi_u32 v12, v3, v12
	v_add_u32_e32 v3, v3, v12
	v_mul_hi_u32 v3, v10, v3
	v_mul_lo_u32 v12, v3, s46
	v_add_u32_e32 v13, 1, v3
	v_sub_u32_e32 v12, v10, v12
	v_subrev_u32_e32 v14, s46, v12
	v_cmp_le_u32_e32 vcc, s46, v12
	v_cndmask_b32_e32 v12, v12, v14, vcc
	v_cndmask_b32_e32 v3, v3, v13, vcc
	v_add_u32_e32 v13, 1, v3
	v_cmp_le_u32_e32 vcc, s46, v12
	v_cndmask_b32_e32 v12, v3, v13, vcc
	v_mov_b32_e32 v13, v2
	s_branch .LBB22_16
.LBB22_21:                              ;   in Loop: Header=BB22_22 Depth=2
	s_or_b64 exec, exec, s[0:1]
	v_mul_lo_u32 v3, v13, s44
	v_mul_lo_u32 v24, v12, s45
	v_mad_u64_u32 v[22:23], s[0:1], v12, s44, 0
	v_add3_u32 v3, v23, v24, v3
	v_sub_co_u32_e32 v10, vcc, v10, v22
	v_subb_co_u32_e32 v3, vcc, v11, v3, vcc
	v_mul_lo_u32 v3, s48, v3
	v_mul_lo_u32 v22, s49, v10
	v_mad_u64_u32 v[8:9], s[0:1], s48, v10, v[8:9]
	v_mul_lo_u32 v23, v15, s46
	v_mul_lo_u32 v24, v14, s47
	v_mad_u64_u32 v[10:11], s[0:1], v14, s46, 0
	v_add3_u32 v9, v22, v9, v3
	v_mul_lo_u32 v22, v16, s51
	v_add3_u32 v3, v11, v24, v23
	v_sub_co_u32_e32 v10, vcc, v12, v10
	v_subb_co_u32_e32 v3, vcc, v13, v3, vcc
	v_mad_u64_u32 v[8:9], s[0:1], s52, v10, v[8:9]
	v_mul_lo_u32 v3, s52, v3
	v_mul_lo_u32 v12, s53, v10
	;; [unrolled: 1-line block ×3, first 2 shown]
	v_mad_u64_u32 v[10:11], s[0:1], v16, s50, 0
	v_add3_u32 v9, v12, v9, v3
	v_add3_u32 v3, v11, v22, v13
	v_sub_co_u32_e32 v10, vcc, v14, v10
	v_subb_co_u32_e32 v3, vcc, v15, v3, vcc
	v_mad_u64_u32 v[8:9], s[0:1], s56, v10, v[8:9]
	v_mul_lo_u32 v3, s56, v3
	v_mul_lo_u32 v12, s57, v10
	;; [unrolled: 1-line block ×4, first 2 shown]
	v_mad_u64_u32 v[10:11], s[0:1], v18, s54, 0
	s_load_dwordx2 s[0:1], s[38:39], 0x0
	v_add3_u32 v9, v12, v9, v3
	v_add3_u32 v3, v11, v14, v13
	v_sub_co_u32_e32 v10, vcc, v16, v10
	v_subb_co_u32_e32 v3, vcc, v17, v3, vcc
	s_add_u32 s38, s38, 0xffffffe0
	s_waitcnt lgkmcnt(0)
	v_mad_u64_u32 v[8:9], s[44:45], s0, v10, v[8:9]
	v_mul_lo_u32 v3, s0, v3
	v_mul_lo_u32 v10, s1, v10
	s_addc_u32 s39, s39, -1
	s_add_u32 s40, s40, 0xffffffe0
	s_addc_u32 s41, s41, -1
	s_add_u32 s42, s42, -4
	v_add3_u32 v9, v10, v9, v3
	s_addc_u32 s43, s43, -1
	v_mov_b32_e32 v10, v18
	s_cmp_eq_u64 s[42:43], 0
	v_mov_b32_e32 v11, v19
	s_cbranch_scc1 .LBB22_38
.LBB22_22:                              ;   Parent Loop BB22_3 Depth=1
                                        ; =>  This Inner Loop Header: Depth=2
	s_load_dwordx2 s[44:45], s[40:41], 0x18
                                        ; implicit-def: $vgpr12_vgpr13
	s_waitcnt lgkmcnt(0)
	v_or_b32_e32 v3, s45, v11
	v_cmp_ne_u64_e32 vcc, 0, v[2:3]
	s_and_saveexec_b64 s[0:1], vcc
	s_xor_b64 s[46:47], exec, s[0:1]
	s_cbranch_execz .LBB22_24
; %bb.23:                               ;   in Loop: Header=BB22_22 Depth=2
	s_ashr_i32 s48, s45, 31
	s_add_u32 s0, s44, s48
	s_mov_b32 s49, s48
	s_addc_u32 s1, s45, s48
	s_xor_b64 s[50:51], s[0:1], s[48:49]
	v_cvt_f32_u32_e32 v3, s50
	v_cvt_f32_u32_e32 v12, s51
	s_sub_u32 s49, 0, s50
	s_subb_u32 s52, 0, s51
	v_mac_f32_e32 v3, 0x4f800000, v12
	v_rcp_f32_e32 v3, v3
	v_mul_f32_e32 v3, 0x5f7ffffc, v3
	v_mul_f32_e32 v12, 0x2f800000, v3
	v_trunc_f32_e32 v12, v12
	v_mac_f32_e32 v3, 0xcf800000, v12
	v_cvt_u32_f32_e32 v12, v12
	v_cvt_u32_f32_e32 v3, v3
	v_readfirstlane_b32 s53, v12
	v_readfirstlane_b32 s0, v3
	s_mul_i32 s1, s49, s53
	s_mul_hi_u32 s55, s49, s0
	s_mul_i32 s54, s52, s0
	s_add_i32 s1, s55, s1
	s_add_i32 s1, s1, s54
	s_mul_i32 s56, s49, s0
	s_mul_i32 s55, s0, s1
	s_mul_hi_u32 s57, s0, s56
	s_mul_hi_u32 s54, s0, s1
	s_add_u32 s55, s57, s55
	s_addc_u32 s54, 0, s54
	s_mul_hi_u32 s58, s53, s56
	s_mul_i32 s56, s53, s56
	s_add_u32 s55, s55, s56
	s_mul_hi_u32 s57, s53, s1
	s_addc_u32 s54, s54, s58
	s_addc_u32 s55, s57, 0
	s_mul_i32 s1, s53, s1
	s_add_u32 s1, s54, s1
	s_addc_u32 s54, 0, s55
	s_add_u32 s55, s0, s1
	s_cselect_b64 s[0:1], -1, 0
	s_cmp_lg_u64 s[0:1], 0
	s_addc_u32 s53, s53, s54
	s_mul_i32 s0, s49, s53
	s_mul_hi_u32 s1, s49, s55
	s_add_i32 s0, s1, s0
	s_mul_i32 s52, s52, s55
	s_add_i32 s0, s0, s52
	s_mul_i32 s49, s49, s55
	s_mul_hi_u32 s52, s53, s49
	s_mul_i32 s54, s53, s49
	s_mul_i32 s57, s55, s0
	s_mul_hi_u32 s49, s55, s49
	s_mul_hi_u32 s56, s55, s0
	s_add_u32 s49, s49, s57
	s_addc_u32 s56, 0, s56
	s_add_u32 s49, s49, s54
	s_mul_hi_u32 s1, s53, s0
	s_addc_u32 s49, s56, s52
	s_addc_u32 s1, s1, 0
	s_mul_i32 s0, s53, s0
	s_add_u32 s0, s49, s0
	s_addc_u32 s49, 0, s1
	s_add_u32 s52, s55, s0
	s_cselect_b64 s[0:1], -1, 0
	v_ashrrev_i32_e32 v3, 31, v11
	s_cmp_lg_u64 s[0:1], 0
	v_add_co_u32_e32 v12, vcc, v10, v3
	s_addc_u32 s49, s53, s49
	v_xor_b32_e32 v16, v12, v3
	v_mad_u64_u32 v[12:13], s[0:1], v16, s49, 0
	v_mul_hi_u32 v15, v16, s52
	v_addc_co_u32_e32 v14, vcc, v11, v3, vcc
	v_xor_b32_e32 v17, v14, v3
	v_add_co_u32_e32 v18, vcc, v15, v12
	v_addc_co_u32_e32 v19, vcc, 0, v13, vcc
	v_mad_u64_u32 v[12:13], s[0:1], v17, s52, 0
	v_mad_u64_u32 v[14:15], s[0:1], v17, s49, 0
	v_add_co_u32_e32 v12, vcc, v18, v12
	v_addc_co_u32_e32 v12, vcc, v19, v13, vcc
	v_addc_co_u32_e32 v13, vcc, 0, v15, vcc
	v_add_co_u32_e32 v14, vcc, v12, v14
	v_addc_co_u32_e32 v15, vcc, 0, v13, vcc
	v_mul_lo_u32 v18, s51, v14
	v_mul_lo_u32 v19, s50, v15
	v_mad_u64_u32 v[12:13], s[0:1], s50, v14, 0
	v_xor_b32_e32 v3, s48, v3
	v_add3_u32 v13, v13, v19, v18
	v_sub_u32_e32 v18, v17, v13
	v_mov_b32_e32 v19, s51
	v_sub_co_u32_e32 v12, vcc, v16, v12
	v_subb_co_u32_e64 v16, s[0:1], v18, v19, vcc
	v_subrev_co_u32_e64 v18, s[0:1], s50, v12
	v_subbrev_co_u32_e64 v16, s[0:1], 0, v16, s[0:1]
	v_cmp_le_u32_e64 s[0:1], s51, v16
	v_cndmask_b32_e64 v19, 0, -1, s[0:1]
	v_cmp_le_u32_e64 s[0:1], s50, v18
	v_cndmask_b32_e64 v18, 0, -1, s[0:1]
	v_cmp_eq_u32_e64 s[0:1], s51, v16
	v_cndmask_b32_e64 v16, v19, v18, s[0:1]
	v_add_co_u32_e64 v18, s[0:1], 2, v14
	v_subb_co_u32_e32 v13, vcc, v17, v13, vcc
	v_addc_co_u32_e64 v19, s[0:1], 0, v15, s[0:1]
	v_cmp_le_u32_e32 vcc, s51, v13
	v_add_co_u32_e64 v22, s[0:1], 1, v14
	v_cndmask_b32_e64 v17, 0, -1, vcc
	v_cmp_le_u32_e32 vcc, s50, v12
	v_addc_co_u32_e64 v23, s[0:1], 0, v15, s[0:1]
	v_cndmask_b32_e64 v12, 0, -1, vcc
	v_cmp_eq_u32_e32 vcc, s51, v13
	v_cmp_ne_u32_e64 s[0:1], 0, v16
	v_cndmask_b32_e32 v12, v17, v12, vcc
	v_cndmask_b32_e64 v16, v23, v19, s[0:1]
	v_cmp_ne_u32_e32 vcc, 0, v12
	v_cndmask_b32_e64 v13, v22, v18, s[0:1]
	v_cndmask_b32_e32 v12, v15, v16, vcc
	v_cndmask_b32_e32 v13, v14, v13, vcc
	v_xor_b32_e32 v14, v12, v3
	v_xor_b32_e32 v12, v13, v3
	v_sub_co_u32_e32 v12, vcc, v12, v3
	v_subb_co_u32_e32 v13, vcc, v14, v3, vcc
.LBB22_24:                              ;   in Loop: Header=BB22_22 Depth=2
	s_andn2_saveexec_b64 s[0:1], s[46:47]
	s_cbranch_execz .LBB22_26
; %bb.25:                               ;   in Loop: Header=BB22_22 Depth=2
	v_cvt_f32_u32_e32 v3, s44
	s_sub_i32 s46, 0, s44
	v_rcp_iflag_f32_e32 v3, v3
	v_mul_f32_e32 v3, 0x4f7ffffe, v3
	v_cvt_u32_f32_e32 v3, v3
	v_mul_lo_u32 v12, s46, v3
	v_mul_hi_u32 v12, v3, v12
	v_add_u32_e32 v3, v3, v12
	v_mul_hi_u32 v3, v10, v3
	v_mul_lo_u32 v12, v3, s44
	v_add_u32_e32 v13, 1, v3
	v_sub_u32_e32 v12, v10, v12
	v_subrev_u32_e32 v14, s44, v12
	v_cmp_le_u32_e32 vcc, s44, v12
	v_cndmask_b32_e32 v12, v12, v14, vcc
	v_cndmask_b32_e32 v3, v3, v13, vcc
	v_add_u32_e32 v13, 1, v3
	v_cmp_le_u32_e32 vcc, s44, v12
	v_cndmask_b32_e32 v12, v3, v13, vcc
	v_mov_b32_e32 v13, v2
.LBB22_26:                              ;   in Loop: Header=BB22_22 Depth=2
	s_or_b64 exec, exec, s[0:1]
	s_load_dwordx2 s[46:47], s[40:41], 0x10
	s_load_dwordx2 s[48:49], s[38:39], 0x18
                                        ; implicit-def: $vgpr14_vgpr15
	s_waitcnt lgkmcnt(0)
	v_or_b32_e32 v3, s47, v13
	v_cmp_ne_u64_e32 vcc, 0, v[2:3]
	s_and_saveexec_b64 s[0:1], vcc
	s_xor_b64 s[50:51], exec, s[0:1]
	s_cbranch_execz .LBB22_28
; %bb.27:                               ;   in Loop: Header=BB22_22 Depth=2
	s_ashr_i32 s52, s47, 31
	s_add_u32 s0, s46, s52
	s_mov_b32 s53, s52
	s_addc_u32 s1, s47, s52
	s_xor_b64 s[54:55], s[0:1], s[52:53]
	v_cvt_f32_u32_e32 v3, s54
	v_cvt_f32_u32_e32 v14, s55
	s_sub_u32 s53, 0, s54
	s_subb_u32 s56, 0, s55
	v_mac_f32_e32 v3, 0x4f800000, v14
	v_rcp_f32_e32 v3, v3
	v_mul_f32_e32 v3, 0x5f7ffffc, v3
	v_mul_f32_e32 v14, 0x2f800000, v3
	v_trunc_f32_e32 v14, v14
	v_mac_f32_e32 v3, 0xcf800000, v14
	v_cvt_u32_f32_e32 v14, v14
	v_cvt_u32_f32_e32 v3, v3
	v_readfirstlane_b32 s57, v14
	v_readfirstlane_b32 s0, v3
	s_mul_i32 s1, s53, s57
	s_mul_hi_u32 s59, s53, s0
	s_mul_i32 s58, s56, s0
	s_add_i32 s1, s59, s1
	s_add_i32 s1, s1, s58
	s_mul_i32 s60, s53, s0
	s_mul_i32 s59, s0, s1
	s_mul_hi_u32 s61, s0, s60
	s_mul_hi_u32 s58, s0, s1
	s_add_u32 s59, s61, s59
	s_addc_u32 s58, 0, s58
	s_mul_hi_u32 s62, s57, s60
	s_mul_i32 s60, s57, s60
	s_add_u32 s59, s59, s60
	s_mul_hi_u32 s61, s57, s1
	s_addc_u32 s58, s58, s62
	s_addc_u32 s59, s61, 0
	s_mul_i32 s1, s57, s1
	s_add_u32 s1, s58, s1
	s_addc_u32 s58, 0, s59
	s_add_u32 s59, s0, s1
	s_cselect_b64 s[0:1], -1, 0
	s_cmp_lg_u64 s[0:1], 0
	s_addc_u32 s57, s57, s58
	s_mul_i32 s0, s53, s57
	s_mul_hi_u32 s1, s53, s59
	s_add_i32 s0, s1, s0
	s_mul_i32 s56, s56, s59
	s_add_i32 s0, s0, s56
	s_mul_i32 s53, s53, s59
	s_mul_hi_u32 s56, s57, s53
	s_mul_i32 s58, s57, s53
	s_mul_i32 s61, s59, s0
	s_mul_hi_u32 s53, s59, s53
	s_mul_hi_u32 s60, s59, s0
	s_add_u32 s53, s53, s61
	s_addc_u32 s60, 0, s60
	s_add_u32 s53, s53, s58
	s_mul_hi_u32 s1, s57, s0
	s_addc_u32 s53, s60, s56
	s_addc_u32 s1, s1, 0
	s_mul_i32 s0, s57, s0
	s_add_u32 s0, s53, s0
	s_addc_u32 s53, 0, s1
	s_add_u32 s56, s59, s0
	s_cselect_b64 s[0:1], -1, 0
	v_ashrrev_i32_e32 v3, 31, v13
	s_cmp_lg_u64 s[0:1], 0
	v_add_co_u32_e32 v14, vcc, v12, v3
	s_addc_u32 s53, s57, s53
	v_xor_b32_e32 v18, v14, v3
	v_mad_u64_u32 v[14:15], s[0:1], v18, s53, 0
	v_mul_hi_u32 v17, v18, s56
	v_addc_co_u32_e32 v16, vcc, v13, v3, vcc
	v_xor_b32_e32 v19, v16, v3
	v_add_co_u32_e32 v22, vcc, v17, v14
	v_addc_co_u32_e32 v23, vcc, 0, v15, vcc
	v_mad_u64_u32 v[14:15], s[0:1], v19, s56, 0
	v_mad_u64_u32 v[16:17], s[0:1], v19, s53, 0
	v_add_co_u32_e32 v14, vcc, v22, v14
	v_addc_co_u32_e32 v14, vcc, v23, v15, vcc
	v_addc_co_u32_e32 v15, vcc, 0, v17, vcc
	v_add_co_u32_e32 v16, vcc, v14, v16
	v_addc_co_u32_e32 v17, vcc, 0, v15, vcc
	v_mul_lo_u32 v22, s55, v16
	v_mul_lo_u32 v23, s54, v17
	v_mad_u64_u32 v[14:15], s[0:1], s54, v16, 0
	v_xor_b32_e32 v3, s52, v3
	v_add3_u32 v15, v15, v23, v22
	v_sub_u32_e32 v22, v19, v15
	v_mov_b32_e32 v23, s55
	v_sub_co_u32_e32 v14, vcc, v18, v14
	v_subb_co_u32_e64 v18, s[0:1], v22, v23, vcc
	v_subrev_co_u32_e64 v22, s[0:1], s54, v14
	v_subbrev_co_u32_e64 v18, s[0:1], 0, v18, s[0:1]
	v_cmp_le_u32_e64 s[0:1], s55, v18
	v_cndmask_b32_e64 v23, 0, -1, s[0:1]
	v_cmp_le_u32_e64 s[0:1], s54, v22
	v_cndmask_b32_e64 v22, 0, -1, s[0:1]
	v_cmp_eq_u32_e64 s[0:1], s55, v18
	v_cndmask_b32_e64 v18, v23, v22, s[0:1]
	v_add_co_u32_e64 v22, s[0:1], 2, v16
	v_subb_co_u32_e32 v15, vcc, v19, v15, vcc
	v_addc_co_u32_e64 v23, s[0:1], 0, v17, s[0:1]
	v_cmp_le_u32_e32 vcc, s55, v15
	v_add_co_u32_e64 v24, s[0:1], 1, v16
	v_cndmask_b32_e64 v19, 0, -1, vcc
	v_cmp_le_u32_e32 vcc, s54, v14
	v_addc_co_u32_e64 v25, s[0:1], 0, v17, s[0:1]
	v_cndmask_b32_e64 v14, 0, -1, vcc
	v_cmp_eq_u32_e32 vcc, s55, v15
	v_cmp_ne_u32_e64 s[0:1], 0, v18
	v_cndmask_b32_e32 v14, v19, v14, vcc
	v_cndmask_b32_e64 v18, v25, v23, s[0:1]
	v_cmp_ne_u32_e32 vcc, 0, v14
	v_cndmask_b32_e64 v15, v24, v22, s[0:1]
	v_cndmask_b32_e32 v14, v17, v18, vcc
	v_cndmask_b32_e32 v15, v16, v15, vcc
	v_xor_b32_e32 v16, v14, v3
	v_xor_b32_e32 v14, v15, v3
	v_sub_co_u32_e32 v14, vcc, v14, v3
	v_subb_co_u32_e32 v15, vcc, v16, v3, vcc
.LBB22_28:                              ;   in Loop: Header=BB22_22 Depth=2
	s_andn2_saveexec_b64 s[0:1], s[50:51]
	s_cbranch_execz .LBB22_30
; %bb.29:                               ;   in Loop: Header=BB22_22 Depth=2
	v_cvt_f32_u32_e32 v3, s46
	s_sub_i32 s50, 0, s46
	v_rcp_iflag_f32_e32 v3, v3
	v_mul_f32_e32 v3, 0x4f7ffffe, v3
	v_cvt_u32_f32_e32 v3, v3
	v_mul_lo_u32 v14, s50, v3
	v_mul_hi_u32 v14, v3, v14
	v_add_u32_e32 v3, v3, v14
	v_mul_hi_u32 v3, v12, v3
	v_mul_lo_u32 v14, v3, s46
	v_add_u32_e32 v15, 1, v3
	v_sub_u32_e32 v14, v12, v14
	v_subrev_u32_e32 v16, s46, v14
	v_cmp_le_u32_e32 vcc, s46, v14
	v_cndmask_b32_e32 v14, v14, v16, vcc
	v_cndmask_b32_e32 v3, v3, v15, vcc
	v_add_u32_e32 v15, 1, v3
	v_cmp_le_u32_e32 vcc, s46, v14
	v_cndmask_b32_e32 v14, v3, v15, vcc
	v_mov_b32_e32 v15, v2
.LBB22_30:                              ;   in Loop: Header=BB22_22 Depth=2
	s_or_b64 exec, exec, s[0:1]
	s_load_dwordx2 s[50:51], s[40:41], 0x8
	s_load_dwordx2 s[52:53], s[38:39], 0x10
                                        ; implicit-def: $vgpr16_vgpr17
	s_waitcnt lgkmcnt(0)
	v_or_b32_e32 v3, s51, v15
	v_cmp_ne_u64_e32 vcc, 0, v[2:3]
	s_and_saveexec_b64 s[0:1], vcc
	s_xor_b64 s[54:55], exec, s[0:1]
	s_cbranch_execz .LBB22_32
; %bb.31:                               ;   in Loop: Header=BB22_22 Depth=2
	s_ashr_i32 s56, s51, 31
	s_add_u32 s0, s50, s56
	s_mov_b32 s57, s56
	s_addc_u32 s1, s51, s56
	s_xor_b64 s[58:59], s[0:1], s[56:57]
	v_cvt_f32_u32_e32 v3, s58
	v_cvt_f32_u32_e32 v16, s59
	s_sub_u32 s57, 0, s58
	s_subb_u32 s60, 0, s59
	v_mac_f32_e32 v3, 0x4f800000, v16
	v_rcp_f32_e32 v3, v3
	v_mul_f32_e32 v3, 0x5f7ffffc, v3
	v_mul_f32_e32 v16, 0x2f800000, v3
	v_trunc_f32_e32 v16, v16
	v_mac_f32_e32 v3, 0xcf800000, v16
	v_cvt_u32_f32_e32 v16, v16
	v_cvt_u32_f32_e32 v3, v3
	v_readfirstlane_b32 s61, v16
	v_readfirstlane_b32 s0, v3
	s_mul_i32 s1, s57, s61
	s_mul_hi_u32 s63, s57, s0
	s_mul_i32 s62, s60, s0
	s_add_i32 s1, s63, s1
	s_add_i32 s1, s1, s62
	s_mul_i32 s68, s57, s0
	s_mul_i32 s63, s0, s1
	s_mul_hi_u32 s69, s0, s68
	s_mul_hi_u32 s62, s0, s1
	s_add_u32 s63, s69, s63
	s_addc_u32 s62, 0, s62
	s_mul_hi_u32 s70, s61, s68
	s_mul_i32 s68, s61, s68
	s_add_u32 s63, s63, s68
	s_mul_hi_u32 s69, s61, s1
	s_addc_u32 s62, s62, s70
	s_addc_u32 s63, s69, 0
	s_mul_i32 s1, s61, s1
	s_add_u32 s1, s62, s1
	s_addc_u32 s62, 0, s63
	s_add_u32 s63, s0, s1
	s_cselect_b64 s[0:1], -1, 0
	s_cmp_lg_u64 s[0:1], 0
	s_addc_u32 s61, s61, s62
	s_mul_i32 s0, s57, s61
	s_mul_hi_u32 s1, s57, s63
	s_add_i32 s0, s1, s0
	s_mul_i32 s60, s60, s63
	s_add_i32 s0, s0, s60
	s_mul_i32 s57, s57, s63
	s_mul_hi_u32 s60, s61, s57
	s_mul_i32 s62, s61, s57
	s_mul_i32 s69, s63, s0
	s_mul_hi_u32 s57, s63, s57
	s_mul_hi_u32 s68, s63, s0
	s_add_u32 s57, s57, s69
	s_addc_u32 s68, 0, s68
	s_add_u32 s57, s57, s62
	s_mul_hi_u32 s1, s61, s0
	s_addc_u32 s57, s68, s60
	s_addc_u32 s1, s1, 0
	s_mul_i32 s0, s61, s0
	s_add_u32 s0, s57, s0
	s_addc_u32 s57, 0, s1
	s_add_u32 s60, s63, s0
	s_cselect_b64 s[0:1], -1, 0
	v_ashrrev_i32_e32 v3, 31, v15
	s_cmp_lg_u64 s[0:1], 0
	v_add_co_u32_e32 v16, vcc, v14, v3
	s_addc_u32 s57, s61, s57
	v_xor_b32_e32 v22, v16, v3
	v_mad_u64_u32 v[16:17], s[0:1], v22, s57, 0
	v_mul_hi_u32 v19, v22, s60
	v_addc_co_u32_e32 v18, vcc, v15, v3, vcc
	v_xor_b32_e32 v23, v18, v3
	v_add_co_u32_e32 v24, vcc, v19, v16
	v_addc_co_u32_e32 v25, vcc, 0, v17, vcc
	v_mad_u64_u32 v[16:17], s[0:1], v23, s60, 0
	v_mad_u64_u32 v[18:19], s[0:1], v23, s57, 0
	v_add_co_u32_e32 v16, vcc, v24, v16
	v_addc_co_u32_e32 v16, vcc, v25, v17, vcc
	v_addc_co_u32_e32 v17, vcc, 0, v19, vcc
	v_add_co_u32_e32 v18, vcc, v16, v18
	v_addc_co_u32_e32 v19, vcc, 0, v17, vcc
	v_mul_lo_u32 v24, s59, v18
	v_mul_lo_u32 v25, s58, v19
	v_mad_u64_u32 v[16:17], s[0:1], s58, v18, 0
	v_xor_b32_e32 v3, s56, v3
	v_add3_u32 v17, v17, v25, v24
	v_sub_u32_e32 v24, v23, v17
	v_mov_b32_e32 v25, s59
	v_sub_co_u32_e32 v16, vcc, v22, v16
	v_subb_co_u32_e64 v22, s[0:1], v24, v25, vcc
	v_subrev_co_u32_e64 v24, s[0:1], s58, v16
	v_subbrev_co_u32_e64 v22, s[0:1], 0, v22, s[0:1]
	v_cmp_le_u32_e64 s[0:1], s59, v22
	v_cndmask_b32_e64 v25, 0, -1, s[0:1]
	v_cmp_le_u32_e64 s[0:1], s58, v24
	v_cndmask_b32_e64 v24, 0, -1, s[0:1]
	v_cmp_eq_u32_e64 s[0:1], s59, v22
	v_cndmask_b32_e64 v22, v25, v24, s[0:1]
	v_add_co_u32_e64 v24, s[0:1], 2, v18
	v_subb_co_u32_e32 v17, vcc, v23, v17, vcc
	v_addc_co_u32_e64 v25, s[0:1], 0, v19, s[0:1]
	v_cmp_le_u32_e32 vcc, s59, v17
	v_add_co_u32_e64 v26, s[0:1], 1, v18
	v_cndmask_b32_e64 v23, 0, -1, vcc
	v_cmp_le_u32_e32 vcc, s58, v16
	v_addc_co_u32_e64 v27, s[0:1], 0, v19, s[0:1]
	v_cndmask_b32_e64 v16, 0, -1, vcc
	v_cmp_eq_u32_e32 vcc, s59, v17
	v_cmp_ne_u32_e64 s[0:1], 0, v22
	v_cndmask_b32_e32 v16, v23, v16, vcc
	v_cndmask_b32_e64 v22, v27, v25, s[0:1]
	v_cmp_ne_u32_e32 vcc, 0, v16
	v_cndmask_b32_e64 v17, v26, v24, s[0:1]
	v_cndmask_b32_e32 v16, v19, v22, vcc
	v_cndmask_b32_e32 v17, v18, v17, vcc
	v_xor_b32_e32 v18, v16, v3
	v_xor_b32_e32 v16, v17, v3
	v_sub_co_u32_e32 v16, vcc, v16, v3
	v_subb_co_u32_e32 v17, vcc, v18, v3, vcc
.LBB22_32:                              ;   in Loop: Header=BB22_22 Depth=2
	s_andn2_saveexec_b64 s[0:1], s[54:55]
	s_cbranch_execz .LBB22_34
; %bb.33:                               ;   in Loop: Header=BB22_22 Depth=2
	v_cvt_f32_u32_e32 v3, s50
	s_sub_i32 s54, 0, s50
	v_rcp_iflag_f32_e32 v3, v3
	v_mul_f32_e32 v3, 0x4f7ffffe, v3
	v_cvt_u32_f32_e32 v3, v3
	v_mul_lo_u32 v16, s54, v3
	v_mul_hi_u32 v16, v3, v16
	v_add_u32_e32 v3, v3, v16
	v_mul_hi_u32 v3, v14, v3
	v_mul_lo_u32 v16, v3, s50
	v_add_u32_e32 v17, 1, v3
	v_sub_u32_e32 v16, v14, v16
	v_subrev_u32_e32 v18, s50, v16
	v_cmp_le_u32_e32 vcc, s50, v16
	v_cndmask_b32_e32 v16, v16, v18, vcc
	v_cndmask_b32_e32 v3, v3, v17, vcc
	v_add_u32_e32 v17, 1, v3
	v_cmp_le_u32_e32 vcc, s50, v16
	v_cndmask_b32_e32 v16, v3, v17, vcc
	v_mov_b32_e32 v17, v2
.LBB22_34:                              ;   in Loop: Header=BB22_22 Depth=2
	s_or_b64 exec, exec, s[0:1]
	s_load_dwordx2 s[54:55], s[40:41], 0x0
	s_load_dwordx2 s[56:57], s[38:39], 0x8
                                        ; implicit-def: $vgpr18_vgpr19
	s_waitcnt lgkmcnt(0)
	v_or_b32_e32 v3, s55, v17
	v_cmp_ne_u64_e32 vcc, 0, v[2:3]
	s_and_saveexec_b64 s[0:1], vcc
	s_xor_b64 s[58:59], exec, s[0:1]
	s_cbranch_execz .LBB22_36
; %bb.35:                               ;   in Loop: Header=BB22_22 Depth=2
	s_ashr_i32 s60, s55, 31
	s_add_u32 s0, s54, s60
	s_mov_b32 s61, s60
	s_addc_u32 s1, s55, s60
	s_xor_b64 s[62:63], s[0:1], s[60:61]
	v_cvt_f32_u32_e32 v3, s62
	v_cvt_f32_u32_e32 v18, s63
	s_sub_u32 s61, 0, s62
	s_subb_u32 s68, 0, s63
	v_mac_f32_e32 v3, 0x4f800000, v18
	v_rcp_f32_e32 v3, v3
	v_mul_f32_e32 v3, 0x5f7ffffc, v3
	v_mul_f32_e32 v18, 0x2f800000, v3
	v_trunc_f32_e32 v18, v18
	v_mac_f32_e32 v3, 0xcf800000, v18
	v_cvt_u32_f32_e32 v18, v18
	v_cvt_u32_f32_e32 v3, v3
	v_readfirstlane_b32 s69, v18
	v_readfirstlane_b32 s0, v3
	s_mul_i32 s1, s61, s69
	s_mul_hi_u32 s71, s61, s0
	s_mul_i32 s70, s68, s0
	s_add_i32 s1, s71, s1
	s_add_i32 s1, s1, s70
	s_mul_i32 s72, s61, s0
	s_mul_i32 s71, s0, s1
	s_mul_hi_u32 s73, s0, s72
	s_mul_hi_u32 s70, s0, s1
	s_add_u32 s71, s73, s71
	s_addc_u32 s70, 0, s70
	s_mul_hi_u32 s74, s69, s72
	s_mul_i32 s72, s69, s72
	s_add_u32 s71, s71, s72
	s_mul_hi_u32 s73, s69, s1
	s_addc_u32 s70, s70, s74
	s_addc_u32 s71, s73, 0
	s_mul_i32 s1, s69, s1
	s_add_u32 s1, s70, s1
	s_addc_u32 s70, 0, s71
	s_add_u32 s71, s0, s1
	s_cselect_b64 s[0:1], -1, 0
	s_cmp_lg_u64 s[0:1], 0
	s_addc_u32 s69, s69, s70
	s_mul_i32 s0, s61, s69
	s_mul_hi_u32 s1, s61, s71
	s_add_i32 s0, s1, s0
	s_mul_i32 s68, s68, s71
	s_add_i32 s0, s0, s68
	s_mul_i32 s61, s61, s71
	s_mul_hi_u32 s68, s69, s61
	s_mul_i32 s70, s69, s61
	s_mul_i32 s73, s71, s0
	s_mul_hi_u32 s61, s71, s61
	s_mul_hi_u32 s72, s71, s0
	s_add_u32 s61, s61, s73
	s_addc_u32 s72, 0, s72
	s_add_u32 s61, s61, s70
	s_mul_hi_u32 s1, s69, s0
	s_addc_u32 s61, s72, s68
	s_addc_u32 s1, s1, 0
	s_mul_i32 s0, s69, s0
	s_add_u32 s0, s61, s0
	s_addc_u32 s61, 0, s1
	s_add_u32 s68, s71, s0
	s_cselect_b64 s[0:1], -1, 0
	v_ashrrev_i32_e32 v3, 31, v17
	s_cmp_lg_u64 s[0:1], 0
	v_add_co_u32_e32 v18, vcc, v16, v3
	s_addc_u32 s61, s69, s61
	v_xor_b32_e32 v24, v18, v3
	v_mad_u64_u32 v[18:19], s[0:1], v24, s61, 0
	v_mul_hi_u32 v23, v24, s68
	v_addc_co_u32_e32 v22, vcc, v17, v3, vcc
	v_xor_b32_e32 v25, v22, v3
	v_add_co_u32_e32 v26, vcc, v23, v18
	v_addc_co_u32_e32 v27, vcc, 0, v19, vcc
	v_mad_u64_u32 v[18:19], s[0:1], v25, s68, 0
	v_mad_u64_u32 v[22:23], s[0:1], v25, s61, 0
	v_add_co_u32_e32 v18, vcc, v26, v18
	v_addc_co_u32_e32 v18, vcc, v27, v19, vcc
	v_addc_co_u32_e32 v19, vcc, 0, v23, vcc
	v_add_co_u32_e32 v22, vcc, v18, v22
	v_addc_co_u32_e32 v23, vcc, 0, v19, vcc
	v_mul_lo_u32 v26, s63, v22
	v_mul_lo_u32 v27, s62, v23
	v_mad_u64_u32 v[18:19], s[0:1], s62, v22, 0
	v_xor_b32_e32 v3, s60, v3
	v_add3_u32 v19, v19, v27, v26
	v_sub_u32_e32 v26, v25, v19
	v_mov_b32_e32 v27, s63
	v_sub_co_u32_e32 v18, vcc, v24, v18
	v_subb_co_u32_e64 v24, s[0:1], v26, v27, vcc
	v_subrev_co_u32_e64 v26, s[0:1], s62, v18
	v_subbrev_co_u32_e64 v24, s[0:1], 0, v24, s[0:1]
	v_cmp_le_u32_e64 s[0:1], s63, v24
	v_cndmask_b32_e64 v27, 0, -1, s[0:1]
	v_cmp_le_u32_e64 s[0:1], s62, v26
	v_cndmask_b32_e64 v26, 0, -1, s[0:1]
	v_cmp_eq_u32_e64 s[0:1], s63, v24
	v_cndmask_b32_e64 v24, v27, v26, s[0:1]
	v_add_co_u32_e64 v26, s[0:1], 2, v22
	v_subb_co_u32_e32 v19, vcc, v25, v19, vcc
	v_addc_co_u32_e64 v27, s[0:1], 0, v23, s[0:1]
	v_cmp_le_u32_e32 vcc, s63, v19
	v_add_co_u32_e64 v28, s[0:1], 1, v22
	v_cndmask_b32_e64 v25, 0, -1, vcc
	v_cmp_le_u32_e32 vcc, s62, v18
	v_addc_co_u32_e64 v29, s[0:1], 0, v23, s[0:1]
	v_cndmask_b32_e64 v18, 0, -1, vcc
	v_cmp_eq_u32_e32 vcc, s63, v19
	v_cmp_ne_u32_e64 s[0:1], 0, v24
	v_cndmask_b32_e32 v18, v25, v18, vcc
	v_cndmask_b32_e64 v24, v29, v27, s[0:1]
	v_cmp_ne_u32_e32 vcc, 0, v18
	v_cndmask_b32_e64 v19, v28, v26, s[0:1]
	v_cndmask_b32_e32 v18, v23, v24, vcc
	v_cndmask_b32_e32 v19, v22, v19, vcc
	v_xor_b32_e32 v22, v18, v3
	v_xor_b32_e32 v18, v19, v3
	v_sub_co_u32_e32 v18, vcc, v18, v3
	v_subb_co_u32_e32 v19, vcc, v22, v3, vcc
.LBB22_36:                              ;   in Loop: Header=BB22_22 Depth=2
	s_andn2_saveexec_b64 s[0:1], s[58:59]
	s_cbranch_execz .LBB22_21
; %bb.37:                               ;   in Loop: Header=BB22_22 Depth=2
	v_cvt_f32_u32_e32 v3, s54
	s_sub_i32 s58, 0, s54
	v_rcp_iflag_f32_e32 v3, v3
	v_mul_f32_e32 v3, 0x4f7ffffe, v3
	v_cvt_u32_f32_e32 v3, v3
	v_mul_lo_u32 v18, s58, v3
	v_mul_hi_u32 v18, v3, v18
	v_add_u32_e32 v3, v3, v18
	v_mul_hi_u32 v3, v16, v3
	v_mul_lo_u32 v18, v3, s54
	v_add_u32_e32 v19, 1, v3
	v_sub_u32_e32 v18, v16, v18
	v_subrev_u32_e32 v22, s54, v18
	v_cmp_le_u32_e32 vcc, s54, v18
	v_cndmask_b32_e32 v18, v18, v22, vcc
	v_cndmask_b32_e32 v3, v3, v19, vcc
	v_add_u32_e32 v19, 1, v3
	v_cmp_le_u32_e32 vcc, s54, v18
	v_cndmask_b32_e32 v18, v3, v19, vcc
	v_mov_b32_e32 v19, v2
	s_branch .LBB22_21
.LBB22_38:                              ;   in Loop: Header=BB22_3 Depth=1
	s_load_dwordx2 s[38:39], s[22:23], 0x0
	s_waitcnt lgkmcnt(0)
	v_cmp_gt_i64_e32 vcc, s[38:39], v[4:5]
	s_and_b64 exec, exec, vcc
	s_cbranch_execz .LBB22_2
; %bb.39:                               ;   in Loop: Header=BB22_3 Depth=1
	v_lshlrev_b64 v[8:9], 3, v[8:9]
	v_mov_b32_e32 v3, s13
	v_cmp_lt_i64_e32 vcc, s[8:9], v[6:7]
	v_add_co_u32_e64 v6, s[0:1], s12, v8
	v_addc_co_u32_e64 v7, s[0:1], v3, v9, s[0:1]
	s_and_saveexec_b64 s[0:1], vcc
	s_cbranch_execz .LBB22_41
; %bb.40:                               ;   in Loop: Header=BB22_3 Depth=1
	v_mov_b32_e32 v3, v2
	global_store_dwordx2 v[6:7], v[2:3], off
.LBB22_41:                              ;   in Loop: Header=BB22_3 Depth=1
	s_or_b64 exec, exec, s[0:1]
	v_add_co_u32_e32 v3, vcc, 1, v4
	v_addc_co_u32_e32 v4, vcc, 0, v5, vcc
	v_cmp_gt_i64_e32 vcc, s[38:39], v[3:4]
	v_sub_co_u32_e64 v3, s[0:1], v3, v20
	v_subb_co_u32_e64 v4, s[0:1], v4, v21, s[0:1]
	v_cmp_lt_i64_e64 s[0:1], s[8:9], v[3:4]
	s_and_b64 s[0:1], vcc, s[0:1]
	s_and_b64 exec, exec, s[0:1]
	s_cbranch_execz .LBB22_2
; %bb.42:                               ;   in Loop: Header=BB22_3 Depth=1
	s_lshl_b64 s[0:1], s[2:3], 3
	v_mov_b32_e32 v3, s1
	v_add_co_u32_e32 v4, vcc, s0, v6
	v_addc_co_u32_e32 v5, vcc, v7, v3, vcc
	v_mov_b32_e32 v3, v2
	global_store_dwordx2 v[4:5], v[2:3], off
	s_branch .LBB22_2
.LBB22_43:
	s_endpgm
	.section	.rodata,"a",@progbits
	.p2align	6, 0x0
	.amdhsa_kernel _ZN2at6native16triu_tril_kernelIdlLb0ELi2ELb1EEEvNS_4cuda6detail10TensorInfoIT_T0_EENS4_IKS5_S6_EEllS6_
		.amdhsa_group_segment_fixed_size 0
		.amdhsa_private_segment_fixed_size 0
		.amdhsa_kernarg_size 1112
		.amdhsa_user_sgpr_count 6
		.amdhsa_user_sgpr_private_segment_buffer 1
		.amdhsa_user_sgpr_dispatch_ptr 0
		.amdhsa_user_sgpr_queue_ptr 0
		.amdhsa_user_sgpr_kernarg_segment_ptr 1
		.amdhsa_user_sgpr_dispatch_id 0
		.amdhsa_user_sgpr_flat_scratch_init 0
		.amdhsa_user_sgpr_private_segment_size 0
		.amdhsa_uses_dynamic_stack 0
		.amdhsa_system_sgpr_private_segment_wavefront_offset 0
		.amdhsa_system_sgpr_workgroup_id_x 1
		.amdhsa_system_sgpr_workgroup_id_y 0
		.amdhsa_system_sgpr_workgroup_id_z 0
		.amdhsa_system_sgpr_workgroup_info 0
		.amdhsa_system_vgpr_workitem_id 0
		.amdhsa_next_free_vgpr 30
		.amdhsa_next_free_sgpr 75
		.amdhsa_reserve_vcc 1
		.amdhsa_reserve_flat_scratch 0
		.amdhsa_float_round_mode_32 0
		.amdhsa_float_round_mode_16_64 0
		.amdhsa_float_denorm_mode_32 3
		.amdhsa_float_denorm_mode_16_64 3
		.amdhsa_dx10_clamp 1
		.amdhsa_ieee_mode 1
		.amdhsa_fp16_overflow 0
		.amdhsa_exception_fp_ieee_invalid_op 0
		.amdhsa_exception_fp_denorm_src 0
		.amdhsa_exception_fp_ieee_div_zero 0
		.amdhsa_exception_fp_ieee_overflow 0
		.amdhsa_exception_fp_ieee_underflow 0
		.amdhsa_exception_fp_ieee_inexact 0
		.amdhsa_exception_int_div_zero 0
	.end_amdhsa_kernel
	.section	.text._ZN2at6native16triu_tril_kernelIdlLb0ELi2ELb1EEEvNS_4cuda6detail10TensorInfoIT_T0_EENS4_IKS5_S6_EEllS6_,"axG",@progbits,_ZN2at6native16triu_tril_kernelIdlLb0ELi2ELb1EEEvNS_4cuda6detail10TensorInfoIT_T0_EENS4_IKS5_S6_EEllS6_,comdat
.Lfunc_end22:
	.size	_ZN2at6native16triu_tril_kernelIdlLb0ELi2ELb1EEEvNS_4cuda6detail10TensorInfoIT_T0_EENS4_IKS5_S6_EEllS6_, .Lfunc_end22-_ZN2at6native16triu_tril_kernelIdlLb0ELi2ELb1EEEvNS_4cuda6detail10TensorInfoIT_T0_EENS4_IKS5_S6_EEllS6_
                                        ; -- End function
	.set _ZN2at6native16triu_tril_kernelIdlLb0ELi2ELb1EEEvNS_4cuda6detail10TensorInfoIT_T0_EENS4_IKS5_S6_EEllS6_.num_vgpr, 30
	.set _ZN2at6native16triu_tril_kernelIdlLb0ELi2ELb1EEEvNS_4cuda6detail10TensorInfoIT_T0_EENS4_IKS5_S6_EEllS6_.num_agpr, 0
	.set _ZN2at6native16triu_tril_kernelIdlLb0ELi2ELb1EEEvNS_4cuda6detail10TensorInfoIT_T0_EENS4_IKS5_S6_EEllS6_.numbered_sgpr, 75
	.set _ZN2at6native16triu_tril_kernelIdlLb0ELi2ELb1EEEvNS_4cuda6detail10TensorInfoIT_T0_EENS4_IKS5_S6_EEllS6_.num_named_barrier, 0
	.set _ZN2at6native16triu_tril_kernelIdlLb0ELi2ELb1EEEvNS_4cuda6detail10TensorInfoIT_T0_EENS4_IKS5_S6_EEllS6_.private_seg_size, 0
	.set _ZN2at6native16triu_tril_kernelIdlLb0ELi2ELb1EEEvNS_4cuda6detail10TensorInfoIT_T0_EENS4_IKS5_S6_EEllS6_.uses_vcc, 1
	.set _ZN2at6native16triu_tril_kernelIdlLb0ELi2ELb1EEEvNS_4cuda6detail10TensorInfoIT_T0_EENS4_IKS5_S6_EEllS6_.uses_flat_scratch, 0
	.set _ZN2at6native16triu_tril_kernelIdlLb0ELi2ELb1EEEvNS_4cuda6detail10TensorInfoIT_T0_EENS4_IKS5_S6_EEllS6_.has_dyn_sized_stack, 0
	.set _ZN2at6native16triu_tril_kernelIdlLb0ELi2ELb1EEEvNS_4cuda6detail10TensorInfoIT_T0_EENS4_IKS5_S6_EEllS6_.has_recursion, 0
	.set _ZN2at6native16triu_tril_kernelIdlLb0ELi2ELb1EEEvNS_4cuda6detail10TensorInfoIT_T0_EENS4_IKS5_S6_EEllS6_.has_indirect_call, 0
	.section	.AMDGPU.csdata,"",@progbits
; Kernel info:
; codeLenInByte = 6480
; TotalNumSgprs: 79
; NumVgprs: 30
; ScratchSize: 0
; MemoryBound: 0
; FloatMode: 240
; IeeeMode: 1
; LDSByteSize: 0 bytes/workgroup (compile time only)
; SGPRBlocks: 9
; VGPRBlocks: 7
; NumSGPRsForWavesPerEU: 79
; NumVGPRsForWavesPerEU: 30
; Occupancy: 8
; WaveLimiterHint : 0
; COMPUTE_PGM_RSRC2:SCRATCH_EN: 0
; COMPUTE_PGM_RSRC2:USER_SGPR: 6
; COMPUTE_PGM_RSRC2:TRAP_HANDLER: 0
; COMPUTE_PGM_RSRC2:TGID_X_EN: 1
; COMPUTE_PGM_RSRC2:TGID_Y_EN: 0
; COMPUTE_PGM_RSRC2:TGID_Z_EN: 0
; COMPUTE_PGM_RSRC2:TIDIG_COMP_CNT: 0
	.section	.text._ZN2at6native16triu_tril_kernelIdlLb0ELi2ELb0EEEvNS_4cuda6detail10TensorInfoIT_T0_EENS4_IKS5_S6_EEllS6_,"axG",@progbits,_ZN2at6native16triu_tril_kernelIdlLb0ELi2ELb0EEEvNS_4cuda6detail10TensorInfoIT_T0_EENS4_IKS5_S6_EEllS6_,comdat
	.protected	_ZN2at6native16triu_tril_kernelIdlLb0ELi2ELb0EEEvNS_4cuda6detail10TensorInfoIT_T0_EENS4_IKS5_S6_EEllS6_ ; -- Begin function _ZN2at6native16triu_tril_kernelIdlLb0ELi2ELb0EEEvNS_4cuda6detail10TensorInfoIT_T0_EENS4_IKS5_S6_EEllS6_
	.globl	_ZN2at6native16triu_tril_kernelIdlLb0ELi2ELb0EEEvNS_4cuda6detail10TensorInfoIT_T0_EENS4_IKS5_S6_EEllS6_
	.p2align	8
	.type	_ZN2at6native16triu_tril_kernelIdlLb0ELi2ELb0EEEvNS_4cuda6detail10TensorInfoIT_T0_EENS4_IKS5_S6_EEllS6_,@function
_ZN2at6native16triu_tril_kernelIdlLb0ELi2ELb0EEEvNS_4cuda6detail10TensorInfoIT_T0_EENS4_IKS5_S6_EEllS6_: ; @_ZN2at6native16triu_tril_kernelIdlLb0ELi2ELb0EEEvNS_4cuda6detail10TensorInfoIT_T0_EENS4_IKS5_S6_EEllS6_
; %bb.0:
	s_load_dword s2, s[4:5], 0x364
	s_load_dwordx4 s[8:11], s[4:5], 0x340
	s_add_u32 s0, s4, 0x358
	v_mov_b32_e32 v2, 0
	s_addc_u32 s1, s5, 0
	s_waitcnt lgkmcnt(0)
	s_and_b32 s7, s2, 0xffff
	v_mov_b32_e32 v1, v2
	v_mov_b32_e32 v3, s6
	v_mad_u64_u32 v[0:1], s[2:3], s7, v3, v[0:1]
	v_lshlrev_b64 v[0:1], 1, v[0:1]
	v_cmp_gt_i64_e32 vcc, s[10:11], v[0:1]
	s_and_saveexec_b64 s[2:3], vcc
	s_cbranch_execz .LBB23_38
; %bb.1:
	s_load_dword s6, s[0:1], 0x0
	s_load_dword s24, s[4:5], 0x338
	s_add_u32 s33, s4, 0x1a0
	s_addc_u32 s62, s5, 0
	s_load_dwordx2 s[2:3], s[4:5], 0x1a0
	s_waitcnt lgkmcnt(0)
	s_mul_i32 s30, s6, s7
	s_ashr_i32 s25, s24, 31
	s_lshl_b64 s[0:1], s[24:25], 3
	s_add_u32 s20, s33, s0
	s_addc_u32 s21, s62, s1
	s_add_u32 s22, s20, -8
	s_addc_u32 s23, s21, -1
	s_add_u32 s0, s4, s0
	v_cmp_gt_i64_e64 s[6:7], s[24:25], 2
	s_addc_u32 s1, s5, s1
	s_add_i32 s24, s24, -3
	s_ashr_i32 s25, s24, 31
	s_lshl_b32 s63, s30, 1
	s_bitcmp0_b32 s24, 0
	s_load_dwordx4 s[12:15], s[22:23], 0x0
	s_load_dwordx4 s[16:19], s[20:21], 0xc0
	s_cselect_b64 s[30:31], -1, 0
	s_load_dwordx4 s[20:23], s[0:1], 0xc0
	s_lshl_b64 s[0:1], s[24:25], 3
	s_add_u32 s34, s33, s0
	s_addc_u32 s35, s62, s1
	s_add_u32 s36, s4, s0
	s_addc_u32 s37, s5, s1
	s_load_dwordx2 s[26:27], s[4:5], 0x350
	s_load_dwordx2 s[28:29], s[4:5], 0x0
	s_add_u32 s38, s24, -1
	s_addc_u32 s39, s25, -1
	s_cmp_lg_u32 s24, 0
	s_cselect_b64 s[40:41], -1, 0
	s_add_u32 s64, s4, 0xc8
	s_addc_u32 s65, s5, 0
	s_mov_b64 s[4:5], 0
	s_branch .LBB23_3
.LBB23_2:                               ;   in Loop: Header=BB23_3 Depth=1
	s_or_b64 exec, exec, s[0:1]
	v_add_co_u32_e32 v0, vcc, s63, v0
	v_addc_co_u32_e32 v1, vcc, 0, v1, vcc
	v_cmp_le_i64_e32 vcc, s[10:11], v[0:1]
	s_or_b64 s[4:5], vcc, s[4:5]
	s_andn2_b64 exec, exec, s[4:5]
	s_cbranch_execz .LBB23_38
.LBB23_3:                               ; =>This Loop Header: Depth=1
                                        ;     Child Loop BB23_21 Depth 2
	s_waitcnt lgkmcnt(0)
	v_or_b32_e32 v3, s27, v1
	v_cmp_ne_u64_e32 vcc, 0, v[2:3]
                                        ; implicit-def: $vgpr6_vgpr7
	s_and_saveexec_b64 s[0:1], vcc
	s_xor_b64 s[42:43], exec, s[0:1]
	s_cbranch_execz .LBB23_5
; %bb.4:                                ;   in Loop: Header=BB23_3 Depth=1
	s_ashr_i32 s44, s27, 31
	s_add_u32 s0, s26, s44
	s_mov_b32 s45, s44
	s_addc_u32 s1, s27, s44
	s_xor_b64 s[46:47], s[0:1], s[44:45]
	v_cvt_f32_u32_e32 v3, s46
	v_cvt_f32_u32_e32 v4, s47
	s_sub_u32 s45, 0, s46
	s_subb_u32 s48, 0, s47
	v_ashrrev_i32_e32 v7, 31, v1
	v_mac_f32_e32 v3, 0x4f800000, v4
	v_rcp_f32_e32 v3, v3
	v_mul_f32_e32 v3, 0x5f7ffffc, v3
	v_mul_f32_e32 v4, 0x2f800000, v3
	v_trunc_f32_e32 v4, v4
	v_mac_f32_e32 v3, 0xcf800000, v4
	v_cvt_u32_f32_e32 v4, v4
	v_cvt_u32_f32_e32 v3, v3
	v_readfirstlane_b32 s49, v4
	v_readfirstlane_b32 s0, v3
	s_mul_i32 s1, s45, s49
	s_mul_hi_u32 s51, s45, s0
	s_mul_i32 s50, s48, s0
	s_add_i32 s1, s51, s1
	s_add_i32 s1, s1, s50
	s_mul_i32 s52, s45, s0
	s_mul_i32 s51, s0, s1
	s_mul_hi_u32 s53, s0, s52
	s_mul_hi_u32 s50, s0, s1
	s_add_u32 s51, s53, s51
	s_addc_u32 s50, 0, s50
	s_mul_hi_u32 s54, s49, s52
	s_mul_i32 s52, s49, s52
	s_add_u32 s51, s51, s52
	s_mul_hi_u32 s53, s49, s1
	s_addc_u32 s50, s50, s54
	s_addc_u32 s51, s53, 0
	s_mul_i32 s1, s49, s1
	s_add_u32 s1, s50, s1
	s_addc_u32 s50, 0, s51
	s_add_u32 s51, s0, s1
	s_cselect_b64 s[0:1], -1, 0
	s_cmp_lg_u64 s[0:1], 0
	s_addc_u32 s49, s49, s50
	s_mul_i32 s0, s45, s49
	s_mul_hi_u32 s1, s45, s51
	s_add_i32 s0, s1, s0
	s_mul_i32 s48, s48, s51
	s_add_i32 s0, s0, s48
	s_mul_i32 s45, s45, s51
	s_mul_hi_u32 s48, s49, s45
	s_mul_i32 s50, s49, s45
	s_mul_i32 s53, s51, s0
	s_mul_hi_u32 s45, s51, s45
	s_mul_hi_u32 s52, s51, s0
	s_add_u32 s45, s45, s53
	s_addc_u32 s52, 0, s52
	s_add_u32 s45, s45, s50
	s_mul_hi_u32 s1, s49, s0
	s_addc_u32 s45, s52, s48
	s_addc_u32 s1, s1, 0
	s_mul_i32 s0, s49, s0
	s_add_u32 s0, s45, s0
	s_addc_u32 s45, 0, s1
	s_add_u32 s48, s51, s0
	s_cselect_b64 s[0:1], -1, 0
	s_cmp_lg_u64 s[0:1], 0
	v_add_co_u32_e32 v3, vcc, v0, v7
	s_addc_u32 s45, s49, s45
	v_xor_b32_e32 v8, v3, v7
	v_mad_u64_u32 v[3:4], s[0:1], v8, s45, 0
	v_mul_hi_u32 v6, v8, s48
	v_addc_co_u32_e32 v5, vcc, v1, v7, vcc
	v_xor_b32_e32 v9, v5, v7
	v_add_co_u32_e32 v10, vcc, v6, v3
	v_addc_co_u32_e32 v11, vcc, 0, v4, vcc
	v_mad_u64_u32 v[3:4], s[0:1], v9, s48, 0
	v_mad_u64_u32 v[5:6], s[0:1], v9, s45, 0
	v_add_co_u32_e32 v3, vcc, v10, v3
	v_addc_co_u32_e32 v3, vcc, v11, v4, vcc
	v_addc_co_u32_e32 v4, vcc, 0, v6, vcc
	v_add_co_u32_e32 v5, vcc, v3, v5
	v_addc_co_u32_e32 v6, vcc, 0, v4, vcc
	v_mul_lo_u32 v10, s47, v5
	v_mul_lo_u32 v11, s46, v6
	v_mad_u64_u32 v[3:4], s[0:1], s46, v5, 0
	v_add3_u32 v4, v4, v11, v10
	v_sub_u32_e32 v10, v9, v4
	v_mov_b32_e32 v11, s47
	v_sub_co_u32_e32 v3, vcc, v8, v3
	v_subb_co_u32_e64 v8, s[0:1], v10, v11, vcc
	v_subrev_co_u32_e64 v10, s[0:1], s46, v3
	v_subbrev_co_u32_e64 v8, s[0:1], 0, v8, s[0:1]
	v_cmp_le_u32_e64 s[0:1], s47, v8
	v_cndmask_b32_e64 v11, 0, -1, s[0:1]
	v_cmp_le_u32_e64 s[0:1], s46, v10
	v_cndmask_b32_e64 v10, 0, -1, s[0:1]
	v_cmp_eq_u32_e64 s[0:1], s47, v8
	v_cndmask_b32_e64 v8, v11, v10, s[0:1]
	v_add_co_u32_e64 v10, s[0:1], 2, v5
	v_subb_co_u32_e32 v4, vcc, v9, v4, vcc
	v_addc_co_u32_e64 v11, s[0:1], 0, v6, s[0:1]
	v_cmp_le_u32_e32 vcc, s47, v4
	v_add_co_u32_e64 v12, s[0:1], 1, v5
	v_cndmask_b32_e64 v9, 0, -1, vcc
	v_cmp_le_u32_e32 vcc, s46, v3
	v_addc_co_u32_e64 v13, s[0:1], 0, v6, s[0:1]
	v_cndmask_b32_e64 v3, 0, -1, vcc
	v_cmp_eq_u32_e32 vcc, s47, v4
	v_cmp_ne_u32_e64 s[0:1], 0, v8
	v_cndmask_b32_e32 v3, v9, v3, vcc
	v_cmp_ne_u32_e32 vcc, 0, v3
	v_cndmask_b32_e64 v4, v12, v10, s[0:1]
	v_cndmask_b32_e64 v8, v13, v11, s[0:1]
	v_cndmask_b32_e32 v4, v5, v4, vcc
	v_xor_b32_e32 v5, s44, v7
	v_cndmask_b32_e32 v3, v6, v8, vcc
	v_xor_b32_e32 v4, v4, v5
	v_xor_b32_e32 v3, v3, v5
	v_sub_co_u32_e32 v6, vcc, v4, v5
	v_subb_co_u32_e32 v7, vcc, v3, v5, vcc
.LBB23_5:                               ;   in Loop: Header=BB23_3 Depth=1
	s_andn2_saveexec_b64 s[0:1], s[42:43]
	s_cbranch_execz .LBB23_7
; %bb.6:                                ;   in Loop: Header=BB23_3 Depth=1
	v_cvt_f32_u32_e32 v3, s26
	s_sub_i32 s42, 0, s26
	v_mov_b32_e32 v7, v2
	v_rcp_iflag_f32_e32 v3, v3
	v_mul_f32_e32 v3, 0x4f7ffffe, v3
	v_cvt_u32_f32_e32 v3, v3
	v_mul_lo_u32 v4, s42, v3
	v_mul_hi_u32 v4, v3, v4
	v_add_u32_e32 v3, v3, v4
	v_mul_hi_u32 v3, v0, v3
	v_mul_lo_u32 v4, v3, s26
	v_add_u32_e32 v5, 1, v3
	v_sub_u32_e32 v4, v0, v4
	v_subrev_u32_e32 v6, s26, v4
	v_cmp_le_u32_e32 vcc, s26, v4
	v_cndmask_b32_e32 v4, v4, v6, vcc
	v_cndmask_b32_e32 v3, v3, v5, vcc
	v_add_u32_e32 v5, 1, v3
	v_cmp_le_u32_e32 vcc, s26, v4
	v_cndmask_b32_e32 v6, v3, v5, vcc
.LBB23_7:                               ;   in Loop: Header=BB23_3 Depth=1
	s_or_b64 exec, exec, s[0:1]
	v_or_b32_e32 v3, s13, v7
	v_cmp_ne_u64_e32 vcc, 0, v[2:3]
                                        ; implicit-def: $vgpr10_vgpr11
	s_and_saveexec_b64 s[0:1], vcc
	s_xor_b64 s[42:43], exec, s[0:1]
	s_cbranch_execz .LBB23_9
; %bb.8:                                ;   in Loop: Header=BB23_3 Depth=1
	s_ashr_i32 s44, s13, 31
	s_add_u32 s0, s12, s44
	s_mov_b32 s45, s44
	s_addc_u32 s1, s13, s44
	s_xor_b64 s[46:47], s[0:1], s[44:45]
	v_cvt_f32_u32_e32 v3, s46
	v_cvt_f32_u32_e32 v4, s47
	s_sub_u32 s45, 0, s46
	s_subb_u32 s48, 0, s47
	v_ashrrev_i32_e32 v5, 31, v7
	v_mac_f32_e32 v3, 0x4f800000, v4
	v_rcp_f32_e32 v3, v3
	v_mul_f32_e32 v3, 0x5f7ffffc, v3
	v_mul_f32_e32 v4, 0x2f800000, v3
	v_trunc_f32_e32 v4, v4
	v_mac_f32_e32 v3, 0xcf800000, v4
	v_cvt_u32_f32_e32 v4, v4
	v_cvt_u32_f32_e32 v3, v3
	v_readfirstlane_b32 s49, v4
	v_readfirstlane_b32 s0, v3
	s_mul_i32 s1, s45, s49
	s_mul_hi_u32 s51, s45, s0
	s_mul_i32 s50, s48, s0
	s_add_i32 s1, s51, s1
	s_add_i32 s1, s1, s50
	s_mul_i32 s52, s45, s0
	s_mul_i32 s51, s0, s1
	s_mul_hi_u32 s53, s0, s52
	s_mul_hi_u32 s50, s0, s1
	s_add_u32 s51, s53, s51
	s_addc_u32 s50, 0, s50
	s_mul_hi_u32 s54, s49, s52
	s_mul_i32 s52, s49, s52
	s_add_u32 s51, s51, s52
	s_mul_hi_u32 s53, s49, s1
	s_addc_u32 s50, s50, s54
	s_addc_u32 s51, s53, 0
	s_mul_i32 s1, s49, s1
	s_add_u32 s1, s50, s1
	s_addc_u32 s50, 0, s51
	s_add_u32 s51, s0, s1
	s_cselect_b64 s[0:1], -1, 0
	s_cmp_lg_u64 s[0:1], 0
	s_addc_u32 s49, s49, s50
	s_mul_i32 s0, s45, s49
	s_mul_hi_u32 s1, s45, s51
	s_add_i32 s0, s1, s0
	s_mul_i32 s48, s48, s51
	s_add_i32 s0, s0, s48
	s_mul_i32 s45, s45, s51
	s_mul_hi_u32 s48, s49, s45
	s_mul_i32 s50, s49, s45
	s_mul_i32 s53, s51, s0
	s_mul_hi_u32 s45, s51, s45
	s_mul_hi_u32 s52, s51, s0
	s_add_u32 s45, s45, s53
	s_addc_u32 s52, 0, s52
	s_add_u32 s45, s45, s50
	s_mul_hi_u32 s1, s49, s0
	s_addc_u32 s45, s52, s48
	s_addc_u32 s1, s1, 0
	s_mul_i32 s0, s49, s0
	s_add_u32 s0, s45, s0
	s_addc_u32 s45, 0, s1
	s_add_u32 s48, s51, s0
	s_cselect_b64 s[0:1], -1, 0
	s_cmp_lg_u64 s[0:1], 0
	v_add_co_u32_e32 v3, vcc, v6, v5
	s_addc_u32 s45, s49, s45
	v_xor_b32_e32 v10, v3, v5
	v_mad_u64_u32 v[3:4], s[0:1], v10, s45, 0
	v_mul_hi_u32 v9, v10, s48
	v_addc_co_u32_e32 v8, vcc, v7, v5, vcc
	v_xor_b32_e32 v11, v8, v5
	v_add_co_u32_e32 v12, vcc, v9, v3
	v_addc_co_u32_e32 v13, vcc, 0, v4, vcc
	v_mad_u64_u32 v[3:4], s[0:1], v11, s48, 0
	v_mad_u64_u32 v[8:9], s[0:1], v11, s45, 0
	v_add_co_u32_e32 v3, vcc, v12, v3
	v_addc_co_u32_e32 v3, vcc, v13, v4, vcc
	v_addc_co_u32_e32 v4, vcc, 0, v9, vcc
	v_add_co_u32_e32 v8, vcc, v3, v8
	v_addc_co_u32_e32 v9, vcc, 0, v4, vcc
	v_mul_lo_u32 v12, s47, v8
	v_mul_lo_u32 v13, s46, v9
	v_mad_u64_u32 v[3:4], s[0:1], s46, v8, 0
	v_xor_b32_e32 v5, s44, v5
	v_add3_u32 v4, v4, v13, v12
	v_sub_u32_e32 v12, v11, v4
	v_mov_b32_e32 v13, s47
	v_sub_co_u32_e32 v3, vcc, v10, v3
	v_subb_co_u32_e64 v10, s[0:1], v12, v13, vcc
	v_subrev_co_u32_e64 v12, s[0:1], s46, v3
	v_subbrev_co_u32_e64 v10, s[0:1], 0, v10, s[0:1]
	v_cmp_le_u32_e64 s[0:1], s47, v10
	v_cndmask_b32_e64 v13, 0, -1, s[0:1]
	v_cmp_le_u32_e64 s[0:1], s46, v12
	v_cndmask_b32_e64 v12, 0, -1, s[0:1]
	v_cmp_eq_u32_e64 s[0:1], s47, v10
	v_cndmask_b32_e64 v10, v13, v12, s[0:1]
	v_add_co_u32_e64 v12, s[0:1], 2, v8
	v_subb_co_u32_e32 v4, vcc, v11, v4, vcc
	v_addc_co_u32_e64 v13, s[0:1], 0, v9, s[0:1]
	v_cmp_le_u32_e32 vcc, s47, v4
	v_add_co_u32_e64 v14, s[0:1], 1, v8
	v_cndmask_b32_e64 v11, 0, -1, vcc
	v_cmp_le_u32_e32 vcc, s46, v3
	v_addc_co_u32_e64 v15, s[0:1], 0, v9, s[0:1]
	v_cndmask_b32_e64 v3, 0, -1, vcc
	v_cmp_eq_u32_e32 vcc, s47, v4
	v_cmp_ne_u32_e64 s[0:1], 0, v10
	v_cndmask_b32_e32 v3, v11, v3, vcc
	v_cmp_ne_u32_e32 vcc, 0, v3
	v_cndmask_b32_e64 v4, v14, v12, s[0:1]
	v_cndmask_b32_e64 v10, v15, v13, s[0:1]
	v_cndmask_b32_e32 v4, v8, v4, vcc
	v_cndmask_b32_e32 v3, v9, v10, vcc
	v_xor_b32_e32 v4, v4, v5
	v_xor_b32_e32 v3, v3, v5
	v_sub_co_u32_e32 v10, vcc, v4, v5
	v_subb_co_u32_e32 v11, vcc, v3, v5, vcc
.LBB23_9:                               ;   in Loop: Header=BB23_3 Depth=1
	s_andn2_saveexec_b64 s[0:1], s[42:43]
	s_cbranch_execz .LBB23_11
; %bb.10:                               ;   in Loop: Header=BB23_3 Depth=1
	v_cvt_f32_u32_e32 v3, s12
	s_sub_i32 s42, 0, s12
	v_mov_b32_e32 v11, v2
	v_rcp_iflag_f32_e32 v3, v3
	v_mul_f32_e32 v3, 0x4f7ffffe, v3
	v_cvt_u32_f32_e32 v3, v3
	v_mul_lo_u32 v4, s42, v3
	v_mul_hi_u32 v4, v3, v4
	v_add_u32_e32 v3, v3, v4
	v_mul_hi_u32 v3, v6, v3
	v_mul_lo_u32 v4, v3, s12
	v_add_u32_e32 v5, 1, v3
	v_sub_u32_e32 v4, v6, v4
	v_subrev_u32_e32 v8, s12, v4
	v_cmp_le_u32_e32 vcc, s12, v4
	v_cndmask_b32_e32 v4, v4, v8, vcc
	v_cndmask_b32_e32 v3, v3, v5, vcc
	v_add_u32_e32 v5, 1, v3
	v_cmp_le_u32_e32 vcc, s12, v4
	v_cndmask_b32_e32 v10, v3, v5, vcc
.LBB23_11:                              ;   in Loop: Header=BB23_3 Depth=1
	s_or_b64 exec, exec, s[0:1]
	v_mul_lo_u32 v5, v7, s26
	v_mul_lo_u32 v8, v6, s27
	v_mad_u64_u32 v[3:4], s[0:1], v6, s26, 0
	v_mul_lo_u32 v12, v11, s12
	v_mul_lo_u32 v13, v10, s13
	v_add3_u32 v5, v4, v8, v5
	v_mad_u64_u32 v[8:9], s[0:1], v10, s12, 0
	v_sub_co_u32_e32 v4, vcc, v0, v3
	v_subb_co_u32_e32 v5, vcc, v1, v5, vcc
	v_add3_u32 v3, v9, v13, v12
	v_mul_lo_u32 v9, s19, v4
	v_mul_lo_u32 v14, s18, v5
	v_mad_u64_u32 v[12:13], s[0:1], s18, v4, 0
	v_sub_co_u32_e32 v16, vcc, v6, v8
	v_subb_co_u32_e32 v17, vcc, v7, v3, vcc
	v_add3_u32 v13, v13, v14, v9
	v_mul_lo_u32 v3, s23, v4
	v_mul_lo_u32 v14, s22, v5
	v_mad_u64_u32 v[6:7], s[0:1], s22, v4, 0
	v_mad_u64_u32 v[8:9], s[0:1], s16, v16, v[12:13]
	v_mul_lo_u32 v12, s16, v17
	v_mul_lo_u32 v13, s17, v16
	v_add3_u32 v7, v7, v14, v3
	v_mad_u64_u32 v[6:7], s[0:1], s20, v16, v[6:7]
	v_add3_u32 v9, v13, v9, v12
	v_mul_lo_u32 v3, s20, v17
	v_mul_lo_u32 v12, s21, v16
	s_andn2_b64 vcc, exec, s[6:7]
	v_add3_u32 v7, v12, v7, v3
	s_cbranch_vccnz .LBB23_29
; %bb.12:                               ;   in Loop: Header=BB23_3 Depth=1
	s_andn2_b64 vcc, exec, s[30:31]
	s_cbranch_vccnz .LBB23_18
; %bb.13:                               ;   in Loop: Header=BB23_3 Depth=1
	s_load_dwordx2 s[42:43], s[34:35], 0x8
                                        ; implicit-def: $vgpr12_vgpr13
	s_waitcnt lgkmcnt(0)
	v_or_b32_e32 v3, s43, v11
	v_cmp_ne_u64_e32 vcc, 0, v[2:3]
	s_and_saveexec_b64 s[0:1], vcc
	s_xor_b64 s[44:45], exec, s[0:1]
	s_cbranch_execz .LBB23_15
; %bb.14:                               ;   in Loop: Header=BB23_3 Depth=1
	s_ashr_i32 s46, s43, 31
	s_add_u32 s0, s42, s46
	s_mov_b32 s47, s46
	s_addc_u32 s1, s43, s46
	s_xor_b64 s[48:49], s[0:1], s[46:47]
	v_cvt_f32_u32_e32 v3, s48
	v_cvt_f32_u32_e32 v12, s49
	s_sub_u32 s47, 0, s48
	s_subb_u32 s50, 0, s49
	v_mac_f32_e32 v3, 0x4f800000, v12
	v_rcp_f32_e32 v3, v3
	v_mul_f32_e32 v3, 0x5f7ffffc, v3
	v_mul_f32_e32 v12, 0x2f800000, v3
	v_trunc_f32_e32 v12, v12
	v_mac_f32_e32 v3, 0xcf800000, v12
	v_cvt_u32_f32_e32 v12, v12
	v_cvt_u32_f32_e32 v3, v3
	v_readfirstlane_b32 s51, v12
	v_readfirstlane_b32 s0, v3
	s_mul_i32 s1, s47, s51
	s_mul_hi_u32 s53, s47, s0
	s_mul_i32 s52, s50, s0
	s_add_i32 s1, s53, s1
	s_add_i32 s1, s1, s52
	s_mul_i32 s54, s47, s0
	s_mul_i32 s53, s0, s1
	s_mul_hi_u32 s55, s0, s54
	s_mul_hi_u32 s52, s0, s1
	s_add_u32 s53, s55, s53
	s_addc_u32 s52, 0, s52
	s_mul_hi_u32 s56, s51, s54
	s_mul_i32 s54, s51, s54
	s_add_u32 s53, s53, s54
	s_mul_hi_u32 s55, s51, s1
	s_addc_u32 s52, s52, s56
	s_addc_u32 s53, s55, 0
	s_mul_i32 s1, s51, s1
	s_add_u32 s1, s52, s1
	s_addc_u32 s52, 0, s53
	s_add_u32 s53, s0, s1
	s_cselect_b64 s[0:1], -1, 0
	s_cmp_lg_u64 s[0:1], 0
	s_addc_u32 s51, s51, s52
	s_mul_i32 s0, s47, s51
	s_mul_hi_u32 s1, s47, s53
	s_add_i32 s0, s1, s0
	s_mul_i32 s50, s50, s53
	s_add_i32 s0, s0, s50
	s_mul_i32 s47, s47, s53
	s_mul_hi_u32 s50, s51, s47
	s_mul_i32 s52, s51, s47
	s_mul_i32 s55, s53, s0
	s_mul_hi_u32 s47, s53, s47
	s_mul_hi_u32 s54, s53, s0
	s_add_u32 s47, s47, s55
	s_addc_u32 s54, 0, s54
	s_add_u32 s47, s47, s52
	s_mul_hi_u32 s1, s51, s0
	s_addc_u32 s47, s54, s50
	s_addc_u32 s1, s1, 0
	s_mul_i32 s0, s51, s0
	s_add_u32 s0, s47, s0
	s_addc_u32 s47, 0, s1
	s_add_u32 s50, s53, s0
	s_cselect_b64 s[0:1], -1, 0
	v_ashrrev_i32_e32 v3, 31, v11
	s_cmp_lg_u64 s[0:1], 0
	v_add_co_u32_e32 v12, vcc, v10, v3
	s_addc_u32 s47, s51, s47
	v_xor_b32_e32 v18, v12, v3
	v_mad_u64_u32 v[12:13], s[0:1], v18, s47, 0
	v_mul_hi_u32 v15, v18, s50
	v_addc_co_u32_e32 v14, vcc, v11, v3, vcc
	v_xor_b32_e32 v19, v14, v3
	v_add_co_u32_e32 v20, vcc, v15, v12
	v_addc_co_u32_e32 v21, vcc, 0, v13, vcc
	v_mad_u64_u32 v[12:13], s[0:1], v19, s50, 0
	v_mad_u64_u32 v[14:15], s[0:1], v19, s47, 0
	v_add_co_u32_e32 v12, vcc, v20, v12
	v_addc_co_u32_e32 v12, vcc, v21, v13, vcc
	v_addc_co_u32_e32 v13, vcc, 0, v15, vcc
	v_add_co_u32_e32 v14, vcc, v12, v14
	v_addc_co_u32_e32 v15, vcc, 0, v13, vcc
	v_mul_lo_u32 v20, s49, v14
	v_mul_lo_u32 v21, s48, v15
	v_mad_u64_u32 v[12:13], s[0:1], s48, v14, 0
	v_xor_b32_e32 v3, s46, v3
	v_add3_u32 v13, v13, v21, v20
	v_sub_u32_e32 v20, v19, v13
	v_mov_b32_e32 v21, s49
	v_sub_co_u32_e32 v12, vcc, v18, v12
	v_subb_co_u32_e64 v18, s[0:1], v20, v21, vcc
	v_subrev_co_u32_e64 v20, s[0:1], s48, v12
	v_subbrev_co_u32_e64 v18, s[0:1], 0, v18, s[0:1]
	v_cmp_le_u32_e64 s[0:1], s49, v18
	v_cndmask_b32_e64 v21, 0, -1, s[0:1]
	v_cmp_le_u32_e64 s[0:1], s48, v20
	v_cndmask_b32_e64 v20, 0, -1, s[0:1]
	v_cmp_eq_u32_e64 s[0:1], s49, v18
	v_cndmask_b32_e64 v18, v21, v20, s[0:1]
	v_add_co_u32_e64 v20, s[0:1], 2, v14
	v_subb_co_u32_e32 v13, vcc, v19, v13, vcc
	v_addc_co_u32_e64 v21, s[0:1], 0, v15, s[0:1]
	v_cmp_le_u32_e32 vcc, s49, v13
	v_add_co_u32_e64 v22, s[0:1], 1, v14
	v_cndmask_b32_e64 v19, 0, -1, vcc
	v_cmp_le_u32_e32 vcc, s48, v12
	v_addc_co_u32_e64 v23, s[0:1], 0, v15, s[0:1]
	v_cndmask_b32_e64 v12, 0, -1, vcc
	v_cmp_eq_u32_e32 vcc, s49, v13
	v_cmp_ne_u32_e64 s[0:1], 0, v18
	v_cndmask_b32_e32 v12, v19, v12, vcc
	v_cndmask_b32_e64 v18, v23, v21, s[0:1]
	v_cmp_ne_u32_e32 vcc, 0, v12
	v_cndmask_b32_e64 v13, v22, v20, s[0:1]
	v_cndmask_b32_e32 v12, v15, v18, vcc
	v_cndmask_b32_e32 v13, v14, v13, vcc
	v_xor_b32_e32 v14, v12, v3
	v_xor_b32_e32 v12, v13, v3
	v_sub_co_u32_e32 v12, vcc, v12, v3
	v_subb_co_u32_e32 v13, vcc, v14, v3, vcc
.LBB23_15:                              ;   in Loop: Header=BB23_3 Depth=1
	s_andn2_saveexec_b64 s[0:1], s[44:45]
	s_cbranch_execz .LBB23_17
; %bb.16:                               ;   in Loop: Header=BB23_3 Depth=1
	v_cvt_f32_u32_e32 v3, s42
	s_sub_i32 s44, 0, s42
	v_rcp_iflag_f32_e32 v3, v3
	v_mul_f32_e32 v3, 0x4f7ffffe, v3
	v_cvt_u32_f32_e32 v3, v3
	v_mul_lo_u32 v12, s44, v3
	v_mul_hi_u32 v12, v3, v12
	v_add_u32_e32 v3, v3, v12
	v_mul_hi_u32 v3, v10, v3
	v_mul_lo_u32 v12, v3, s42
	v_add_u32_e32 v13, 1, v3
	v_sub_u32_e32 v12, v10, v12
	v_subrev_u32_e32 v14, s42, v12
	v_cmp_le_u32_e32 vcc, s42, v12
	v_cndmask_b32_e32 v12, v12, v14, vcc
	v_cndmask_b32_e32 v3, v3, v13, vcc
	v_add_u32_e32 v13, 1, v3
	v_cmp_le_u32_e32 vcc, s42, v12
	v_cndmask_b32_e32 v12, v3, v13, vcc
	v_mov_b32_e32 v13, v2
.LBB23_17:                              ;   in Loop: Header=BB23_3 Depth=1
	s_or_b64 exec, exec, s[0:1]
	v_mul_lo_u32 v3, v13, s42
	v_mul_lo_u32 v18, v12, s43
	v_mad_u64_u32 v[14:15], s[0:1], v12, s42, 0
	s_load_dwordx2 s[0:1], s[34:35], 0xd0
	s_load_dwordx2 s[42:43], s[36:37], 0xd0
	v_add3_u32 v3, v15, v18, v3
	v_sub_co_u32_e32 v10, vcc, v10, v14
	v_subb_co_u32_e32 v3, vcc, v11, v3, vcc
	s_waitcnt lgkmcnt(0)
	v_mul_lo_u32 v11, s0, v3
	v_mul_lo_u32 v14, s1, v10
	v_mad_u64_u32 v[8:9], s[0:1], s0, v10, v[8:9]
	v_mul_lo_u32 v3, s42, v3
	v_mul_lo_u32 v15, s43, v10
	v_mad_u64_u32 v[6:7], s[0:1], s42, v10, v[6:7]
	v_add3_u32 v9, v14, v9, v11
	v_mov_b32_e32 v10, v12
	v_add3_u32 v7, v15, v7, v3
	v_mov_b32_e32 v11, v13
	s_mov_b64 s[0:1], s[38:39]
	s_andn2_b64 vcc, exec, s[40:41]
	s_cbranch_vccz .LBB23_19
	s_branch .LBB23_29
.LBB23_18:                              ;   in Loop: Header=BB23_3 Depth=1
	s_mov_b64 s[0:1], s[24:25]
	s_andn2_b64 vcc, exec, s[40:41]
	s_cbranch_vccnz .LBB23_29
.LBB23_19:                              ;   in Loop: Header=BB23_3 Depth=1
	s_lshl_b64 s[44:45], s[0:1], 3
	s_add_u32 s42, s64, s44
	s_addc_u32 s43, s65, s45
	s_add_u32 s44, s33, s44
	s_addc_u32 s45, s62, s45
	;; [unrolled: 2-line block ×3, first 2 shown]
	s_branch .LBB23_21
.LBB23_20:                              ;   in Loop: Header=BB23_21 Depth=2
	s_or_b64 exec, exec, s[0:1]
	v_mul_lo_u32 v3, v13, s48
	v_mul_lo_u32 v20, v12, s49
	v_mad_u64_u32 v[18:19], s[0:1], v12, s48, 0
	v_mul_lo_u32 v21, v15, s50
	v_mul_lo_u32 v22, v14, s51
	v_add3_u32 v3, v19, v20, v3
	v_sub_co_u32_e32 v10, vcc, v10, v18
	v_subb_co_u32_e32 v3, vcc, v11, v3, vcc
	v_mul_lo_u32 v18, s54, v3
	v_mul_lo_u32 v19, s55, v10
	v_mad_u64_u32 v[8:9], s[0:1], s54, v10, v[8:9]
	v_mul_lo_u32 v3, s52, v3
	v_mul_lo_u32 v20, s53, v10
	v_mad_u64_u32 v[6:7], s[0:1], s52, v10, v[6:7]
	v_mad_u64_u32 v[10:11], s[0:1], v14, s50, 0
	s_load_dwordx2 s[0:1], s[44:45], 0xc8
	s_load_dwordx2 s[48:49], s[42:43], 0x0
	v_add3_u32 v7, v20, v7, v3
	v_add3_u32 v3, v11, v22, v21
	v_sub_co_u32_e32 v10, vcc, v12, v10
	v_add3_u32 v9, v19, v9, v18
	v_subb_co_u32_e32 v3, vcc, v13, v3, vcc
	s_add_u32 s42, s42, -16
	s_waitcnt lgkmcnt(0)
	v_mad_u64_u32 v[8:9], s[50:51], s0, v10, v[8:9]
	v_mul_lo_u32 v11, s0, v3
	v_mul_lo_u32 v12, s1, v10
	v_mad_u64_u32 v[6:7], s[0:1], s48, v10, v[6:7]
	v_mul_lo_u32 v3, s48, v3
	v_mul_lo_u32 v10, s49, v10
	s_addc_u32 s43, s43, -1
	s_add_u32 s44, s44, -16
	s_addc_u32 s45, s45, -1
	s_add_u32 s46, s46, -2
	v_add3_u32 v9, v12, v9, v11
	v_add3_u32 v7, v10, v7, v3
	s_addc_u32 s47, s47, -1
	v_mov_b32_e32 v10, v14
	s_cmp_eq_u64 s[46:47], 0
	v_mov_b32_e32 v11, v15
	s_cbranch_scc1 .LBB23_29
.LBB23_21:                              ;   Parent Loop BB23_3 Depth=1
                                        ; =>  This Inner Loop Header: Depth=2
	s_load_dwordx2 s[48:49], s[44:45], 0x8
                                        ; implicit-def: $vgpr12_vgpr13
	s_waitcnt lgkmcnt(0)
	v_or_b32_e32 v3, s49, v11
	v_cmp_ne_u64_e32 vcc, 0, v[2:3]
	s_and_saveexec_b64 s[0:1], vcc
	s_xor_b64 s[50:51], exec, s[0:1]
	s_cbranch_execz .LBB23_23
; %bb.22:                               ;   in Loop: Header=BB23_21 Depth=2
	s_ashr_i32 s52, s49, 31
	s_add_u32 s0, s48, s52
	s_mov_b32 s53, s52
	s_addc_u32 s1, s49, s52
	s_xor_b64 s[54:55], s[0:1], s[52:53]
	v_cvt_f32_u32_e32 v3, s54
	v_cvt_f32_u32_e32 v12, s55
	s_sub_u32 s53, 0, s54
	s_subb_u32 s56, 0, s55
	v_mac_f32_e32 v3, 0x4f800000, v12
	v_rcp_f32_e32 v3, v3
	v_mul_f32_e32 v3, 0x5f7ffffc, v3
	v_mul_f32_e32 v12, 0x2f800000, v3
	v_trunc_f32_e32 v12, v12
	v_mac_f32_e32 v3, 0xcf800000, v12
	v_cvt_u32_f32_e32 v12, v12
	v_cvt_u32_f32_e32 v3, v3
	v_readfirstlane_b32 s57, v12
	v_readfirstlane_b32 s0, v3
	s_mul_i32 s1, s53, s57
	s_mul_hi_u32 s59, s53, s0
	s_mul_i32 s58, s56, s0
	s_add_i32 s1, s59, s1
	s_add_i32 s1, s1, s58
	s_mul_i32 s60, s53, s0
	s_mul_i32 s59, s0, s1
	s_mul_hi_u32 s61, s0, s60
	s_mul_hi_u32 s58, s0, s1
	s_add_u32 s59, s61, s59
	s_addc_u32 s58, 0, s58
	s_mul_hi_u32 s66, s57, s60
	s_mul_i32 s60, s57, s60
	s_add_u32 s59, s59, s60
	s_mul_hi_u32 s61, s57, s1
	s_addc_u32 s58, s58, s66
	s_addc_u32 s59, s61, 0
	s_mul_i32 s1, s57, s1
	s_add_u32 s1, s58, s1
	s_addc_u32 s58, 0, s59
	s_add_u32 s59, s0, s1
	s_cselect_b64 s[0:1], -1, 0
	s_cmp_lg_u64 s[0:1], 0
	s_addc_u32 s57, s57, s58
	s_mul_i32 s0, s53, s57
	s_mul_hi_u32 s1, s53, s59
	s_add_i32 s0, s1, s0
	s_mul_i32 s56, s56, s59
	s_add_i32 s0, s0, s56
	s_mul_i32 s53, s53, s59
	s_mul_hi_u32 s56, s57, s53
	s_mul_i32 s58, s57, s53
	s_mul_i32 s61, s59, s0
	s_mul_hi_u32 s53, s59, s53
	s_mul_hi_u32 s60, s59, s0
	s_add_u32 s53, s53, s61
	s_addc_u32 s60, 0, s60
	s_add_u32 s53, s53, s58
	s_mul_hi_u32 s1, s57, s0
	s_addc_u32 s53, s60, s56
	s_addc_u32 s1, s1, 0
	s_mul_i32 s0, s57, s0
	s_add_u32 s0, s53, s0
	s_addc_u32 s53, 0, s1
	s_add_u32 s56, s59, s0
	s_cselect_b64 s[0:1], -1, 0
	v_ashrrev_i32_e32 v3, 31, v11
	s_cmp_lg_u64 s[0:1], 0
	v_add_co_u32_e32 v12, vcc, v10, v3
	s_addc_u32 s53, s57, s53
	v_xor_b32_e32 v18, v12, v3
	v_mad_u64_u32 v[12:13], s[0:1], v18, s53, 0
	v_mul_hi_u32 v15, v18, s56
	v_addc_co_u32_e32 v14, vcc, v11, v3, vcc
	v_xor_b32_e32 v19, v14, v3
	v_add_co_u32_e32 v20, vcc, v15, v12
	v_addc_co_u32_e32 v21, vcc, 0, v13, vcc
	v_mad_u64_u32 v[12:13], s[0:1], v19, s56, 0
	v_mad_u64_u32 v[14:15], s[0:1], v19, s53, 0
	v_add_co_u32_e32 v12, vcc, v20, v12
	v_addc_co_u32_e32 v12, vcc, v21, v13, vcc
	v_addc_co_u32_e32 v13, vcc, 0, v15, vcc
	v_add_co_u32_e32 v14, vcc, v12, v14
	v_addc_co_u32_e32 v15, vcc, 0, v13, vcc
	v_mul_lo_u32 v20, s55, v14
	v_mul_lo_u32 v21, s54, v15
	v_mad_u64_u32 v[12:13], s[0:1], s54, v14, 0
	v_xor_b32_e32 v3, s52, v3
	v_add3_u32 v13, v13, v21, v20
	v_sub_u32_e32 v20, v19, v13
	v_mov_b32_e32 v21, s55
	v_sub_co_u32_e32 v12, vcc, v18, v12
	v_subb_co_u32_e64 v18, s[0:1], v20, v21, vcc
	v_subrev_co_u32_e64 v20, s[0:1], s54, v12
	v_subbrev_co_u32_e64 v18, s[0:1], 0, v18, s[0:1]
	v_cmp_le_u32_e64 s[0:1], s55, v18
	v_cndmask_b32_e64 v21, 0, -1, s[0:1]
	v_cmp_le_u32_e64 s[0:1], s54, v20
	v_cndmask_b32_e64 v20, 0, -1, s[0:1]
	v_cmp_eq_u32_e64 s[0:1], s55, v18
	v_cndmask_b32_e64 v18, v21, v20, s[0:1]
	v_add_co_u32_e64 v20, s[0:1], 2, v14
	v_subb_co_u32_e32 v13, vcc, v19, v13, vcc
	v_addc_co_u32_e64 v21, s[0:1], 0, v15, s[0:1]
	v_cmp_le_u32_e32 vcc, s55, v13
	v_add_co_u32_e64 v22, s[0:1], 1, v14
	v_cndmask_b32_e64 v19, 0, -1, vcc
	v_cmp_le_u32_e32 vcc, s54, v12
	v_addc_co_u32_e64 v23, s[0:1], 0, v15, s[0:1]
	v_cndmask_b32_e64 v12, 0, -1, vcc
	v_cmp_eq_u32_e32 vcc, s55, v13
	v_cmp_ne_u32_e64 s[0:1], 0, v18
	v_cndmask_b32_e32 v12, v19, v12, vcc
	v_cndmask_b32_e64 v18, v23, v21, s[0:1]
	v_cmp_ne_u32_e32 vcc, 0, v12
	v_cndmask_b32_e64 v13, v22, v20, s[0:1]
	v_cndmask_b32_e32 v12, v15, v18, vcc
	v_cndmask_b32_e32 v13, v14, v13, vcc
	v_xor_b32_e32 v14, v12, v3
	v_xor_b32_e32 v12, v13, v3
	v_sub_co_u32_e32 v12, vcc, v12, v3
	v_subb_co_u32_e32 v13, vcc, v14, v3, vcc
.LBB23_23:                              ;   in Loop: Header=BB23_21 Depth=2
	s_andn2_saveexec_b64 s[0:1], s[50:51]
	s_cbranch_execz .LBB23_25
; %bb.24:                               ;   in Loop: Header=BB23_21 Depth=2
	v_cvt_f32_u32_e32 v3, s48
	s_sub_i32 s50, 0, s48
	v_rcp_iflag_f32_e32 v3, v3
	v_mul_f32_e32 v3, 0x4f7ffffe, v3
	v_cvt_u32_f32_e32 v3, v3
	v_mul_lo_u32 v12, s50, v3
	v_mul_hi_u32 v12, v3, v12
	v_add_u32_e32 v3, v3, v12
	v_mul_hi_u32 v3, v10, v3
	v_mul_lo_u32 v12, v3, s48
	v_add_u32_e32 v13, 1, v3
	v_sub_u32_e32 v12, v10, v12
	v_subrev_u32_e32 v14, s48, v12
	v_cmp_le_u32_e32 vcc, s48, v12
	v_cndmask_b32_e32 v12, v12, v14, vcc
	v_cndmask_b32_e32 v3, v3, v13, vcc
	v_add_u32_e32 v13, 1, v3
	v_cmp_le_u32_e32 vcc, s48, v12
	v_cndmask_b32_e32 v12, v3, v13, vcc
	v_mov_b32_e32 v13, v2
.LBB23_25:                              ;   in Loop: Header=BB23_21 Depth=2
	s_or_b64 exec, exec, s[0:1]
	s_load_dwordx2 s[50:51], s[44:45], 0x0
	s_load_dwordx2 s[54:55], s[44:45], 0xd0
	;; [unrolled: 1-line block ×3, first 2 shown]
                                        ; implicit-def: $vgpr14_vgpr15
	s_waitcnt lgkmcnt(0)
	v_or_b32_e32 v3, s51, v13
	v_cmp_ne_u64_e32 vcc, 0, v[2:3]
	s_and_saveexec_b64 s[0:1], vcc
	s_xor_b64 s[56:57], exec, s[0:1]
	s_cbranch_execz .LBB23_27
; %bb.26:                               ;   in Loop: Header=BB23_21 Depth=2
	s_ashr_i32 s58, s51, 31
	s_add_u32 s0, s50, s58
	s_mov_b32 s59, s58
	s_addc_u32 s1, s51, s58
	s_xor_b64 s[60:61], s[0:1], s[58:59]
	v_cvt_f32_u32_e32 v3, s60
	v_cvt_f32_u32_e32 v14, s61
	s_sub_u32 s59, 0, s60
	s_subb_u32 s66, 0, s61
	v_mac_f32_e32 v3, 0x4f800000, v14
	v_rcp_f32_e32 v3, v3
	v_mul_f32_e32 v3, 0x5f7ffffc, v3
	v_mul_f32_e32 v14, 0x2f800000, v3
	v_trunc_f32_e32 v14, v14
	v_mac_f32_e32 v3, 0xcf800000, v14
	v_cvt_u32_f32_e32 v14, v14
	v_cvt_u32_f32_e32 v3, v3
	v_readfirstlane_b32 s67, v14
	v_readfirstlane_b32 s0, v3
	s_mul_i32 s1, s59, s67
	s_mul_hi_u32 s69, s59, s0
	s_mul_i32 s68, s66, s0
	s_add_i32 s1, s69, s1
	s_add_i32 s1, s1, s68
	s_mul_i32 s70, s59, s0
	s_mul_i32 s69, s0, s1
	s_mul_hi_u32 s71, s0, s70
	s_mul_hi_u32 s68, s0, s1
	s_add_u32 s69, s71, s69
	s_addc_u32 s68, 0, s68
	s_mul_hi_u32 s72, s67, s70
	s_mul_i32 s70, s67, s70
	s_add_u32 s69, s69, s70
	s_mul_hi_u32 s71, s67, s1
	s_addc_u32 s68, s68, s72
	s_addc_u32 s69, s71, 0
	s_mul_i32 s1, s67, s1
	s_add_u32 s1, s68, s1
	s_addc_u32 s68, 0, s69
	s_add_u32 s69, s0, s1
	s_cselect_b64 s[0:1], -1, 0
	s_cmp_lg_u64 s[0:1], 0
	s_addc_u32 s67, s67, s68
	s_mul_i32 s0, s59, s67
	s_mul_hi_u32 s1, s59, s69
	s_add_i32 s0, s1, s0
	s_mul_i32 s66, s66, s69
	s_add_i32 s0, s0, s66
	s_mul_i32 s59, s59, s69
	s_mul_hi_u32 s66, s67, s59
	s_mul_i32 s68, s67, s59
	s_mul_i32 s71, s69, s0
	s_mul_hi_u32 s59, s69, s59
	s_mul_hi_u32 s70, s69, s0
	s_add_u32 s59, s59, s71
	s_addc_u32 s70, 0, s70
	s_add_u32 s59, s59, s68
	s_mul_hi_u32 s1, s67, s0
	s_addc_u32 s59, s70, s66
	s_addc_u32 s1, s1, 0
	s_mul_i32 s0, s67, s0
	s_add_u32 s0, s59, s0
	s_addc_u32 s59, 0, s1
	s_add_u32 s66, s69, s0
	s_cselect_b64 s[0:1], -1, 0
	v_ashrrev_i32_e32 v3, 31, v13
	s_cmp_lg_u64 s[0:1], 0
	v_add_co_u32_e32 v14, vcc, v12, v3
	s_addc_u32 s59, s67, s59
	v_xor_b32_e32 v20, v14, v3
	v_mad_u64_u32 v[14:15], s[0:1], v20, s59, 0
	v_mul_hi_u32 v19, v20, s66
	v_addc_co_u32_e32 v18, vcc, v13, v3, vcc
	v_xor_b32_e32 v21, v18, v3
	v_add_co_u32_e32 v22, vcc, v19, v14
	v_addc_co_u32_e32 v23, vcc, 0, v15, vcc
	v_mad_u64_u32 v[14:15], s[0:1], v21, s66, 0
	v_mad_u64_u32 v[18:19], s[0:1], v21, s59, 0
	v_add_co_u32_e32 v14, vcc, v22, v14
	v_addc_co_u32_e32 v14, vcc, v23, v15, vcc
	v_addc_co_u32_e32 v15, vcc, 0, v19, vcc
	v_add_co_u32_e32 v18, vcc, v14, v18
	v_addc_co_u32_e32 v19, vcc, 0, v15, vcc
	v_mul_lo_u32 v22, s61, v18
	v_mul_lo_u32 v23, s60, v19
	v_mad_u64_u32 v[14:15], s[0:1], s60, v18, 0
	v_xor_b32_e32 v3, s58, v3
	v_add3_u32 v15, v15, v23, v22
	v_sub_u32_e32 v22, v21, v15
	v_mov_b32_e32 v23, s61
	v_sub_co_u32_e32 v14, vcc, v20, v14
	v_subb_co_u32_e64 v20, s[0:1], v22, v23, vcc
	v_subrev_co_u32_e64 v22, s[0:1], s60, v14
	v_subbrev_co_u32_e64 v20, s[0:1], 0, v20, s[0:1]
	v_cmp_le_u32_e64 s[0:1], s61, v20
	v_cndmask_b32_e64 v23, 0, -1, s[0:1]
	v_cmp_le_u32_e64 s[0:1], s60, v22
	v_cndmask_b32_e64 v22, 0, -1, s[0:1]
	v_cmp_eq_u32_e64 s[0:1], s61, v20
	v_cndmask_b32_e64 v20, v23, v22, s[0:1]
	v_add_co_u32_e64 v22, s[0:1], 2, v18
	v_subb_co_u32_e32 v15, vcc, v21, v15, vcc
	v_addc_co_u32_e64 v23, s[0:1], 0, v19, s[0:1]
	v_cmp_le_u32_e32 vcc, s61, v15
	v_add_co_u32_e64 v24, s[0:1], 1, v18
	v_cndmask_b32_e64 v21, 0, -1, vcc
	v_cmp_le_u32_e32 vcc, s60, v14
	v_addc_co_u32_e64 v25, s[0:1], 0, v19, s[0:1]
	v_cndmask_b32_e64 v14, 0, -1, vcc
	v_cmp_eq_u32_e32 vcc, s61, v15
	v_cmp_ne_u32_e64 s[0:1], 0, v20
	v_cndmask_b32_e32 v14, v21, v14, vcc
	v_cndmask_b32_e64 v20, v25, v23, s[0:1]
	v_cmp_ne_u32_e32 vcc, 0, v14
	v_cndmask_b32_e64 v15, v24, v22, s[0:1]
	v_cndmask_b32_e32 v14, v19, v20, vcc
	v_cndmask_b32_e32 v15, v18, v15, vcc
	v_xor_b32_e32 v18, v14, v3
	v_xor_b32_e32 v14, v15, v3
	v_sub_co_u32_e32 v14, vcc, v14, v3
	v_subb_co_u32_e32 v15, vcc, v18, v3, vcc
.LBB23_27:                              ;   in Loop: Header=BB23_21 Depth=2
	s_andn2_saveexec_b64 s[0:1], s[56:57]
	s_cbranch_execz .LBB23_20
; %bb.28:                               ;   in Loop: Header=BB23_21 Depth=2
	v_cvt_f32_u32_e32 v3, s50
	s_sub_i32 s56, 0, s50
	v_rcp_iflag_f32_e32 v3, v3
	v_mul_f32_e32 v3, 0x4f7ffffe, v3
	v_cvt_u32_f32_e32 v3, v3
	v_mul_lo_u32 v14, s56, v3
	v_mul_hi_u32 v14, v3, v14
	v_add_u32_e32 v3, v3, v14
	v_mul_hi_u32 v3, v12, v3
	v_mul_lo_u32 v14, v3, s50
	v_add_u32_e32 v15, 1, v3
	v_sub_u32_e32 v14, v12, v14
	v_subrev_u32_e32 v18, s50, v14
	v_cmp_le_u32_e32 vcc, s50, v14
	v_cndmask_b32_e32 v14, v14, v18, vcc
	v_cndmask_b32_e32 v3, v3, v15, vcc
	v_add_u32_e32 v15, 1, v3
	v_cmp_le_u32_e32 vcc, s50, v14
	v_cndmask_b32_e32 v14, v3, v15, vcc
	v_mov_b32_e32 v15, v2
	s_branch .LBB23_20
.LBB23_29:                              ;   in Loop: Header=BB23_3 Depth=1
	v_sub_co_u32_e32 v12, vcc, v4, v16
	v_subb_co_u32_e32 v13, vcc, v5, v17, vcc
	v_cmp_ge_i64_e32 vcc, s[8:9], v[12:13]
	v_mov_b32_e32 v14, 0
	v_mov_b32_e32 v10, 0
	;; [unrolled: 1-line block ×4, first 2 shown]
	s_and_saveexec_b64 s[0:1], vcc
	s_cbranch_execz .LBB23_35
; %bb.30:                               ;   in Loop: Header=BB23_3 Depth=1
	v_cmp_gt_i64_e32 vcc, s[14:15], v[4:5]
	v_mov_b32_e32 v10, 0
	v_mov_b32_e32 v14, 0
	;; [unrolled: 1-line block ×4, first 2 shown]
	s_and_saveexec_b64 s[42:43], vcc
	s_cbranch_execz .LBB23_34
; %bb.31:                               ;   in Loop: Header=BB23_3 Depth=1
	v_lshlrev_b64 v[8:9], 3, v[8:9]
	v_mov_b32_e32 v3, s3
	v_add_co_u32_e32 v8, vcc, s2, v8
	v_addc_co_u32_e32 v9, vcc, v3, v9, vcc
	global_load_dwordx2 v[10:11], v[8:9], off
	v_add_co_u32_e32 v14, vcc, 1, v4
	v_addc_co_u32_e32 v15, vcc, 0, v5, vcc
	v_cmp_gt_i64_e32 vcc, s[14:15], v[14:15]
	v_mov_b32_e32 v14, 0
	v_mov_b32_e32 v15, 0
	s_and_saveexec_b64 s[44:45], vcc
	s_xor_b64 s[44:45], exec, s[44:45]
	s_cbranch_execz .LBB23_33
; %bb.32:                               ;   in Loop: Header=BB23_3 Depth=1
	s_lshl_b64 s[46:47], s[18:19], 3
	v_mov_b32_e32 v3, s47
	v_add_co_u32_e32 v8, vcc, s46, v8
	v_addc_co_u32_e32 v9, vcc, v9, v3, vcc
	global_load_dwordx2 v[14:15], v[8:9], off
.LBB23_33:                              ;   in Loop: Header=BB23_3 Depth=1
	s_or_b64 exec, exec, s[44:45]
.LBB23_34:                              ;   in Loop: Header=BB23_3 Depth=1
	s_or_b64 exec, exec, s[42:43]
	v_add_co_u32_e32 v8, vcc, 1, v12
	v_addc_co_u32_e32 v9, vcc, 0, v13, vcc
	v_cmp_ge_i64_e32 vcc, s[8:9], v[8:9]
	s_waitcnt vmcnt(0)
	v_cndmask_b32_e32 v15, 0, v15, vcc
	v_cndmask_b32_e32 v14, 0, v14, vcc
.LBB23_35:                              ;   in Loop: Header=BB23_3 Depth=1
	s_or_b64 exec, exec, s[0:1]
	v_cmp_gt_i64_e32 vcc, s[14:15], v[4:5]
	s_and_saveexec_b64 s[0:1], vcc
	s_cbranch_execz .LBB23_2
; %bb.36:                               ;   in Loop: Header=BB23_3 Depth=1
	v_lshlrev_b64 v[6:7], 3, v[6:7]
	v_mov_b32_e32 v3, s29
	v_add_co_u32_e32 v6, vcc, s28, v6
	v_addc_co_u32_e32 v7, vcc, v3, v7, vcc
	v_add_co_u32_e32 v3, vcc, 1, v4
	v_addc_co_u32_e32 v4, vcc, 0, v5, vcc
	v_cmp_gt_i64_e32 vcc, s[14:15], v[3:4]
	global_store_dwordx2 v[6:7], v[10:11], off
	s_and_saveexec_b64 s[42:43], vcc
	s_xor_b64 s[42:43], exec, s[42:43]
	s_cbranch_execz .LBB23_2
; %bb.37:                               ;   in Loop: Header=BB23_3 Depth=1
	s_lshl_b64 s[42:43], s[22:23], 3
	v_mov_b32_e32 v4, s43
	v_add_co_u32_e32 v3, vcc, s42, v6
	v_addc_co_u32_e32 v4, vcc, v7, v4, vcc
	global_store_dwordx2 v[3:4], v[14:15], off
	s_branch .LBB23_2
.LBB23_38:
	s_endpgm
	.section	.rodata,"a",@progbits
	.p2align	6, 0x0
	.amdhsa_kernel _ZN2at6native16triu_tril_kernelIdlLb0ELi2ELb0EEEvNS_4cuda6detail10TensorInfoIT_T0_EENS4_IKS5_S6_EEllS6_
		.amdhsa_group_segment_fixed_size 0
		.amdhsa_private_segment_fixed_size 0
		.amdhsa_kernarg_size 1112
		.amdhsa_user_sgpr_count 6
		.amdhsa_user_sgpr_private_segment_buffer 1
		.amdhsa_user_sgpr_dispatch_ptr 0
		.amdhsa_user_sgpr_queue_ptr 0
		.amdhsa_user_sgpr_kernarg_segment_ptr 1
		.amdhsa_user_sgpr_dispatch_id 0
		.amdhsa_user_sgpr_flat_scratch_init 0
		.amdhsa_user_sgpr_private_segment_size 0
		.amdhsa_uses_dynamic_stack 0
		.amdhsa_system_sgpr_private_segment_wavefront_offset 0
		.amdhsa_system_sgpr_workgroup_id_x 1
		.amdhsa_system_sgpr_workgroup_id_y 0
		.amdhsa_system_sgpr_workgroup_id_z 0
		.amdhsa_system_sgpr_workgroup_info 0
		.amdhsa_system_vgpr_workitem_id 0
		.amdhsa_next_free_vgpr 26
		.amdhsa_next_free_sgpr 73
		.amdhsa_reserve_vcc 1
		.amdhsa_reserve_flat_scratch 0
		.amdhsa_float_round_mode_32 0
		.amdhsa_float_round_mode_16_64 0
		.amdhsa_float_denorm_mode_32 3
		.amdhsa_float_denorm_mode_16_64 3
		.amdhsa_dx10_clamp 1
		.amdhsa_ieee_mode 1
		.amdhsa_fp16_overflow 0
		.amdhsa_exception_fp_ieee_invalid_op 0
		.amdhsa_exception_fp_denorm_src 0
		.amdhsa_exception_fp_ieee_div_zero 0
		.amdhsa_exception_fp_ieee_overflow 0
		.amdhsa_exception_fp_ieee_underflow 0
		.amdhsa_exception_fp_ieee_inexact 0
		.amdhsa_exception_int_div_zero 0
	.end_amdhsa_kernel
	.section	.text._ZN2at6native16triu_tril_kernelIdlLb0ELi2ELb0EEEvNS_4cuda6detail10TensorInfoIT_T0_EENS4_IKS5_S6_EEllS6_,"axG",@progbits,_ZN2at6native16triu_tril_kernelIdlLb0ELi2ELb0EEEvNS_4cuda6detail10TensorInfoIT_T0_EENS4_IKS5_S6_EEllS6_,comdat
.Lfunc_end23:
	.size	_ZN2at6native16triu_tril_kernelIdlLb0ELi2ELb0EEEvNS_4cuda6detail10TensorInfoIT_T0_EENS4_IKS5_S6_EEllS6_, .Lfunc_end23-_ZN2at6native16triu_tril_kernelIdlLb0ELi2ELb0EEEvNS_4cuda6detail10TensorInfoIT_T0_EENS4_IKS5_S6_EEllS6_
                                        ; -- End function
	.set _ZN2at6native16triu_tril_kernelIdlLb0ELi2ELb0EEEvNS_4cuda6detail10TensorInfoIT_T0_EENS4_IKS5_S6_EEllS6_.num_vgpr, 26
	.set _ZN2at6native16triu_tril_kernelIdlLb0ELi2ELb0EEEvNS_4cuda6detail10TensorInfoIT_T0_EENS4_IKS5_S6_EEllS6_.num_agpr, 0
	.set _ZN2at6native16triu_tril_kernelIdlLb0ELi2ELb0EEEvNS_4cuda6detail10TensorInfoIT_T0_EENS4_IKS5_S6_EEllS6_.numbered_sgpr, 73
	.set _ZN2at6native16triu_tril_kernelIdlLb0ELi2ELb0EEEvNS_4cuda6detail10TensorInfoIT_T0_EENS4_IKS5_S6_EEllS6_.num_named_barrier, 0
	.set _ZN2at6native16triu_tril_kernelIdlLb0ELi2ELb0EEEvNS_4cuda6detail10TensorInfoIT_T0_EENS4_IKS5_S6_EEllS6_.private_seg_size, 0
	.set _ZN2at6native16triu_tril_kernelIdlLb0ELi2ELb0EEEvNS_4cuda6detail10TensorInfoIT_T0_EENS4_IKS5_S6_EEllS6_.uses_vcc, 1
	.set _ZN2at6native16triu_tril_kernelIdlLb0ELi2ELb0EEEvNS_4cuda6detail10TensorInfoIT_T0_EENS4_IKS5_S6_EEllS6_.uses_flat_scratch, 0
	.set _ZN2at6native16triu_tril_kernelIdlLb0ELi2ELb0EEEvNS_4cuda6detail10TensorInfoIT_T0_EENS4_IKS5_S6_EEllS6_.has_dyn_sized_stack, 0
	.set _ZN2at6native16triu_tril_kernelIdlLb0ELi2ELb0EEEvNS_4cuda6detail10TensorInfoIT_T0_EENS4_IKS5_S6_EEllS6_.has_recursion, 0
	.set _ZN2at6native16triu_tril_kernelIdlLb0ELi2ELb0EEEvNS_4cuda6detail10TensorInfoIT_T0_EENS4_IKS5_S6_EEllS6_.has_indirect_call, 0
	.section	.AMDGPU.csdata,"",@progbits
; Kernel info:
; codeLenInByte = 5012
; TotalNumSgprs: 77
; NumVgprs: 26
; ScratchSize: 0
; MemoryBound: 0
; FloatMode: 240
; IeeeMode: 1
; LDSByteSize: 0 bytes/workgroup (compile time only)
; SGPRBlocks: 9
; VGPRBlocks: 6
; NumSGPRsForWavesPerEU: 77
; NumVGPRsForWavesPerEU: 26
; Occupancy: 9
; WaveLimiterHint : 0
; COMPUTE_PGM_RSRC2:SCRATCH_EN: 0
; COMPUTE_PGM_RSRC2:USER_SGPR: 6
; COMPUTE_PGM_RSRC2:TRAP_HANDLER: 0
; COMPUTE_PGM_RSRC2:TGID_X_EN: 1
; COMPUTE_PGM_RSRC2:TGID_Y_EN: 0
; COMPUTE_PGM_RSRC2:TGID_Z_EN: 0
; COMPUTE_PGM_RSRC2:TIDIG_COMP_CNT: 0
	.section	.text._ZN2at6native16triu_tril_kernelIfiLb0ELi2ELb1EEEvNS_4cuda6detail10TensorInfoIT_T0_EENS4_IKS5_S6_EEllS6_,"axG",@progbits,_ZN2at6native16triu_tril_kernelIfiLb0ELi2ELb1EEEvNS_4cuda6detail10TensorInfoIT_T0_EENS4_IKS5_S6_EEllS6_,comdat
	.protected	_ZN2at6native16triu_tril_kernelIfiLb0ELi2ELb1EEEvNS_4cuda6detail10TensorInfoIT_T0_EENS4_IKS5_S6_EEllS6_ ; -- Begin function _ZN2at6native16triu_tril_kernelIfiLb0ELi2ELb1EEEvNS_4cuda6detail10TensorInfoIT_T0_EENS4_IKS5_S6_EEllS6_
	.globl	_ZN2at6native16triu_tril_kernelIfiLb0ELi2ELb1EEEvNS_4cuda6detail10TensorInfoIT_T0_EENS4_IKS5_S6_EEllS6_
	.p2align	8
	.type	_ZN2at6native16triu_tril_kernelIfiLb0ELi2ELb1EEEvNS_4cuda6detail10TensorInfoIT_T0_EENS4_IKS5_S6_EEllS6_,@function
_ZN2at6native16triu_tril_kernelIfiLb0ELi2ELb1EEEvNS_4cuda6detail10TensorInfoIT_T0_EENS4_IKS5_S6_EEllS6_: ; @_ZN2at6native16triu_tril_kernelIfiLb0ELi2ELb1EEEvNS_4cuda6detail10TensorInfoIT_T0_EENS4_IKS5_S6_EEllS6_
; %bb.0:
	s_load_dword s2, s[4:5], 0x1d4
	s_load_dwordx4 s[8:11], s[4:5], 0x1b0
	s_add_u32 s0, s4, 0x1c8
	v_mov_b32_e32 v2, 0
	s_addc_u32 s1, s5, 0
	s_waitcnt lgkmcnt(0)
	s_and_b32 s7, s2, 0xffff
	v_mov_b32_e32 v1, v2
	v_mov_b32_e32 v3, s6
	v_mad_u64_u32 v[0:1], s[2:3], s7, v3, v[0:1]
	v_lshlrev_b64 v[0:1], 1, v[0:1]
	v_cmp_gt_i64_e32 vcc, s[10:11], v[0:1]
	s_and_saveexec_b64 s[2:3], vcc
	s_cbranch_execz .LBB24_63
; %bb.1:
	s_load_dword s33, s[4:5], 0x1c0
	s_load_dword s16, s[4:5], 0x1a8
	s_add_u32 s42, s4, 0xd8
	s_addc_u32 s43, s5, 0
	s_load_dword s6, s[0:1], 0x0
	s_waitcnt lgkmcnt(0)
	s_ashr_i32 s44, s33, 31
	s_ashr_i32 s17, s16, 31
	s_lshl_b64 s[0:1], s[16:17], 2
	s_add_u32 s2, s42, s0
	s_addc_u32 s3, s43, s1
	s_load_dword s45, s[2:3], 0x0
	s_load_dwordx2 s[12:13], s[4:5], 0x0
	s_mul_i32 s18, s6, s7
	v_cmp_gt_i64_e64 s[6:7], s[16:17], 2
	s_mov_b32 s17, 0
	s_waitcnt lgkmcnt(0)
	s_ashr_i32 s46, s45, 31
	s_add_u32 s14, s4, s0
	s_addc_u32 s15, s5, s1
	s_add_i32 s0, s16, 6
	s_add_i32 s47, s16, -3
	s_lshl_b32 s48, s18, 1
	s_and_b32 s49, s0, 7
	s_and_b32 s0, s16, 7
	s_cmp_lg_u32 s0, 2
	s_cselect_b64 s[18:19], -1, 0
	s_cmp_gt_u32 s47, 6
	s_cselect_b64 s[20:21], -1, 0
	s_mov_b64 s[22:23], 0
	s_ashr_i32 s24, s44, 31
	s_branch .LBB24_3
.LBB24_2:                               ;   in Loop: Header=BB24_3 Depth=1
	s_or_b64 exec, exec, s[26:27]
	v_add_co_u32_e32 v0, vcc, s48, v0
	v_addc_co_u32_e32 v1, vcc, 0, v1, vcc
	v_cmp_le_i64_e32 vcc, s[10:11], v[0:1]
	s_or_b64 s[22:23], vcc, s[22:23]
	s_andn2_b64 exec, exec, s[22:23]
	s_cbranch_execz .LBB24_63
.LBB24_3:                               ; =>This Loop Header: Depth=1
                                        ;     Child Loop BB24_14 Depth 2
                                        ;     Child Loop BB24_23 Depth 2
	v_or_b32_e32 v3, s44, v1
	v_cmp_ne_u64_e32 vcc, 0, v[2:3]
                                        ; implicit-def: $vgpr4_vgpr5
	s_and_saveexec_b64 s[0:1], vcc
	s_xor_b64 s[26:27], exec, s[0:1]
	s_cbranch_execz .LBB24_5
; %bb.4:                                ;   in Loop: Header=BB24_3 Depth=1
	s_add_u32 s0, s33, s24
	s_mov_b32 s25, s24
	s_addc_u32 s1, s44, s24
	s_xor_b64 s[28:29], s[0:1], s[24:25]
	v_cvt_f32_u32_e32 v3, s28
	v_cvt_f32_u32_e32 v4, s29
	s_sub_u32 s16, 0, s28
	s_subb_u32 s25, 0, s29
	v_ashrrev_i32_e32 v7, 31, v1
	v_mac_f32_e32 v3, 0x4f800000, v4
	v_rcp_f32_e32 v3, v3
	v_mul_f32_e32 v3, 0x5f7ffffc, v3
	v_mul_f32_e32 v4, 0x2f800000, v3
	v_trunc_f32_e32 v4, v4
	v_mac_f32_e32 v3, 0xcf800000, v4
	v_cvt_u32_f32_e32 v4, v4
	v_cvt_u32_f32_e32 v3, v3
	v_readfirstlane_b32 s30, v4
	v_readfirstlane_b32 s0, v3
	s_mul_i32 s1, s16, s30
	s_mul_hi_u32 s34, s16, s0
	s_mul_i32 s31, s25, s0
	s_add_i32 s1, s34, s1
	s_add_i32 s1, s1, s31
	s_mul_i32 s35, s16, s0
	s_mul_i32 s34, s0, s1
	s_mul_hi_u32 s36, s0, s35
	s_mul_hi_u32 s31, s0, s1
	s_add_u32 s34, s36, s34
	s_addc_u32 s31, 0, s31
	s_mul_hi_u32 s37, s30, s35
	s_mul_i32 s35, s30, s35
	s_add_u32 s34, s34, s35
	s_mul_hi_u32 s36, s30, s1
	s_addc_u32 s31, s31, s37
	s_addc_u32 s34, s36, 0
	s_mul_i32 s1, s30, s1
	s_add_u32 s1, s31, s1
	s_addc_u32 s31, 0, s34
	s_add_u32 s34, s0, s1
	s_cselect_b64 s[0:1], -1, 0
	s_cmp_lg_u64 s[0:1], 0
	s_addc_u32 s30, s30, s31
	s_mul_i32 s0, s16, s30
	s_mul_hi_u32 s1, s16, s34
	s_add_i32 s0, s1, s0
	s_mul_i32 s25, s25, s34
	s_add_i32 s0, s0, s25
	s_mul_i32 s16, s16, s34
	s_mul_hi_u32 s25, s30, s16
	s_mul_i32 s31, s30, s16
	s_mul_i32 s36, s34, s0
	s_mul_hi_u32 s16, s34, s16
	s_mul_hi_u32 s35, s34, s0
	s_add_u32 s16, s16, s36
	s_addc_u32 s35, 0, s35
	s_add_u32 s16, s16, s31
	s_mul_hi_u32 s1, s30, s0
	s_addc_u32 s16, s35, s25
	s_addc_u32 s1, s1, 0
	s_mul_i32 s0, s30, s0
	s_add_u32 s0, s16, s0
	s_addc_u32 s16, 0, s1
	s_add_u32 s25, s34, s0
	s_cselect_b64 s[0:1], -1, 0
	s_cmp_lg_u64 s[0:1], 0
	v_add_co_u32_e32 v3, vcc, v0, v7
	s_addc_u32 s16, s30, s16
	v_xor_b32_e32 v8, v3, v7
	v_mad_u64_u32 v[3:4], s[0:1], v8, s16, 0
	v_mul_hi_u32 v6, v8, s25
	v_addc_co_u32_e32 v5, vcc, v1, v7, vcc
	v_xor_b32_e32 v9, v5, v7
	v_add_co_u32_e32 v10, vcc, v6, v3
	v_addc_co_u32_e32 v11, vcc, 0, v4, vcc
	v_mad_u64_u32 v[3:4], s[0:1], v9, s25, 0
	v_mad_u64_u32 v[5:6], s[0:1], v9, s16, 0
	v_add_co_u32_e32 v3, vcc, v10, v3
	v_addc_co_u32_e32 v3, vcc, v11, v4, vcc
	v_addc_co_u32_e32 v4, vcc, 0, v6, vcc
	v_add_co_u32_e32 v5, vcc, v3, v5
	v_addc_co_u32_e32 v6, vcc, 0, v4, vcc
	v_mul_lo_u32 v10, s29, v5
	v_mul_lo_u32 v11, s28, v6
	v_mad_u64_u32 v[3:4], s[0:1], s28, v5, 0
	v_add3_u32 v4, v4, v11, v10
	v_sub_u32_e32 v10, v9, v4
	v_mov_b32_e32 v11, s29
	v_sub_co_u32_e32 v3, vcc, v8, v3
	v_subb_co_u32_e64 v8, s[0:1], v10, v11, vcc
	v_subrev_co_u32_e64 v10, s[0:1], s28, v3
	v_subbrev_co_u32_e64 v8, s[0:1], 0, v8, s[0:1]
	v_cmp_le_u32_e64 s[0:1], s29, v8
	v_cndmask_b32_e64 v11, 0, -1, s[0:1]
	v_cmp_le_u32_e64 s[0:1], s28, v10
	v_cndmask_b32_e64 v10, 0, -1, s[0:1]
	v_cmp_eq_u32_e64 s[0:1], s29, v8
	v_cndmask_b32_e64 v8, v11, v10, s[0:1]
	v_add_co_u32_e64 v10, s[0:1], 2, v5
	v_subb_co_u32_e32 v4, vcc, v9, v4, vcc
	v_addc_co_u32_e64 v11, s[0:1], 0, v6, s[0:1]
	v_cmp_le_u32_e32 vcc, s29, v4
	v_add_co_u32_e64 v12, s[0:1], 1, v5
	v_cndmask_b32_e64 v9, 0, -1, vcc
	v_cmp_le_u32_e32 vcc, s28, v3
	v_addc_co_u32_e64 v13, s[0:1], 0, v6, s[0:1]
	v_cndmask_b32_e64 v3, 0, -1, vcc
	v_cmp_eq_u32_e32 vcc, s29, v4
	v_cmp_ne_u32_e64 s[0:1], 0, v8
	v_cndmask_b32_e32 v3, v9, v3, vcc
	v_cmp_ne_u32_e32 vcc, 0, v3
	v_cndmask_b32_e64 v4, v12, v10, s[0:1]
	v_cndmask_b32_e64 v8, v13, v11, s[0:1]
	v_cndmask_b32_e32 v4, v5, v4, vcc
	v_xor_b32_e32 v5, s24, v7
	v_cndmask_b32_e32 v3, v6, v8, vcc
	v_xor_b32_e32 v4, v4, v5
	v_xor_b32_e32 v3, v3, v5
	v_sub_co_u32_e32 v4, vcc, v4, v5
	v_subb_co_u32_e32 v5, vcc, v3, v5, vcc
.LBB24_5:                               ;   in Loop: Header=BB24_3 Depth=1
	s_andn2_saveexec_b64 s[0:1], s[26:27]
	s_cbranch_execz .LBB24_7
; %bb.6:                                ;   in Loop: Header=BB24_3 Depth=1
	v_cvt_f32_u32_e32 v3, s33
	s_sub_i32 s16, 0, s33
	v_rcp_iflag_f32_e32 v3, v3
	v_mul_f32_e32 v3, 0x4f7ffffe, v3
	v_cvt_u32_f32_e32 v3, v3
	v_mul_lo_u32 v4, s16, v3
	v_mul_hi_u32 v4, v3, v4
	v_add_u32_e32 v3, v3, v4
	v_mul_hi_u32 v3, v0, v3
	v_mul_lo_u32 v4, v3, s33
	v_add_u32_e32 v5, 1, v3
	v_sub_u32_e32 v4, v0, v4
	v_subrev_u32_e32 v6, s33, v4
	v_cmp_le_u32_e32 vcc, s33, v4
	v_cndmask_b32_e32 v4, v4, v6, vcc
	v_cndmask_b32_e32 v3, v3, v5, vcc
	v_add_u32_e32 v5, 1, v3
	v_cmp_le_u32_e32 vcc, s33, v4
	v_cndmask_b32_e32 v4, v3, v5, vcc
	v_mov_b32_e32 v5, v2
.LBB24_7:                               ;   in Loop: Header=BB24_3 Depth=1
	s_or_b64 exec, exec, s[0:1]
	v_or_b32_e32 v3, s46, v5
	v_cmp_ne_u64_e32 vcc, 0, v[2:3]
                                        ; implicit-def: $vgpr8_vgpr9
	s_and_saveexec_b64 s[0:1], vcc
	s_xor_b64 s[26:27], exec, s[0:1]
	s_cbranch_execz .LBB24_9
; %bb.8:                                ;   in Loop: Header=BB24_3 Depth=1
	s_ashr_i32 s28, s46, 31
	s_add_u32 s0, s45, s28
	s_mov_b32 s29, s28
	s_addc_u32 s1, s46, s28
	s_xor_b64 s[30:31], s[0:1], s[28:29]
	v_cvt_f32_u32_e32 v3, s30
	v_cvt_f32_u32_e32 v6, s31
	s_sub_u32 s16, 0, s30
	s_subb_u32 s25, 0, s31
	v_mac_f32_e32 v3, 0x4f800000, v6
	v_rcp_f32_e32 v3, v3
	v_mul_f32_e32 v3, 0x5f7ffffc, v3
	v_mul_f32_e32 v6, 0x2f800000, v3
	v_trunc_f32_e32 v6, v6
	v_mac_f32_e32 v3, 0xcf800000, v6
	v_cvt_u32_f32_e32 v6, v6
	v_cvt_u32_f32_e32 v3, v3
	v_readfirstlane_b32 s29, v6
	v_readfirstlane_b32 s0, v3
	s_mul_i32 s1, s16, s29
	s_mul_hi_u32 s35, s16, s0
	s_mul_i32 s34, s25, s0
	s_add_i32 s1, s35, s1
	s_add_i32 s1, s1, s34
	s_mul_i32 s36, s16, s0
	s_mul_i32 s35, s0, s1
	s_mul_hi_u32 s37, s0, s36
	s_mul_hi_u32 s34, s0, s1
	s_add_u32 s35, s37, s35
	s_addc_u32 s34, 0, s34
	s_mul_hi_u32 s38, s29, s36
	s_mul_i32 s36, s29, s36
	s_add_u32 s35, s35, s36
	s_mul_hi_u32 s37, s29, s1
	s_addc_u32 s34, s34, s38
	s_addc_u32 s35, s37, 0
	s_mul_i32 s1, s29, s1
	s_add_u32 s1, s34, s1
	s_addc_u32 s34, 0, s35
	s_add_u32 s35, s0, s1
	s_cselect_b64 s[0:1], -1, 0
	s_cmp_lg_u64 s[0:1], 0
	s_addc_u32 s29, s29, s34
	s_mul_i32 s0, s16, s29
	s_mul_hi_u32 s1, s16, s35
	s_add_i32 s0, s1, s0
	s_mul_i32 s25, s25, s35
	s_add_i32 s0, s0, s25
	s_mul_i32 s16, s16, s35
	s_mul_hi_u32 s25, s29, s16
	s_mul_i32 s34, s29, s16
	s_mul_i32 s37, s35, s0
	s_mul_hi_u32 s16, s35, s16
	s_mul_hi_u32 s36, s35, s0
	s_add_u32 s16, s16, s37
	s_addc_u32 s36, 0, s36
	s_add_u32 s16, s16, s34
	s_mul_hi_u32 s1, s29, s0
	s_addc_u32 s16, s36, s25
	s_addc_u32 s1, s1, 0
	s_mul_i32 s0, s29, s0
	s_add_u32 s0, s16, s0
	s_addc_u32 s16, 0, s1
	s_add_u32 s25, s35, s0
	s_cselect_b64 s[0:1], -1, 0
	v_ashrrev_i32_e32 v3, 31, v5
	s_cmp_lg_u64 s[0:1], 0
	v_add_co_u32_e32 v6, vcc, v4, v3
	s_addc_u32 s16, s29, s16
	v_xor_b32_e32 v9, v6, v3
	v_addc_co_u32_e32 v7, vcc, v5, v3, vcc
	v_mad_u64_u32 v[5:6], s[0:1], v9, s16, 0
	v_mul_hi_u32 v8, v9, s25
	v_xor_b32_e32 v10, v7, v3
	v_xor_b32_e32 v3, s28, v3
	v_add_co_u32_e32 v11, vcc, v8, v5
	v_addc_co_u32_e32 v12, vcc, 0, v6, vcc
	v_mad_u64_u32 v[5:6], s[0:1], v10, s25, 0
	v_mad_u64_u32 v[7:8], s[0:1], v10, s16, 0
	v_add_co_u32_e32 v5, vcc, v11, v5
	v_addc_co_u32_e32 v5, vcc, v12, v6, vcc
	v_addc_co_u32_e32 v6, vcc, 0, v8, vcc
	v_add_co_u32_e32 v7, vcc, v5, v7
	v_addc_co_u32_e32 v8, vcc, 0, v6, vcc
	v_mul_lo_u32 v11, s31, v7
	v_mul_lo_u32 v12, s30, v8
	v_mad_u64_u32 v[5:6], s[0:1], s30, v7, 0
	v_add3_u32 v6, v6, v12, v11
	v_sub_u32_e32 v11, v10, v6
	v_mov_b32_e32 v12, s31
	v_sub_co_u32_e32 v5, vcc, v9, v5
	v_subb_co_u32_e64 v9, s[0:1], v11, v12, vcc
	v_subrev_co_u32_e64 v11, s[0:1], s30, v5
	v_subbrev_co_u32_e64 v9, s[0:1], 0, v9, s[0:1]
	v_cmp_le_u32_e64 s[0:1], s31, v9
	v_cndmask_b32_e64 v12, 0, -1, s[0:1]
	v_cmp_le_u32_e64 s[0:1], s30, v11
	v_cndmask_b32_e64 v11, 0, -1, s[0:1]
	v_cmp_eq_u32_e64 s[0:1], s31, v9
	v_cndmask_b32_e64 v9, v12, v11, s[0:1]
	v_add_co_u32_e64 v11, s[0:1], 2, v7
	v_subb_co_u32_e32 v6, vcc, v10, v6, vcc
	v_addc_co_u32_e64 v12, s[0:1], 0, v8, s[0:1]
	v_cmp_le_u32_e32 vcc, s31, v6
	v_add_co_u32_e64 v13, s[0:1], 1, v7
	v_cndmask_b32_e64 v10, 0, -1, vcc
	v_cmp_le_u32_e32 vcc, s30, v5
	v_addc_co_u32_e64 v14, s[0:1], 0, v8, s[0:1]
	v_cndmask_b32_e64 v5, 0, -1, vcc
	v_cmp_eq_u32_e32 vcc, s31, v6
	v_cmp_ne_u32_e64 s[0:1], 0, v9
	v_cndmask_b32_e32 v5, v10, v5, vcc
	v_cmp_ne_u32_e32 vcc, 0, v5
	v_cndmask_b32_e64 v6, v13, v11, s[0:1]
	v_cndmask_b32_e64 v9, v14, v12, s[0:1]
	v_cndmask_b32_e32 v6, v7, v6, vcc
	v_cndmask_b32_e32 v5, v8, v9, vcc
	v_xor_b32_e32 v6, v6, v3
	v_xor_b32_e32 v5, v5, v3
	v_sub_co_u32_e32 v8, vcc, v6, v3
	v_subb_co_u32_e32 v9, vcc, v5, v3, vcc
.LBB24_9:                               ;   in Loop: Header=BB24_3 Depth=1
	s_andn2_saveexec_b64 s[0:1], s[26:27]
	s_cbranch_execz .LBB24_11
; %bb.10:                               ;   in Loop: Header=BB24_3 Depth=1
	v_cvt_f32_u32_e32 v3, s45
	s_sub_i32 s16, 0, s45
	v_mov_b32_e32 v9, v2
	v_rcp_iflag_f32_e32 v3, v3
	v_mul_f32_e32 v3, 0x4f7ffffe, v3
	v_cvt_u32_f32_e32 v3, v3
	v_mul_lo_u32 v5, s16, v3
	v_mul_hi_u32 v5, v3, v5
	v_add_u32_e32 v3, v3, v5
	v_mul_hi_u32 v3, v4, v3
	v_mul_lo_u32 v5, v3, s45
	v_add_u32_e32 v6, 1, v3
	v_sub_u32_e32 v5, v4, v5
	v_subrev_u32_e32 v7, s45, v5
	v_cmp_le_u32_e32 vcc, s45, v5
	v_cndmask_b32_e32 v5, v5, v7, vcc
	v_cndmask_b32_e32 v3, v3, v6, vcc
	v_add_u32_e32 v6, 1, v3
	v_cmp_le_u32_e32 vcc, s45, v5
	v_cndmask_b32_e32 v8, v3, v6, vcc
.LBB24_11:                              ;   in Loop: Header=BB24_3 Depth=1
	s_or_b64 exec, exec, s[0:1]
	v_mad_u64_u32 v[5:6], s[0:1], v4, s33, 0
	v_mad_u64_u32 v[6:7], s[0:1], v8, s45, 0
	v_sub_co_u32_e32 v27, vcc, v0, v5
	v_sub_co_u32_e32 v26, vcc, v4, v6
	v_sub_u32_e32 v4, v27, v26
	v_add_u32_e32 v5, 2, v4
	v_ashrrev_i32_e32 v6, 31, v5
	v_cmp_lt_i64_e32 vcc, s[8:9], v[5:6]
	s_and_saveexec_b64 s[26:27], vcc
	s_cbranch_execz .LBB24_2
; %bb.12:                               ;   in Loop: Header=BB24_3 Depth=1
	s_load_dwordx2 s[28:29], s[14:15], 0x64
	s_andn2_b64 vcc, exec, s[6:7]
	s_waitcnt lgkmcnt(0)
	v_mul_lo_u32 v3, s29, v27
	v_mad_u64_u32 v[6:7], s[0:1], s28, v26, v[3:4]
	s_cbranch_vccnz .LBB24_57
; %bb.13:                               ;   in Loop: Header=BB24_3 Depth=1
	s_andn2_b64 vcc, exec, s[18:19]
	s_mov_b32 s25, s49
	s_mov_b32 s16, s47
	;; [unrolled: 1-line block ×3, first 2 shown]
	s_cbranch_vccnz .LBB24_21
.LBB24_14:                              ;   Parent Loop BB24_3 Depth=1
                                        ; =>  This Inner Loop Header: Depth=2
	s_lshl_b64 s[30:31], s[16:17], 2
	s_add_u32 s0, s42, s30
	s_addc_u32 s1, s43, s31
	s_load_dword s28, s[0:1], 0x8
                                        ; implicit-def: $vgpr10_vgpr11
	s_waitcnt lgkmcnt(0)
	s_ashr_i32 s0, s28, 31
	v_or_b32_e32 v3, s0, v9
	v_cmp_ne_u64_e32 vcc, 0, v[2:3]
	s_and_saveexec_b64 s[34:35], vcc
	s_xor_b64 s[34:35], exec, s[34:35]
	s_cbranch_execz .LBB24_16
; %bb.15:                               ;   in Loop: Header=BB24_14 Depth=2
	s_ashr_i32 s36, s0, 31
	s_add_u32 s38, s28, s36
	s_mov_b32 s37, s36
	s_addc_u32 s39, s0, s36
	s_xor_b64 s[38:39], s[38:39], s[36:37]
	v_cvt_f32_u32_e32 v3, s38
	v_cvt_f32_u32_e32 v5, s39
	s_sub_u32 s37, 0, s38
	s_subb_u32 s40, 0, s39
	v_mac_f32_e32 v3, 0x4f800000, v5
	v_rcp_f32_e32 v3, v3
	v_mul_f32_e32 v3, 0x5f7ffffc, v3
	v_mul_f32_e32 v5, 0x2f800000, v3
	v_trunc_f32_e32 v5, v5
	v_mac_f32_e32 v3, 0xcf800000, v5
	v_cvt_u32_f32_e32 v5, v5
	v_cvt_u32_f32_e32 v3, v3
	v_readfirstlane_b32 s41, v5
	v_readfirstlane_b32 s0, v3
	s_mul_i32 s1, s37, s41
	s_mul_hi_u32 s51, s37, s0
	s_mul_i32 s50, s40, s0
	s_add_i32 s1, s51, s1
	s_add_i32 s1, s1, s50
	s_mul_i32 s52, s37, s0
	s_mul_i32 s51, s0, s1
	s_mul_hi_u32 s53, s0, s52
	s_mul_hi_u32 s50, s0, s1
	s_add_u32 s51, s53, s51
	s_addc_u32 s50, 0, s50
	s_mul_hi_u32 s54, s41, s52
	s_mul_i32 s52, s41, s52
	s_add_u32 s51, s51, s52
	s_mul_hi_u32 s53, s41, s1
	s_addc_u32 s50, s50, s54
	s_addc_u32 s51, s53, 0
	s_mul_i32 s1, s41, s1
	s_add_u32 s1, s50, s1
	s_addc_u32 s50, 0, s51
	s_add_u32 s51, s0, s1
	s_cselect_b64 s[0:1], -1, 0
	s_cmp_lg_u64 s[0:1], 0
	s_addc_u32 s41, s41, s50
	s_mul_i32 s0, s37, s41
	s_mul_hi_u32 s1, s37, s51
	s_add_i32 s0, s1, s0
	s_mul_i32 s40, s40, s51
	s_add_i32 s0, s0, s40
	s_mul_i32 s37, s37, s51
	s_mul_hi_u32 s40, s41, s37
	s_mul_i32 s50, s41, s37
	s_mul_i32 s53, s51, s0
	s_mul_hi_u32 s37, s51, s37
	s_mul_hi_u32 s52, s51, s0
	s_add_u32 s37, s37, s53
	s_addc_u32 s52, 0, s52
	s_add_u32 s37, s37, s50
	s_mul_hi_u32 s1, s41, s0
	s_addc_u32 s37, s52, s40
	s_addc_u32 s1, s1, 0
	s_mul_i32 s0, s41, s0
	s_add_u32 s0, s37, s0
	s_addc_u32 s37, 0, s1
	s_add_u32 s40, s51, s0
	s_cselect_b64 s[0:1], -1, 0
	v_ashrrev_i32_e32 v3, 31, v9
	s_cmp_lg_u64 s[0:1], 0
	v_add_co_u32_e32 v5, vcc, v8, v3
	s_addc_u32 s37, s41, s37
	v_xor_b32_e32 v5, v5, v3
	v_addc_co_u32_e32 v7, vcc, v9, v3, vcc
	v_mad_u64_u32 v[9:10], s[0:1], v5, s37, 0
	v_mul_hi_u32 v11, v5, s40
	v_xor_b32_e32 v7, v7, v3
	v_xor_b32_e32 v3, s36, v3
	v_add_co_u32_e32 v13, vcc, v11, v9
	v_addc_co_u32_e32 v14, vcc, 0, v10, vcc
	v_mad_u64_u32 v[9:10], s[0:1], v7, s40, 0
	v_mad_u64_u32 v[11:12], s[0:1], v7, s37, 0
	v_add_co_u32_e32 v9, vcc, v13, v9
	v_addc_co_u32_e32 v9, vcc, v14, v10, vcc
	v_addc_co_u32_e32 v10, vcc, 0, v12, vcc
	v_add_co_u32_e32 v11, vcc, v9, v11
	v_addc_co_u32_e32 v12, vcc, 0, v10, vcc
	v_mul_lo_u32 v13, s39, v11
	v_mul_lo_u32 v14, s38, v12
	v_mad_u64_u32 v[9:10], s[0:1], s38, v11, 0
	v_add3_u32 v10, v10, v14, v13
	v_sub_u32_e32 v13, v7, v10
	v_mov_b32_e32 v14, s39
	v_sub_co_u32_e32 v5, vcc, v5, v9
	v_subb_co_u32_e64 v9, s[0:1], v13, v14, vcc
	v_subrev_co_u32_e64 v13, s[0:1], s38, v5
	v_subbrev_co_u32_e64 v9, s[0:1], 0, v9, s[0:1]
	v_cmp_le_u32_e64 s[0:1], s39, v9
	v_cndmask_b32_e64 v14, 0, -1, s[0:1]
	v_cmp_le_u32_e64 s[0:1], s38, v13
	v_cndmask_b32_e64 v13, 0, -1, s[0:1]
	v_cmp_eq_u32_e64 s[0:1], s39, v9
	v_cndmask_b32_e64 v9, v14, v13, s[0:1]
	v_add_co_u32_e64 v13, s[0:1], 2, v11
	v_subb_co_u32_e32 v7, vcc, v7, v10, vcc
	v_addc_co_u32_e64 v14, s[0:1], 0, v12, s[0:1]
	v_cmp_le_u32_e32 vcc, s39, v7
	v_add_co_u32_e64 v15, s[0:1], 1, v11
	v_cndmask_b32_e64 v10, 0, -1, vcc
	v_cmp_le_u32_e32 vcc, s38, v5
	v_addc_co_u32_e64 v16, s[0:1], 0, v12, s[0:1]
	v_cndmask_b32_e64 v5, 0, -1, vcc
	v_cmp_eq_u32_e32 vcc, s39, v7
	v_cmp_ne_u32_e64 s[0:1], 0, v9
	v_cndmask_b32_e32 v5, v10, v5, vcc
	v_cmp_ne_u32_e32 vcc, 0, v5
	v_cndmask_b32_e64 v7, v15, v13, s[0:1]
	v_cndmask_b32_e64 v9, v16, v14, s[0:1]
	v_cndmask_b32_e32 v7, v11, v7, vcc
	v_cndmask_b32_e32 v5, v12, v9, vcc
	v_xor_b32_e32 v7, v7, v3
	v_xor_b32_e32 v5, v5, v3
	v_sub_co_u32_e32 v10, vcc, v7, v3
	v_subb_co_u32_e32 v11, vcc, v5, v3, vcc
.LBB24_16:                              ;   in Loop: Header=BB24_14 Depth=2
	s_andn2_saveexec_b64 s[0:1], s[34:35]
	s_cbranch_execz .LBB24_18
; %bb.17:                               ;   in Loop: Header=BB24_14 Depth=2
	v_cvt_f32_u32_e32 v3, s28
	s_sub_i32 s34, 0, s28
	v_mov_b32_e32 v11, v2
	v_rcp_iflag_f32_e32 v3, v3
	v_mul_f32_e32 v3, 0x4f7ffffe, v3
	v_cvt_u32_f32_e32 v3, v3
	v_mul_lo_u32 v5, s34, v3
	v_mul_hi_u32 v5, v3, v5
	v_add_u32_e32 v3, v3, v5
	v_mul_hi_u32 v3, v8, v3
	v_mul_lo_u32 v5, v3, s28
	v_add_u32_e32 v7, 1, v3
	v_sub_u32_e32 v5, v8, v5
	v_subrev_u32_e32 v9, s28, v5
	v_cmp_le_u32_e32 vcc, s28, v5
	v_cndmask_b32_e32 v5, v5, v9, vcc
	v_cndmask_b32_e32 v3, v3, v7, vcc
	v_add_u32_e32 v7, 1, v3
	v_cmp_le_u32_e32 vcc, s28, v5
	v_cndmask_b32_e32 v10, v3, v7, vcc
.LBB24_18:                              ;   in Loop: Header=BB24_14 Depth=2
	s_or_b64 exec, exec, s[0:1]
	s_add_u32 s0, s4, s30
	s_addc_u32 s1, s5, s31
	v_mul_lo_u32 v3, v10, s28
	s_load_dword s0, s[0:1], 0x6c
	s_add_i32 s16, s16, -1
	s_add_i32 s25, s25, -1
	v_sub_u32_e32 v3, v8, v3
	s_cmp_lg_u32 s25, 0
	s_waitcnt lgkmcnt(0)
	v_mad_u64_u32 v[6:7], s[0:1], s0, v3, v[6:7]
	s_cbranch_scc0 .LBB24_20
; %bb.19:                               ;   in Loop: Header=BB24_14 Depth=2
	v_mov_b32_e32 v8, v10
	v_mov_b32_e32 v9, v11
	s_branch .LBB24_14
.LBB24_20:                              ;   in Loop: Header=BB24_3 Depth=1
	v_mov_b32_e32 v8, v10
	s_mov_b32 s0, s16
	v_mov_b32_e32 v9, v11
.LBB24_21:                              ;   in Loop: Header=BB24_3 Depth=1
	s_andn2_b64 vcc, exec, s[20:21]
	s_cbranch_vccnz .LBB24_57
; %bb.22:                               ;   in Loop: Header=BB24_3 Depth=1
	s_add_i32 s30, s0, -7
.LBB24_23:                              ;   Parent Loop BB24_3 Depth=1
                                        ; =>  This Inner Loop Header: Depth=2
	s_add_i32 s16, s30, 7
	s_lshl_b64 s[34:35], s[16:17], 2
	s_add_u32 s0, s42, s34
	s_addc_u32 s1, s43, s35
	s_load_dword s25, s[0:1], 0x8
                                        ; implicit-def: $vgpr10_vgpr11
	s_waitcnt lgkmcnt(0)
	s_ashr_i32 s0, s25, 31
	v_or_b32_e32 v3, s0, v9
	v_cmp_ne_u64_e32 vcc, 0, v[2:3]
	s_and_saveexec_b64 s[36:37], vcc
	s_xor_b64 s[36:37], exec, s[36:37]
	s_cbranch_execz .LBB24_25
; %bb.24:                               ;   in Loop: Header=BB24_23 Depth=2
	s_ashr_i32 s38, s0, 31
	s_add_u32 s40, s25, s38
	s_mov_b32 s39, s38
	s_addc_u32 s41, s0, s38
	s_xor_b64 s[40:41], s[40:41], s[38:39]
	v_cvt_f32_u32_e32 v3, s40
	v_cvt_f32_u32_e32 v5, s41
	s_sub_u32 s16, 0, s40
	s_subb_u32 s28, 0, s41
	v_mac_f32_e32 v3, 0x4f800000, v5
	v_rcp_f32_e32 v3, v3
	v_mul_f32_e32 v3, 0x5f7ffffc, v3
	v_mul_f32_e32 v5, 0x2f800000, v3
	v_trunc_f32_e32 v5, v5
	v_mac_f32_e32 v3, 0xcf800000, v5
	v_cvt_u32_f32_e32 v5, v5
	v_cvt_u32_f32_e32 v3, v3
	v_readfirstlane_b32 s31, v5
	v_readfirstlane_b32 s0, v3
	s_mul_i32 s1, s16, s31
	s_mul_hi_u32 s50, s16, s0
	s_mul_i32 s39, s28, s0
	s_add_i32 s1, s50, s1
	s_add_i32 s1, s1, s39
	s_mul_i32 s51, s16, s0
	s_mul_i32 s50, s0, s1
	s_mul_hi_u32 s52, s0, s51
	s_mul_hi_u32 s39, s0, s1
	s_add_u32 s50, s52, s50
	s_addc_u32 s39, 0, s39
	s_mul_hi_u32 s53, s31, s51
	s_mul_i32 s51, s31, s51
	s_add_u32 s50, s50, s51
	s_mul_hi_u32 s52, s31, s1
	s_addc_u32 s39, s39, s53
	s_addc_u32 s50, s52, 0
	s_mul_i32 s1, s31, s1
	s_add_u32 s1, s39, s1
	s_addc_u32 s39, 0, s50
	s_add_u32 s50, s0, s1
	s_cselect_b64 s[0:1], -1, 0
	s_cmp_lg_u64 s[0:1], 0
	s_addc_u32 s31, s31, s39
	s_mul_i32 s0, s16, s31
	s_mul_hi_u32 s1, s16, s50
	s_add_i32 s0, s1, s0
	s_mul_i32 s28, s28, s50
	s_add_i32 s0, s0, s28
	s_mul_i32 s16, s16, s50
	s_mul_hi_u32 s28, s31, s16
	s_mul_i32 s39, s31, s16
	s_mul_i32 s52, s50, s0
	s_mul_hi_u32 s16, s50, s16
	s_mul_hi_u32 s51, s50, s0
	s_add_u32 s16, s16, s52
	s_addc_u32 s51, 0, s51
	s_add_u32 s16, s16, s39
	s_mul_hi_u32 s1, s31, s0
	s_addc_u32 s16, s51, s28
	s_addc_u32 s1, s1, 0
	s_mul_i32 s0, s31, s0
	s_add_u32 s0, s16, s0
	s_addc_u32 s16, 0, s1
	s_add_u32 s28, s50, s0
	s_cselect_b64 s[0:1], -1, 0
	v_ashrrev_i32_e32 v3, 31, v9
	s_cmp_lg_u64 s[0:1], 0
	v_add_co_u32_e32 v5, vcc, v8, v3
	s_addc_u32 s16, s31, s16
	v_xor_b32_e32 v5, v5, v3
	v_addc_co_u32_e32 v7, vcc, v9, v3, vcc
	v_mad_u64_u32 v[9:10], s[0:1], v5, s16, 0
	v_mul_hi_u32 v11, v5, s28
	v_xor_b32_e32 v7, v7, v3
	v_xor_b32_e32 v3, s38, v3
	v_add_co_u32_e32 v13, vcc, v11, v9
	v_addc_co_u32_e32 v14, vcc, 0, v10, vcc
	v_mad_u64_u32 v[9:10], s[0:1], v7, s28, 0
	v_mad_u64_u32 v[11:12], s[0:1], v7, s16, 0
	v_add_co_u32_e32 v9, vcc, v13, v9
	v_addc_co_u32_e32 v9, vcc, v14, v10, vcc
	v_addc_co_u32_e32 v10, vcc, 0, v12, vcc
	v_add_co_u32_e32 v11, vcc, v9, v11
	v_addc_co_u32_e32 v12, vcc, 0, v10, vcc
	v_mul_lo_u32 v13, s41, v11
	v_mul_lo_u32 v14, s40, v12
	v_mad_u64_u32 v[9:10], s[0:1], s40, v11, 0
	v_add3_u32 v10, v10, v14, v13
	v_sub_u32_e32 v13, v7, v10
	v_mov_b32_e32 v14, s41
	v_sub_co_u32_e32 v5, vcc, v5, v9
	v_subb_co_u32_e64 v9, s[0:1], v13, v14, vcc
	v_subrev_co_u32_e64 v13, s[0:1], s40, v5
	v_subbrev_co_u32_e64 v9, s[0:1], 0, v9, s[0:1]
	v_cmp_le_u32_e64 s[0:1], s41, v9
	v_cndmask_b32_e64 v14, 0, -1, s[0:1]
	v_cmp_le_u32_e64 s[0:1], s40, v13
	v_cndmask_b32_e64 v13, 0, -1, s[0:1]
	v_cmp_eq_u32_e64 s[0:1], s41, v9
	v_cndmask_b32_e64 v9, v14, v13, s[0:1]
	v_add_co_u32_e64 v13, s[0:1], 2, v11
	v_subb_co_u32_e32 v7, vcc, v7, v10, vcc
	v_addc_co_u32_e64 v14, s[0:1], 0, v12, s[0:1]
	v_cmp_le_u32_e32 vcc, s41, v7
	v_add_co_u32_e64 v15, s[0:1], 1, v11
	v_cndmask_b32_e64 v10, 0, -1, vcc
	v_cmp_le_u32_e32 vcc, s40, v5
	v_addc_co_u32_e64 v16, s[0:1], 0, v12, s[0:1]
	v_cndmask_b32_e64 v5, 0, -1, vcc
	v_cmp_eq_u32_e32 vcc, s41, v7
	v_cmp_ne_u32_e64 s[0:1], 0, v9
	v_cndmask_b32_e32 v5, v10, v5, vcc
	v_cmp_ne_u32_e32 vcc, 0, v5
	v_cndmask_b32_e64 v7, v15, v13, s[0:1]
	v_cndmask_b32_e64 v9, v16, v14, s[0:1]
	v_cndmask_b32_e32 v7, v11, v7, vcc
	v_cndmask_b32_e32 v5, v12, v9, vcc
	v_xor_b32_e32 v7, v7, v3
	v_xor_b32_e32 v5, v5, v3
	v_sub_co_u32_e32 v10, vcc, v7, v3
	v_subb_co_u32_e32 v11, vcc, v5, v3, vcc
.LBB24_25:                              ;   in Loop: Header=BB24_23 Depth=2
	s_andn2_saveexec_b64 s[0:1], s[36:37]
	s_cbranch_execz .LBB24_27
; %bb.26:                               ;   in Loop: Header=BB24_23 Depth=2
	v_cvt_f32_u32_e32 v3, s25
	s_sub_i32 s16, 0, s25
	v_mov_b32_e32 v11, v2
	v_rcp_iflag_f32_e32 v3, v3
	v_mul_f32_e32 v3, 0x4f7ffffe, v3
	v_cvt_u32_f32_e32 v3, v3
	v_mul_lo_u32 v5, s16, v3
	v_mul_hi_u32 v5, v3, v5
	v_add_u32_e32 v3, v3, v5
	v_mul_hi_u32 v3, v8, v3
	v_mul_lo_u32 v5, v3, s25
	v_add_u32_e32 v7, 1, v3
	v_sub_u32_e32 v5, v8, v5
	v_subrev_u32_e32 v9, s25, v5
	v_cmp_le_u32_e32 vcc, s25, v5
	v_cndmask_b32_e32 v5, v5, v9, vcc
	v_cndmask_b32_e32 v3, v3, v7, vcc
	v_add_u32_e32 v7, 1, v3
	v_cmp_le_u32_e32 vcc, s25, v5
	v_cndmask_b32_e32 v10, v3, v7, vcc
.LBB24_27:                              ;   in Loop: Header=BB24_23 Depth=2
	s_or_b64 exec, exec, s[0:1]
	s_add_u32 s0, s4, s34
	s_addc_u32 s1, s5, s35
	s_add_i32 s16, s30, 6
	s_lshl_b64 s[34:35], s[16:17], 2
	s_add_u32 s36, s42, s34
	s_addc_u32 s37, s43, s35
	s_load_dword s50, s[36:37], 0x8
	s_load_dword s28, s[0:1], 0x6c
                                        ; implicit-def: $vgpr12_vgpr13
	s_waitcnt lgkmcnt(0)
	s_ashr_i32 s0, s50, 31
	v_or_b32_e32 v3, s0, v11
	v_cmp_ne_u64_e32 vcc, 0, v[2:3]
	s_and_saveexec_b64 s[36:37], vcc
	s_xor_b64 s[36:37], exec, s[36:37]
	s_cbranch_execz .LBB24_29
; %bb.28:                               ;   in Loop: Header=BB24_23 Depth=2
	s_ashr_i32 s38, s0, 31
	s_add_u32 s40, s50, s38
	s_mov_b32 s39, s38
	s_addc_u32 s41, s0, s38
	s_xor_b64 s[40:41], s[40:41], s[38:39]
	v_cvt_f32_u32_e32 v3, s40
	v_cvt_f32_u32_e32 v5, s41
	s_sub_u32 s16, 0, s40
	s_subb_u32 s31, 0, s41
	v_mac_f32_e32 v3, 0x4f800000, v5
	v_rcp_f32_e32 v3, v3
	v_mul_f32_e32 v3, 0x5f7ffffc, v3
	v_mul_f32_e32 v5, 0x2f800000, v3
	v_trunc_f32_e32 v5, v5
	v_mac_f32_e32 v3, 0xcf800000, v5
	v_cvt_u32_f32_e32 v5, v5
	v_cvt_u32_f32_e32 v3, v3
	v_readfirstlane_b32 s39, v5
	v_readfirstlane_b32 s0, v3
	s_mul_i32 s1, s16, s39
	s_mul_hi_u32 s52, s16, s0
	s_mul_i32 s51, s31, s0
	s_add_i32 s1, s52, s1
	s_add_i32 s1, s1, s51
	s_mul_i32 s53, s16, s0
	s_mul_i32 s52, s0, s1
	s_mul_hi_u32 s54, s0, s53
	s_mul_hi_u32 s51, s0, s1
	s_add_u32 s52, s54, s52
	s_addc_u32 s51, 0, s51
	s_mul_hi_u32 s55, s39, s53
	s_mul_i32 s53, s39, s53
	s_add_u32 s52, s52, s53
	s_mul_hi_u32 s54, s39, s1
	s_addc_u32 s51, s51, s55
	s_addc_u32 s52, s54, 0
	s_mul_i32 s1, s39, s1
	s_add_u32 s1, s51, s1
	s_addc_u32 s51, 0, s52
	s_add_u32 s52, s0, s1
	s_cselect_b64 s[0:1], -1, 0
	s_cmp_lg_u64 s[0:1], 0
	s_addc_u32 s39, s39, s51
	s_mul_i32 s0, s16, s39
	s_mul_hi_u32 s1, s16, s52
	s_add_i32 s0, s1, s0
	s_mul_i32 s31, s31, s52
	s_add_i32 s0, s0, s31
	s_mul_i32 s16, s16, s52
	s_mul_hi_u32 s31, s39, s16
	s_mul_i32 s51, s39, s16
	s_mul_i32 s54, s52, s0
	s_mul_hi_u32 s16, s52, s16
	s_mul_hi_u32 s53, s52, s0
	s_add_u32 s16, s16, s54
	s_addc_u32 s53, 0, s53
	s_add_u32 s16, s16, s51
	s_mul_hi_u32 s1, s39, s0
	s_addc_u32 s16, s53, s31
	s_addc_u32 s1, s1, 0
	s_mul_i32 s0, s39, s0
	s_add_u32 s0, s16, s0
	s_addc_u32 s16, 0, s1
	s_add_u32 s31, s52, s0
	s_cselect_b64 s[0:1], -1, 0
	v_ashrrev_i32_e32 v3, 31, v11
	s_cmp_lg_u64 s[0:1], 0
	v_add_co_u32_e32 v5, vcc, v10, v3
	s_addc_u32 s16, s39, s16
	v_xor_b32_e32 v5, v5, v3
	v_addc_co_u32_e32 v7, vcc, v11, v3, vcc
	v_mad_u64_u32 v[11:12], s[0:1], v5, s16, 0
	v_mul_hi_u32 v9, v5, s31
	v_xor_b32_e32 v7, v7, v3
	v_mad_u64_u32 v[13:14], s[0:1], v7, s16, 0
	v_add_co_u32_e32 v9, vcc, v9, v11
	v_addc_co_u32_e32 v15, vcc, 0, v12, vcc
	v_mad_u64_u32 v[11:12], s[0:1], v7, s31, 0
	v_xor_b32_e32 v3, s38, v3
	v_add_co_u32_e32 v9, vcc, v9, v11
	v_addc_co_u32_e32 v9, vcc, v15, v12, vcc
	v_addc_co_u32_e32 v11, vcc, 0, v14, vcc
	v_add_co_u32_e32 v9, vcc, v9, v13
	v_addc_co_u32_e32 v13, vcc, 0, v11, vcc
	v_mul_lo_u32 v14, s41, v9
	v_mul_lo_u32 v15, s40, v13
	v_mad_u64_u32 v[11:12], s[0:1], s40, v9, 0
	v_add3_u32 v12, v12, v15, v14
	v_sub_u32_e32 v14, v7, v12
	v_mov_b32_e32 v15, s41
	v_sub_co_u32_e32 v5, vcc, v5, v11
	v_subb_co_u32_e64 v11, s[0:1], v14, v15, vcc
	v_subrev_co_u32_e64 v14, s[0:1], s40, v5
	v_subbrev_co_u32_e64 v11, s[0:1], 0, v11, s[0:1]
	v_cmp_le_u32_e64 s[0:1], s41, v11
	v_cndmask_b32_e64 v15, 0, -1, s[0:1]
	v_cmp_le_u32_e64 s[0:1], s40, v14
	v_cndmask_b32_e64 v14, 0, -1, s[0:1]
	v_cmp_eq_u32_e64 s[0:1], s41, v11
	v_cndmask_b32_e64 v11, v15, v14, s[0:1]
	v_add_co_u32_e64 v14, s[0:1], 2, v9
	v_subb_co_u32_e32 v7, vcc, v7, v12, vcc
	v_addc_co_u32_e64 v15, s[0:1], 0, v13, s[0:1]
	v_cmp_le_u32_e32 vcc, s41, v7
	v_add_co_u32_e64 v16, s[0:1], 1, v9
	v_cndmask_b32_e64 v12, 0, -1, vcc
	v_cmp_le_u32_e32 vcc, s40, v5
	v_addc_co_u32_e64 v17, s[0:1], 0, v13, s[0:1]
	v_cndmask_b32_e64 v5, 0, -1, vcc
	v_cmp_eq_u32_e32 vcc, s41, v7
	v_cmp_ne_u32_e64 s[0:1], 0, v11
	v_cndmask_b32_e32 v5, v12, v5, vcc
	v_cmp_ne_u32_e32 vcc, 0, v5
	v_cndmask_b32_e64 v7, v16, v14, s[0:1]
	v_cndmask_b32_e64 v11, v17, v15, s[0:1]
	v_cndmask_b32_e32 v7, v9, v7, vcc
	v_cndmask_b32_e32 v5, v13, v11, vcc
	v_xor_b32_e32 v7, v7, v3
	v_xor_b32_e32 v5, v5, v3
	v_sub_co_u32_e32 v12, vcc, v7, v3
	v_subb_co_u32_e32 v13, vcc, v5, v3, vcc
.LBB24_29:                              ;   in Loop: Header=BB24_23 Depth=2
	s_andn2_saveexec_b64 s[0:1], s[36:37]
	s_cbranch_execz .LBB24_31
; %bb.30:                               ;   in Loop: Header=BB24_23 Depth=2
	v_cvt_f32_u32_e32 v3, s50
	s_sub_i32 s16, 0, s50
	v_mov_b32_e32 v13, v2
	v_rcp_iflag_f32_e32 v3, v3
	v_mul_f32_e32 v3, 0x4f7ffffe, v3
	v_cvt_u32_f32_e32 v3, v3
	v_mul_lo_u32 v5, s16, v3
	v_mul_hi_u32 v5, v3, v5
	v_add_u32_e32 v3, v3, v5
	v_mul_hi_u32 v3, v10, v3
	v_mul_lo_u32 v5, v3, s50
	v_add_u32_e32 v7, 1, v3
	v_sub_u32_e32 v5, v10, v5
	v_subrev_u32_e32 v9, s50, v5
	v_cmp_le_u32_e32 vcc, s50, v5
	v_cndmask_b32_e32 v5, v5, v9, vcc
	v_cndmask_b32_e32 v3, v3, v7, vcc
	v_add_u32_e32 v7, 1, v3
	v_cmp_le_u32_e32 vcc, s50, v5
	v_cndmask_b32_e32 v12, v3, v7, vcc
.LBB24_31:                              ;   in Loop: Header=BB24_23 Depth=2
	s_or_b64 exec, exec, s[0:1]
	s_add_u32 s0, s4, s34
	s_addc_u32 s1, s5, s35
	s_add_i32 s16, s30, 5
	s_lshl_b64 s[34:35], s[16:17], 2
	s_add_u32 s36, s42, s34
	s_addc_u32 s37, s43, s35
	s_load_dword s52, s[36:37], 0x8
	s_load_dword s51, s[0:1], 0x6c
                                        ; implicit-def: $vgpr14_vgpr15
	s_waitcnt lgkmcnt(0)
	s_ashr_i32 s0, s52, 31
	v_or_b32_e32 v3, s0, v13
	v_cmp_ne_u64_e32 vcc, 0, v[2:3]
	s_and_saveexec_b64 s[36:37], vcc
	s_xor_b64 s[36:37], exec, s[36:37]
	s_cbranch_execz .LBB24_33
; %bb.32:                               ;   in Loop: Header=BB24_23 Depth=2
	s_ashr_i32 s38, s0, 31
	s_add_u32 s40, s52, s38
	s_mov_b32 s39, s38
	s_addc_u32 s41, s0, s38
	s_xor_b64 s[40:41], s[40:41], s[38:39]
	v_cvt_f32_u32_e32 v3, s40
	v_cvt_f32_u32_e32 v5, s41
	s_sub_u32 s16, 0, s40
	s_subb_u32 s31, 0, s41
	v_mac_f32_e32 v3, 0x4f800000, v5
	v_rcp_f32_e32 v3, v3
	v_mul_f32_e32 v3, 0x5f7ffffc, v3
	v_mul_f32_e32 v5, 0x2f800000, v3
	v_trunc_f32_e32 v5, v5
	v_mac_f32_e32 v3, 0xcf800000, v5
	v_cvt_u32_f32_e32 v5, v5
	v_cvt_u32_f32_e32 v3, v3
	v_readfirstlane_b32 s39, v5
	v_readfirstlane_b32 s0, v3
	s_mul_i32 s1, s16, s39
	s_mul_hi_u32 s54, s16, s0
	s_mul_i32 s53, s31, s0
	s_add_i32 s1, s54, s1
	s_add_i32 s1, s1, s53
	s_mul_i32 s55, s16, s0
	s_mul_i32 s54, s0, s1
	s_mul_hi_u32 s56, s0, s55
	s_mul_hi_u32 s53, s0, s1
	s_add_u32 s54, s56, s54
	s_addc_u32 s53, 0, s53
	s_mul_hi_u32 s57, s39, s55
	s_mul_i32 s55, s39, s55
	s_add_u32 s54, s54, s55
	s_mul_hi_u32 s56, s39, s1
	s_addc_u32 s53, s53, s57
	s_addc_u32 s54, s56, 0
	s_mul_i32 s1, s39, s1
	s_add_u32 s1, s53, s1
	s_addc_u32 s53, 0, s54
	s_add_u32 s54, s0, s1
	s_cselect_b64 s[0:1], -1, 0
	s_cmp_lg_u64 s[0:1], 0
	s_addc_u32 s39, s39, s53
	s_mul_i32 s0, s16, s39
	s_mul_hi_u32 s1, s16, s54
	s_add_i32 s0, s1, s0
	s_mul_i32 s31, s31, s54
	s_add_i32 s0, s0, s31
	s_mul_i32 s16, s16, s54
	s_mul_hi_u32 s31, s39, s16
	s_mul_i32 s53, s39, s16
	s_mul_i32 s56, s54, s0
	s_mul_hi_u32 s16, s54, s16
	s_mul_hi_u32 s55, s54, s0
	s_add_u32 s16, s16, s56
	s_addc_u32 s55, 0, s55
	s_add_u32 s16, s16, s53
	s_mul_hi_u32 s1, s39, s0
	s_addc_u32 s16, s55, s31
	s_addc_u32 s1, s1, 0
	s_mul_i32 s0, s39, s0
	s_add_u32 s0, s16, s0
	s_addc_u32 s16, 0, s1
	s_add_u32 s31, s54, s0
	s_cselect_b64 s[0:1], -1, 0
	v_ashrrev_i32_e32 v3, 31, v13
	s_cmp_lg_u64 s[0:1], 0
	v_add_co_u32_e32 v5, vcc, v12, v3
	s_addc_u32 s16, s39, s16
	v_xor_b32_e32 v5, v5, v3
	v_addc_co_u32_e32 v7, vcc, v13, v3, vcc
	v_mad_u64_u32 v[13:14], s[0:1], v5, s16, 0
	v_mul_hi_u32 v9, v5, s31
	v_xor_b32_e32 v7, v7, v3
	v_mad_u64_u32 v[15:16], s[0:1], v7, s16, 0
	v_add_co_u32_e32 v9, vcc, v9, v13
	v_addc_co_u32_e32 v11, vcc, 0, v14, vcc
	v_mad_u64_u32 v[13:14], s[0:1], v7, s31, 0
	v_xor_b32_e32 v3, s38, v3
	v_add_co_u32_e32 v9, vcc, v9, v13
	v_addc_co_u32_e32 v9, vcc, v11, v14, vcc
	v_addc_co_u32_e32 v11, vcc, 0, v16, vcc
	v_add_co_u32_e32 v9, vcc, v9, v15
	v_addc_co_u32_e32 v11, vcc, 0, v11, vcc
	v_mul_lo_u32 v15, s41, v9
	v_mul_lo_u32 v16, s40, v11
	v_mad_u64_u32 v[13:14], s[0:1], s40, v9, 0
	v_add3_u32 v14, v14, v16, v15
	v_sub_u32_e32 v15, v7, v14
	v_mov_b32_e32 v16, s41
	v_sub_co_u32_e32 v5, vcc, v5, v13
	v_subb_co_u32_e64 v13, s[0:1], v15, v16, vcc
	v_subrev_co_u32_e64 v15, s[0:1], s40, v5
	v_subbrev_co_u32_e64 v13, s[0:1], 0, v13, s[0:1]
	v_cmp_le_u32_e64 s[0:1], s41, v13
	v_cndmask_b32_e64 v16, 0, -1, s[0:1]
	v_cmp_le_u32_e64 s[0:1], s40, v15
	v_cndmask_b32_e64 v15, 0, -1, s[0:1]
	v_cmp_eq_u32_e64 s[0:1], s41, v13
	v_cndmask_b32_e64 v13, v16, v15, s[0:1]
	v_add_co_u32_e64 v15, s[0:1], 2, v9
	v_subb_co_u32_e32 v7, vcc, v7, v14, vcc
	v_addc_co_u32_e64 v16, s[0:1], 0, v11, s[0:1]
	v_cmp_le_u32_e32 vcc, s41, v7
	v_add_co_u32_e64 v17, s[0:1], 1, v9
	v_cndmask_b32_e64 v14, 0, -1, vcc
	v_cmp_le_u32_e32 vcc, s40, v5
	v_addc_co_u32_e64 v18, s[0:1], 0, v11, s[0:1]
	v_cndmask_b32_e64 v5, 0, -1, vcc
	v_cmp_eq_u32_e32 vcc, s41, v7
	v_cmp_ne_u32_e64 s[0:1], 0, v13
	v_cndmask_b32_e32 v5, v14, v5, vcc
	v_cmp_ne_u32_e32 vcc, 0, v5
	v_cndmask_b32_e64 v7, v17, v15, s[0:1]
	v_cndmask_b32_e64 v13, v18, v16, s[0:1]
	v_cndmask_b32_e32 v7, v9, v7, vcc
	v_cndmask_b32_e32 v5, v11, v13, vcc
	v_xor_b32_e32 v7, v7, v3
	v_xor_b32_e32 v5, v5, v3
	v_sub_co_u32_e32 v14, vcc, v7, v3
	v_subb_co_u32_e32 v15, vcc, v5, v3, vcc
.LBB24_33:                              ;   in Loop: Header=BB24_23 Depth=2
	s_andn2_saveexec_b64 s[0:1], s[36:37]
	s_cbranch_execz .LBB24_35
; %bb.34:                               ;   in Loop: Header=BB24_23 Depth=2
	v_cvt_f32_u32_e32 v3, s52
	s_sub_i32 s16, 0, s52
	v_mov_b32_e32 v15, v2
	v_rcp_iflag_f32_e32 v3, v3
	v_mul_f32_e32 v3, 0x4f7ffffe, v3
	v_cvt_u32_f32_e32 v3, v3
	v_mul_lo_u32 v5, s16, v3
	v_mul_hi_u32 v5, v3, v5
	v_add_u32_e32 v3, v3, v5
	v_mul_hi_u32 v3, v12, v3
	v_mul_lo_u32 v5, v3, s52
	v_add_u32_e32 v7, 1, v3
	v_sub_u32_e32 v5, v12, v5
	v_subrev_u32_e32 v9, s52, v5
	v_cmp_le_u32_e32 vcc, s52, v5
	v_cndmask_b32_e32 v5, v5, v9, vcc
	v_cndmask_b32_e32 v3, v3, v7, vcc
	v_add_u32_e32 v7, 1, v3
	v_cmp_le_u32_e32 vcc, s52, v5
	v_cndmask_b32_e32 v14, v3, v7, vcc
.LBB24_35:                              ;   in Loop: Header=BB24_23 Depth=2
	s_or_b64 exec, exec, s[0:1]
	s_add_u32 s0, s4, s34
	s_addc_u32 s1, s5, s35
	s_add_i32 s16, s30, 4
	s_lshl_b64 s[34:35], s[16:17], 2
	s_add_u32 s36, s42, s34
	s_addc_u32 s37, s43, s35
	s_load_dword s54, s[36:37], 0x8
	s_load_dword s53, s[0:1], 0x6c
                                        ; implicit-def: $vgpr16_vgpr17
	s_waitcnt lgkmcnt(0)
	s_ashr_i32 s0, s54, 31
	v_or_b32_e32 v3, s0, v15
	v_cmp_ne_u64_e32 vcc, 0, v[2:3]
	s_and_saveexec_b64 s[36:37], vcc
	s_xor_b64 s[36:37], exec, s[36:37]
	s_cbranch_execz .LBB24_37
; %bb.36:                               ;   in Loop: Header=BB24_23 Depth=2
	s_ashr_i32 s38, s0, 31
	s_add_u32 s40, s54, s38
	s_mov_b32 s39, s38
	s_addc_u32 s41, s0, s38
	s_xor_b64 s[40:41], s[40:41], s[38:39]
	v_cvt_f32_u32_e32 v3, s40
	v_cvt_f32_u32_e32 v5, s41
	s_sub_u32 s16, 0, s40
	s_subb_u32 s31, 0, s41
	v_mac_f32_e32 v3, 0x4f800000, v5
	v_rcp_f32_e32 v3, v3
	v_mul_f32_e32 v3, 0x5f7ffffc, v3
	v_mul_f32_e32 v5, 0x2f800000, v3
	v_trunc_f32_e32 v5, v5
	v_mac_f32_e32 v3, 0xcf800000, v5
	v_cvt_u32_f32_e32 v5, v5
	v_cvt_u32_f32_e32 v3, v3
	v_readfirstlane_b32 s39, v5
	v_readfirstlane_b32 s0, v3
	s_mul_i32 s1, s16, s39
	s_mul_hi_u32 s56, s16, s0
	s_mul_i32 s55, s31, s0
	s_add_i32 s1, s56, s1
	s_add_i32 s1, s1, s55
	s_mul_i32 s57, s16, s0
	s_mul_i32 s56, s0, s1
	s_mul_hi_u32 s58, s0, s57
	s_mul_hi_u32 s55, s0, s1
	s_add_u32 s56, s58, s56
	s_addc_u32 s55, 0, s55
	s_mul_hi_u32 s59, s39, s57
	s_mul_i32 s57, s39, s57
	s_add_u32 s56, s56, s57
	s_mul_hi_u32 s58, s39, s1
	s_addc_u32 s55, s55, s59
	s_addc_u32 s56, s58, 0
	s_mul_i32 s1, s39, s1
	s_add_u32 s1, s55, s1
	s_addc_u32 s55, 0, s56
	s_add_u32 s56, s0, s1
	s_cselect_b64 s[0:1], -1, 0
	s_cmp_lg_u64 s[0:1], 0
	s_addc_u32 s39, s39, s55
	s_mul_i32 s0, s16, s39
	s_mul_hi_u32 s1, s16, s56
	s_add_i32 s0, s1, s0
	s_mul_i32 s31, s31, s56
	s_add_i32 s0, s0, s31
	s_mul_i32 s16, s16, s56
	s_mul_hi_u32 s31, s39, s16
	s_mul_i32 s55, s39, s16
	s_mul_i32 s58, s56, s0
	s_mul_hi_u32 s16, s56, s16
	s_mul_hi_u32 s57, s56, s0
	s_add_u32 s16, s16, s58
	s_addc_u32 s57, 0, s57
	s_add_u32 s16, s16, s55
	s_mul_hi_u32 s1, s39, s0
	s_addc_u32 s16, s57, s31
	s_addc_u32 s1, s1, 0
	s_mul_i32 s0, s39, s0
	s_add_u32 s0, s16, s0
	s_addc_u32 s16, 0, s1
	s_add_u32 s31, s56, s0
	s_cselect_b64 s[0:1], -1, 0
	v_ashrrev_i32_e32 v3, 31, v15
	s_cmp_lg_u64 s[0:1], 0
	v_add_co_u32_e32 v5, vcc, v14, v3
	s_addc_u32 s16, s39, s16
	v_xor_b32_e32 v5, v5, v3
	v_addc_co_u32_e32 v7, vcc, v15, v3, vcc
	v_mad_u64_u32 v[15:16], s[0:1], v5, s16, 0
	v_mul_hi_u32 v9, v5, s31
	v_xor_b32_e32 v7, v7, v3
	v_mad_u64_u32 v[17:18], s[0:1], v7, s16, 0
	v_add_co_u32_e32 v9, vcc, v9, v15
	v_addc_co_u32_e32 v11, vcc, 0, v16, vcc
	v_mad_u64_u32 v[15:16], s[0:1], v7, s31, 0
	v_xor_b32_e32 v3, s38, v3
	v_add_co_u32_e32 v9, vcc, v9, v15
	v_addc_co_u32_e32 v9, vcc, v11, v16, vcc
	v_addc_co_u32_e32 v11, vcc, 0, v18, vcc
	v_add_co_u32_e32 v9, vcc, v9, v17
	v_addc_co_u32_e32 v11, vcc, 0, v11, vcc
	v_mul_lo_u32 v13, s41, v9
	v_mul_lo_u32 v17, s40, v11
	v_mad_u64_u32 v[15:16], s[0:1], s40, v9, 0
	v_add3_u32 v13, v16, v17, v13
	v_sub_u32_e32 v16, v7, v13
	v_mov_b32_e32 v17, s41
	v_sub_co_u32_e32 v5, vcc, v5, v15
	v_subb_co_u32_e64 v15, s[0:1], v16, v17, vcc
	v_subrev_co_u32_e64 v16, s[0:1], s40, v5
	v_subbrev_co_u32_e64 v15, s[0:1], 0, v15, s[0:1]
	v_cmp_le_u32_e64 s[0:1], s41, v15
	v_cndmask_b32_e64 v17, 0, -1, s[0:1]
	v_cmp_le_u32_e64 s[0:1], s40, v16
	v_cndmask_b32_e64 v16, 0, -1, s[0:1]
	v_cmp_eq_u32_e64 s[0:1], s41, v15
	v_cndmask_b32_e64 v15, v17, v16, s[0:1]
	v_add_co_u32_e64 v16, s[0:1], 2, v9
	v_subb_co_u32_e32 v7, vcc, v7, v13, vcc
	v_addc_co_u32_e64 v17, s[0:1], 0, v11, s[0:1]
	v_cmp_le_u32_e32 vcc, s41, v7
	v_add_co_u32_e64 v18, s[0:1], 1, v9
	v_cndmask_b32_e64 v13, 0, -1, vcc
	v_cmp_le_u32_e32 vcc, s40, v5
	v_addc_co_u32_e64 v19, s[0:1], 0, v11, s[0:1]
	v_cndmask_b32_e64 v5, 0, -1, vcc
	v_cmp_eq_u32_e32 vcc, s41, v7
	v_cmp_ne_u32_e64 s[0:1], 0, v15
	v_cndmask_b32_e32 v5, v13, v5, vcc
	v_cmp_ne_u32_e32 vcc, 0, v5
	v_cndmask_b32_e64 v7, v18, v16, s[0:1]
	v_cndmask_b32_e64 v15, v19, v17, s[0:1]
	v_cndmask_b32_e32 v7, v9, v7, vcc
	v_cndmask_b32_e32 v5, v11, v15, vcc
	v_xor_b32_e32 v7, v7, v3
	v_xor_b32_e32 v5, v5, v3
	v_sub_co_u32_e32 v16, vcc, v7, v3
	v_subb_co_u32_e32 v17, vcc, v5, v3, vcc
.LBB24_37:                              ;   in Loop: Header=BB24_23 Depth=2
	s_andn2_saveexec_b64 s[0:1], s[36:37]
	s_cbranch_execz .LBB24_39
; %bb.38:                               ;   in Loop: Header=BB24_23 Depth=2
	v_cvt_f32_u32_e32 v3, s54
	s_sub_i32 s16, 0, s54
	v_mov_b32_e32 v17, v2
	v_rcp_iflag_f32_e32 v3, v3
	v_mul_f32_e32 v3, 0x4f7ffffe, v3
	v_cvt_u32_f32_e32 v3, v3
	v_mul_lo_u32 v5, s16, v3
	v_mul_hi_u32 v5, v3, v5
	v_add_u32_e32 v3, v3, v5
	v_mul_hi_u32 v3, v14, v3
	v_mul_lo_u32 v5, v3, s54
	v_add_u32_e32 v7, 1, v3
	v_sub_u32_e32 v5, v14, v5
	v_subrev_u32_e32 v9, s54, v5
	v_cmp_le_u32_e32 vcc, s54, v5
	v_cndmask_b32_e32 v5, v5, v9, vcc
	v_cndmask_b32_e32 v3, v3, v7, vcc
	v_add_u32_e32 v7, 1, v3
	v_cmp_le_u32_e32 vcc, s54, v5
	v_cndmask_b32_e32 v16, v3, v7, vcc
.LBB24_39:                              ;   in Loop: Header=BB24_23 Depth=2
	s_or_b64 exec, exec, s[0:1]
	s_add_u32 s0, s4, s34
	s_addc_u32 s1, s5, s35
	s_add_i32 s16, s30, 3
	s_lshl_b64 s[34:35], s[16:17], 2
	s_add_u32 s36, s42, s34
	s_addc_u32 s37, s43, s35
	s_load_dword s55, s[36:37], 0x8
	s_load_dword s56, s[0:1], 0x6c
                                        ; implicit-def: $vgpr18_vgpr19
	s_waitcnt lgkmcnt(0)
	s_ashr_i32 s0, s55, 31
	v_or_b32_e32 v3, s0, v17
	v_cmp_ne_u64_e32 vcc, 0, v[2:3]
	s_and_saveexec_b64 s[36:37], vcc
	s_xor_b64 s[36:37], exec, s[36:37]
	s_cbranch_execz .LBB24_41
; %bb.40:                               ;   in Loop: Header=BB24_23 Depth=2
	s_ashr_i32 s38, s0, 31
	s_add_u32 s40, s55, s38
	s_mov_b32 s39, s38
	s_addc_u32 s41, s0, s38
	s_xor_b64 s[40:41], s[40:41], s[38:39]
	v_cvt_f32_u32_e32 v3, s40
	v_cvt_f32_u32_e32 v5, s41
	s_sub_u32 s16, 0, s40
	s_subb_u32 s31, 0, s41
	v_mac_f32_e32 v3, 0x4f800000, v5
	v_rcp_f32_e32 v3, v3
	v_mul_f32_e32 v3, 0x5f7ffffc, v3
	v_mul_f32_e32 v5, 0x2f800000, v3
	v_trunc_f32_e32 v5, v5
	v_mac_f32_e32 v3, 0xcf800000, v5
	v_cvt_u32_f32_e32 v5, v5
	v_cvt_u32_f32_e32 v3, v3
	v_readfirstlane_b32 s39, v5
	v_readfirstlane_b32 s0, v3
	s_mul_i32 s1, s16, s39
	s_mul_hi_u32 s58, s16, s0
	s_mul_i32 s57, s31, s0
	s_add_i32 s1, s58, s1
	s_add_i32 s1, s1, s57
	s_mul_i32 s59, s16, s0
	s_mul_i32 s58, s0, s1
	s_mul_hi_u32 s60, s0, s59
	s_mul_hi_u32 s57, s0, s1
	s_add_u32 s58, s60, s58
	s_addc_u32 s57, 0, s57
	s_mul_hi_u32 s61, s39, s59
	s_mul_i32 s59, s39, s59
	s_add_u32 s58, s58, s59
	s_mul_hi_u32 s60, s39, s1
	s_addc_u32 s57, s57, s61
	s_addc_u32 s58, s60, 0
	s_mul_i32 s1, s39, s1
	s_add_u32 s1, s57, s1
	s_addc_u32 s57, 0, s58
	s_add_u32 s58, s0, s1
	s_cselect_b64 s[0:1], -1, 0
	s_cmp_lg_u64 s[0:1], 0
	s_addc_u32 s39, s39, s57
	s_mul_i32 s0, s16, s39
	s_mul_hi_u32 s1, s16, s58
	s_add_i32 s0, s1, s0
	s_mul_i32 s31, s31, s58
	s_add_i32 s0, s0, s31
	s_mul_i32 s16, s16, s58
	s_mul_hi_u32 s31, s39, s16
	s_mul_i32 s57, s39, s16
	s_mul_i32 s60, s58, s0
	s_mul_hi_u32 s16, s58, s16
	s_mul_hi_u32 s59, s58, s0
	s_add_u32 s16, s16, s60
	s_addc_u32 s59, 0, s59
	s_add_u32 s16, s16, s57
	s_mul_hi_u32 s1, s39, s0
	s_addc_u32 s16, s59, s31
	s_addc_u32 s1, s1, 0
	s_mul_i32 s0, s39, s0
	s_add_u32 s0, s16, s0
	s_addc_u32 s16, 0, s1
	s_add_u32 s31, s58, s0
	s_cselect_b64 s[0:1], -1, 0
	v_ashrrev_i32_e32 v3, 31, v17
	s_cmp_lg_u64 s[0:1], 0
	v_add_co_u32_e32 v5, vcc, v16, v3
	s_addc_u32 s16, s39, s16
	v_xor_b32_e32 v5, v5, v3
	v_addc_co_u32_e32 v7, vcc, v17, v3, vcc
	v_mad_u64_u32 v[17:18], s[0:1], v5, s16, 0
	v_mul_hi_u32 v9, v5, s31
	v_xor_b32_e32 v7, v7, v3
	v_mad_u64_u32 v[19:20], s[0:1], v7, s16, 0
	v_add_co_u32_e32 v9, vcc, v9, v17
	v_addc_co_u32_e32 v11, vcc, 0, v18, vcc
	v_mad_u64_u32 v[17:18], s[0:1], v7, s31, 0
	v_xor_b32_e32 v3, s38, v3
	v_add_co_u32_e32 v9, vcc, v9, v17
	v_addc_co_u32_e32 v9, vcc, v11, v18, vcc
	v_addc_co_u32_e32 v11, vcc, 0, v20, vcc
	v_add_co_u32_e32 v9, vcc, v9, v19
	v_addc_co_u32_e32 v11, vcc, 0, v11, vcc
	v_mul_lo_u32 v13, s41, v9
	v_mul_lo_u32 v15, s40, v11
	v_mad_u64_u32 v[17:18], s[0:1], s40, v9, 0
	v_add3_u32 v13, v18, v15, v13
	v_sub_u32_e32 v15, v7, v13
	v_mov_b32_e32 v18, s41
	v_sub_co_u32_e32 v5, vcc, v5, v17
	v_subb_co_u32_e64 v15, s[0:1], v15, v18, vcc
	v_subrev_co_u32_e64 v17, s[0:1], s40, v5
	v_subbrev_co_u32_e64 v15, s[0:1], 0, v15, s[0:1]
	v_cmp_le_u32_e64 s[0:1], s41, v15
	v_cndmask_b32_e64 v18, 0, -1, s[0:1]
	v_cmp_le_u32_e64 s[0:1], s40, v17
	v_cndmask_b32_e64 v17, 0, -1, s[0:1]
	v_cmp_eq_u32_e64 s[0:1], s41, v15
	v_cndmask_b32_e64 v15, v18, v17, s[0:1]
	v_add_co_u32_e64 v17, s[0:1], 2, v9
	v_subb_co_u32_e32 v7, vcc, v7, v13, vcc
	v_addc_co_u32_e64 v18, s[0:1], 0, v11, s[0:1]
	v_cmp_le_u32_e32 vcc, s41, v7
	v_add_co_u32_e64 v19, s[0:1], 1, v9
	v_cndmask_b32_e64 v13, 0, -1, vcc
	v_cmp_le_u32_e32 vcc, s40, v5
	v_addc_co_u32_e64 v20, s[0:1], 0, v11, s[0:1]
	v_cndmask_b32_e64 v5, 0, -1, vcc
	v_cmp_eq_u32_e32 vcc, s41, v7
	v_cmp_ne_u32_e64 s[0:1], 0, v15
	v_cndmask_b32_e32 v5, v13, v5, vcc
	v_cmp_ne_u32_e32 vcc, 0, v5
	v_cndmask_b32_e64 v7, v19, v17, s[0:1]
	v_cndmask_b32_e64 v15, v20, v18, s[0:1]
	v_cndmask_b32_e32 v7, v9, v7, vcc
	v_cndmask_b32_e32 v5, v11, v15, vcc
	v_xor_b32_e32 v7, v7, v3
	v_xor_b32_e32 v5, v5, v3
	v_sub_co_u32_e32 v18, vcc, v7, v3
	v_subb_co_u32_e32 v19, vcc, v5, v3, vcc
.LBB24_41:                              ;   in Loop: Header=BB24_23 Depth=2
	s_andn2_saveexec_b64 s[0:1], s[36:37]
	s_cbranch_execz .LBB24_43
; %bb.42:                               ;   in Loop: Header=BB24_23 Depth=2
	v_cvt_f32_u32_e32 v3, s55
	s_sub_i32 s16, 0, s55
	v_mov_b32_e32 v19, v2
	v_rcp_iflag_f32_e32 v3, v3
	v_mul_f32_e32 v3, 0x4f7ffffe, v3
	v_cvt_u32_f32_e32 v3, v3
	v_mul_lo_u32 v5, s16, v3
	v_mul_hi_u32 v5, v3, v5
	v_add_u32_e32 v3, v3, v5
	v_mul_hi_u32 v3, v16, v3
	v_mul_lo_u32 v5, v3, s55
	v_add_u32_e32 v7, 1, v3
	v_sub_u32_e32 v5, v16, v5
	v_subrev_u32_e32 v9, s55, v5
	v_cmp_le_u32_e32 vcc, s55, v5
	v_cndmask_b32_e32 v5, v5, v9, vcc
	v_cndmask_b32_e32 v3, v3, v7, vcc
	v_add_u32_e32 v7, 1, v3
	v_cmp_le_u32_e32 vcc, s55, v5
	v_cndmask_b32_e32 v18, v3, v7, vcc
.LBB24_43:                              ;   in Loop: Header=BB24_23 Depth=2
	s_or_b64 exec, exec, s[0:1]
	s_add_u32 s0, s4, s34
	s_addc_u32 s1, s5, s35
	s_add_i32 s16, s30, 2
	s_lshl_b64 s[34:35], s[16:17], 2
	s_add_u32 s36, s42, s34
	s_addc_u32 s37, s43, s35
	s_load_dword s58, s[36:37], 0x8
	s_load_dword s57, s[0:1], 0x6c
                                        ; implicit-def: $vgpr20_vgpr21
	s_waitcnt lgkmcnt(0)
	s_ashr_i32 s0, s58, 31
	v_or_b32_e32 v3, s0, v19
	v_cmp_ne_u64_e32 vcc, 0, v[2:3]
	s_and_saveexec_b64 s[36:37], vcc
	s_xor_b64 s[36:37], exec, s[36:37]
	s_cbranch_execz .LBB24_45
; %bb.44:                               ;   in Loop: Header=BB24_23 Depth=2
	s_ashr_i32 s38, s0, 31
	s_add_u32 s40, s58, s38
	s_mov_b32 s39, s38
	s_addc_u32 s41, s0, s38
	s_xor_b64 s[40:41], s[40:41], s[38:39]
	v_cvt_f32_u32_e32 v3, s40
	v_cvt_f32_u32_e32 v5, s41
	s_sub_u32 s16, 0, s40
	s_subb_u32 s31, 0, s41
	v_mov_b32_e32 v17, s41
	v_mac_f32_e32 v3, 0x4f800000, v5
	v_rcp_f32_e32 v3, v3
	v_mul_f32_e32 v3, 0x5f7ffffc, v3
	v_mul_f32_e32 v5, 0x2f800000, v3
	v_trunc_f32_e32 v5, v5
	v_mac_f32_e32 v3, 0xcf800000, v5
	v_cvt_u32_f32_e32 v5, v5
	v_cvt_u32_f32_e32 v3, v3
	v_readfirstlane_b32 s39, v5
	v_readfirstlane_b32 s0, v3
	s_mul_i32 s1, s16, s39
	s_mul_hi_u32 s60, s16, s0
	s_mul_i32 s59, s31, s0
	s_add_i32 s1, s60, s1
	s_add_i32 s1, s1, s59
	s_mul_i32 s61, s16, s0
	s_mul_i32 s60, s0, s1
	s_mul_hi_u32 s62, s0, s61
	s_mul_hi_u32 s59, s0, s1
	s_add_u32 s60, s62, s60
	s_addc_u32 s59, 0, s59
	s_mul_hi_u32 s63, s39, s61
	s_mul_i32 s61, s39, s61
	s_add_u32 s60, s60, s61
	s_mul_hi_u32 s62, s39, s1
	s_addc_u32 s59, s59, s63
	s_addc_u32 s60, s62, 0
	s_mul_i32 s1, s39, s1
	s_add_u32 s1, s59, s1
	s_addc_u32 s59, 0, s60
	s_add_u32 s60, s0, s1
	s_cselect_b64 s[0:1], -1, 0
	s_cmp_lg_u64 s[0:1], 0
	s_addc_u32 s39, s39, s59
	s_mul_i32 s0, s16, s39
	s_mul_hi_u32 s1, s16, s60
	s_add_i32 s0, s1, s0
	s_mul_i32 s31, s31, s60
	s_add_i32 s0, s0, s31
	s_mul_i32 s16, s16, s60
	s_mul_hi_u32 s31, s39, s16
	s_mul_i32 s59, s39, s16
	s_mul_i32 s62, s60, s0
	s_mul_hi_u32 s16, s60, s16
	s_mul_hi_u32 s61, s60, s0
	s_add_u32 s16, s16, s62
	s_addc_u32 s61, 0, s61
	s_add_u32 s16, s16, s59
	s_mul_hi_u32 s1, s39, s0
	s_addc_u32 s16, s61, s31
	s_addc_u32 s1, s1, 0
	s_mul_i32 s0, s39, s0
	s_add_u32 s0, s16, s0
	s_addc_u32 s16, 0, s1
	s_add_u32 s31, s60, s0
	s_cselect_b64 s[0:1], -1, 0
	v_ashrrev_i32_e32 v3, 31, v19
	s_cmp_lg_u64 s[0:1], 0
	v_add_co_u32_e32 v5, vcc, v18, v3
	s_addc_u32 s16, s39, s16
	v_xor_b32_e32 v5, v5, v3
	v_addc_co_u32_e32 v7, vcc, v19, v3, vcc
	v_mad_u64_u32 v[19:20], s[0:1], v5, s16, 0
	v_mul_hi_u32 v9, v5, s31
	v_xor_b32_e32 v7, v7, v3
	v_mad_u64_u32 v[21:22], s[0:1], v7, s16, 0
	v_add_co_u32_e32 v9, vcc, v9, v19
	v_addc_co_u32_e32 v11, vcc, 0, v20, vcc
	v_mad_u64_u32 v[19:20], s[0:1], v7, s31, 0
	v_xor_b32_e32 v3, s38, v3
	v_add_co_u32_e32 v9, vcc, v9, v19
	v_addc_co_u32_e32 v9, vcc, v11, v20, vcc
	v_addc_co_u32_e32 v11, vcc, 0, v22, vcc
	v_add_co_u32_e32 v9, vcc, v9, v21
	v_addc_co_u32_e32 v11, vcc, 0, v11, vcc
	v_mul_lo_u32 v13, s41, v9
	v_mul_lo_u32 v15, s40, v11
	v_mad_u64_u32 v[19:20], s[0:1], s40, v9, 0
	v_add3_u32 v13, v20, v15, v13
	v_sub_u32_e32 v15, v7, v13
	v_sub_co_u32_e32 v5, vcc, v5, v19
	v_subb_co_u32_e64 v15, s[0:1], v15, v17, vcc
	v_subrev_co_u32_e64 v17, s[0:1], s40, v5
	v_subbrev_co_u32_e64 v15, s[0:1], 0, v15, s[0:1]
	v_cmp_le_u32_e64 s[0:1], s41, v15
	v_cndmask_b32_e64 v19, 0, -1, s[0:1]
	v_cmp_le_u32_e64 s[0:1], s40, v17
	v_cndmask_b32_e64 v17, 0, -1, s[0:1]
	v_cmp_eq_u32_e64 s[0:1], s41, v15
	v_cndmask_b32_e64 v15, v19, v17, s[0:1]
	v_add_co_u32_e64 v17, s[0:1], 2, v9
	v_subb_co_u32_e32 v7, vcc, v7, v13, vcc
	v_addc_co_u32_e64 v19, s[0:1], 0, v11, s[0:1]
	v_cmp_le_u32_e32 vcc, s41, v7
	v_add_co_u32_e64 v20, s[0:1], 1, v9
	v_cndmask_b32_e64 v13, 0, -1, vcc
	v_cmp_le_u32_e32 vcc, s40, v5
	v_addc_co_u32_e64 v21, s[0:1], 0, v11, s[0:1]
	v_cndmask_b32_e64 v5, 0, -1, vcc
	v_cmp_eq_u32_e32 vcc, s41, v7
	v_cmp_ne_u32_e64 s[0:1], 0, v15
	v_cndmask_b32_e32 v5, v13, v5, vcc
	v_cmp_ne_u32_e32 vcc, 0, v5
	v_cndmask_b32_e64 v7, v20, v17, s[0:1]
	v_cndmask_b32_e64 v15, v21, v19, s[0:1]
	v_cndmask_b32_e32 v7, v9, v7, vcc
	v_cndmask_b32_e32 v5, v11, v15, vcc
	v_xor_b32_e32 v7, v7, v3
	v_xor_b32_e32 v5, v5, v3
	v_sub_co_u32_e32 v20, vcc, v7, v3
	v_subb_co_u32_e32 v21, vcc, v5, v3, vcc
.LBB24_45:                              ;   in Loop: Header=BB24_23 Depth=2
	s_andn2_saveexec_b64 s[0:1], s[36:37]
	s_cbranch_execz .LBB24_47
; %bb.46:                               ;   in Loop: Header=BB24_23 Depth=2
	v_cvt_f32_u32_e32 v3, s58
	s_sub_i32 s16, 0, s58
	v_mov_b32_e32 v21, v2
	v_rcp_iflag_f32_e32 v3, v3
	v_mul_f32_e32 v3, 0x4f7ffffe, v3
	v_cvt_u32_f32_e32 v3, v3
	v_mul_lo_u32 v5, s16, v3
	v_mul_hi_u32 v5, v3, v5
	v_add_u32_e32 v3, v3, v5
	v_mul_hi_u32 v3, v18, v3
	v_mul_lo_u32 v5, v3, s58
	v_add_u32_e32 v7, 1, v3
	v_sub_u32_e32 v5, v18, v5
	v_subrev_u32_e32 v9, s58, v5
	v_cmp_le_u32_e32 vcc, s58, v5
	v_cndmask_b32_e32 v5, v5, v9, vcc
	v_cndmask_b32_e32 v3, v3, v7, vcc
	v_add_u32_e32 v7, 1, v3
	v_cmp_le_u32_e32 vcc, s58, v5
	v_cndmask_b32_e32 v20, v3, v7, vcc
.LBB24_47:                              ;   in Loop: Header=BB24_23 Depth=2
	s_or_b64 exec, exec, s[0:1]
	s_add_u32 s0, s4, s34
	s_addc_u32 s1, s5, s35
	s_add_i32 s16, s30, 1
	s_lshl_b64 s[34:35], s[16:17], 2
	s_add_u32 s36, s42, s34
	s_addc_u32 s37, s43, s35
	s_load_dword s59, s[36:37], 0x8
	s_load_dword s16, s[0:1], 0x6c
                                        ; implicit-def: $vgpr22_vgpr23
	s_waitcnt lgkmcnt(0)
	s_ashr_i32 s0, s59, 31
	v_or_b32_e32 v3, s0, v21
	v_cmp_ne_u64_e32 vcc, 0, v[2:3]
	s_and_saveexec_b64 s[36:37], vcc
	s_xor_b64 s[36:37], exec, s[36:37]
	s_cbranch_execz .LBB24_49
; %bb.48:                               ;   in Loop: Header=BB24_23 Depth=2
	s_ashr_i32 s38, s0, 31
	s_add_u32 s40, s59, s38
	s_mov_b32 s39, s38
	s_addc_u32 s41, s0, s38
	s_xor_b64 s[40:41], s[40:41], s[38:39]
	v_cvt_f32_u32_e32 v3, s40
	v_cvt_f32_u32_e32 v5, s41
	s_sub_u32 s31, 0, s40
	s_subb_u32 s39, 0, s41
	v_mov_b32_e32 v17, s41
	v_mac_f32_e32 v3, 0x4f800000, v5
	v_rcp_f32_e32 v3, v3
	v_mul_f32_e32 v3, 0x5f7ffffc, v3
	v_mul_f32_e32 v5, 0x2f800000, v3
	v_trunc_f32_e32 v5, v5
	v_mac_f32_e32 v3, 0xcf800000, v5
	v_cvt_u32_f32_e32 v5, v5
	v_cvt_u32_f32_e32 v3, v3
	v_readfirstlane_b32 s60, v5
	v_readfirstlane_b32 s0, v3
	s_mul_i32 s1, s31, s60
	s_mul_hi_u32 s62, s31, s0
	s_mul_i32 s61, s39, s0
	s_add_i32 s1, s62, s1
	s_add_i32 s1, s1, s61
	s_mul_i32 s63, s31, s0
	s_mul_i32 s62, s0, s1
	s_mul_hi_u32 s64, s0, s63
	s_mul_hi_u32 s61, s0, s1
	s_add_u32 s62, s64, s62
	s_addc_u32 s61, 0, s61
	s_mul_hi_u32 s65, s60, s63
	s_mul_i32 s63, s60, s63
	s_add_u32 s62, s62, s63
	s_mul_hi_u32 s64, s60, s1
	s_addc_u32 s61, s61, s65
	s_addc_u32 s62, s64, 0
	s_mul_i32 s1, s60, s1
	s_add_u32 s1, s61, s1
	s_addc_u32 s61, 0, s62
	s_add_u32 s62, s0, s1
	s_cselect_b64 s[0:1], -1, 0
	s_cmp_lg_u64 s[0:1], 0
	s_addc_u32 s60, s60, s61
	s_mul_i32 s0, s31, s60
	s_mul_hi_u32 s1, s31, s62
	s_add_i32 s0, s1, s0
	s_mul_i32 s39, s39, s62
	s_add_i32 s0, s0, s39
	s_mul_i32 s31, s31, s62
	s_mul_hi_u32 s39, s60, s31
	s_mul_i32 s61, s60, s31
	s_mul_i32 s64, s62, s0
	s_mul_hi_u32 s31, s62, s31
	s_mul_hi_u32 s63, s62, s0
	s_add_u32 s31, s31, s64
	s_addc_u32 s63, 0, s63
	s_add_u32 s31, s31, s61
	s_mul_hi_u32 s1, s60, s0
	s_addc_u32 s31, s63, s39
	s_addc_u32 s1, s1, 0
	s_mul_i32 s0, s60, s0
	s_add_u32 s0, s31, s0
	s_addc_u32 s31, 0, s1
	s_add_u32 s39, s62, s0
	s_cselect_b64 s[0:1], -1, 0
	v_ashrrev_i32_e32 v3, 31, v21
	s_cmp_lg_u64 s[0:1], 0
	v_add_co_u32_e32 v5, vcc, v20, v3
	s_addc_u32 s31, s60, s31
	v_xor_b32_e32 v5, v5, v3
	v_addc_co_u32_e32 v7, vcc, v21, v3, vcc
	v_mad_u64_u32 v[21:22], s[0:1], v5, s31, 0
	v_mul_hi_u32 v9, v5, s39
	v_xor_b32_e32 v7, v7, v3
	v_mad_u64_u32 v[23:24], s[0:1], v7, s31, 0
	v_add_co_u32_e32 v9, vcc, v9, v21
	v_addc_co_u32_e32 v11, vcc, 0, v22, vcc
	v_mad_u64_u32 v[21:22], s[0:1], v7, s39, 0
	v_xor_b32_e32 v3, s38, v3
	v_add_co_u32_e32 v9, vcc, v9, v21
	v_addc_co_u32_e32 v9, vcc, v11, v22, vcc
	v_addc_co_u32_e32 v11, vcc, 0, v24, vcc
	v_add_co_u32_e32 v9, vcc, v9, v23
	v_addc_co_u32_e32 v11, vcc, 0, v11, vcc
	v_mul_lo_u32 v13, s41, v9
	v_mul_lo_u32 v15, s40, v11
	v_mad_u64_u32 v[21:22], s[0:1], s40, v9, 0
	v_add3_u32 v13, v22, v15, v13
	v_sub_u32_e32 v15, v7, v13
	v_sub_co_u32_e32 v5, vcc, v5, v21
	v_subb_co_u32_e64 v15, s[0:1], v15, v17, vcc
	v_subrev_co_u32_e64 v17, s[0:1], s40, v5
	v_subbrev_co_u32_e64 v15, s[0:1], 0, v15, s[0:1]
	v_cmp_le_u32_e64 s[0:1], s41, v15
	v_cndmask_b32_e64 v19, 0, -1, s[0:1]
	v_cmp_le_u32_e64 s[0:1], s40, v17
	v_cndmask_b32_e64 v17, 0, -1, s[0:1]
	v_cmp_eq_u32_e64 s[0:1], s41, v15
	v_cndmask_b32_e64 v15, v19, v17, s[0:1]
	v_add_co_u32_e64 v17, s[0:1], 2, v9
	v_subb_co_u32_e32 v7, vcc, v7, v13, vcc
	v_addc_co_u32_e64 v19, s[0:1], 0, v11, s[0:1]
	v_cmp_le_u32_e32 vcc, s41, v7
	v_add_co_u32_e64 v21, s[0:1], 1, v9
	v_cndmask_b32_e64 v13, 0, -1, vcc
	v_cmp_le_u32_e32 vcc, s40, v5
	v_addc_co_u32_e64 v22, s[0:1], 0, v11, s[0:1]
	v_cndmask_b32_e64 v5, 0, -1, vcc
	v_cmp_eq_u32_e32 vcc, s41, v7
	v_cmp_ne_u32_e64 s[0:1], 0, v15
	v_cndmask_b32_e32 v5, v13, v5, vcc
	v_cmp_ne_u32_e32 vcc, 0, v5
	v_cndmask_b32_e64 v7, v21, v17, s[0:1]
	v_cndmask_b32_e64 v15, v22, v19, s[0:1]
	v_cndmask_b32_e32 v7, v9, v7, vcc
	v_cndmask_b32_e32 v5, v11, v15, vcc
	v_xor_b32_e32 v7, v7, v3
	v_xor_b32_e32 v5, v5, v3
	v_sub_co_u32_e32 v22, vcc, v7, v3
	v_subb_co_u32_e32 v23, vcc, v5, v3, vcc
.LBB24_49:                              ;   in Loop: Header=BB24_23 Depth=2
	s_andn2_saveexec_b64 s[0:1], s[36:37]
	s_cbranch_execz .LBB24_51
; %bb.50:                               ;   in Loop: Header=BB24_23 Depth=2
	v_cvt_f32_u32_e32 v3, s59
	s_sub_i32 s31, 0, s59
	v_mov_b32_e32 v23, v2
	v_rcp_iflag_f32_e32 v3, v3
	v_mul_f32_e32 v3, 0x4f7ffffe, v3
	v_cvt_u32_f32_e32 v3, v3
	v_mul_lo_u32 v5, s31, v3
	v_mul_hi_u32 v5, v3, v5
	v_add_u32_e32 v3, v3, v5
	v_mul_hi_u32 v3, v20, v3
	v_mul_lo_u32 v5, v3, s59
	v_add_u32_e32 v7, 1, v3
	v_sub_u32_e32 v5, v20, v5
	v_subrev_u32_e32 v9, s59, v5
	v_cmp_le_u32_e32 vcc, s59, v5
	v_cndmask_b32_e32 v5, v5, v9, vcc
	v_cndmask_b32_e32 v3, v3, v7, vcc
	v_add_u32_e32 v7, 1, v3
	v_cmp_le_u32_e32 vcc, s59, v5
	v_cndmask_b32_e32 v22, v3, v7, vcc
.LBB24_51:                              ;   in Loop: Header=BB24_23 Depth=2
	s_or_b64 exec, exec, s[0:1]
	s_add_u32 s0, s4, s34
	s_mov_b32 s31, s17
	s_addc_u32 s1, s5, s35
	s_lshl_b64 s[34:35], s[30:31], 2
	s_add_u32 s36, s42, s34
	s_addc_u32 s37, s43, s35
	s_load_dword s60, s[36:37], 0x8
	s_load_dword s31, s[0:1], 0x6c
                                        ; implicit-def: $vgpr24_vgpr25
	s_waitcnt lgkmcnt(0)
	s_ashr_i32 s0, s60, 31
	v_or_b32_e32 v3, s0, v23
	v_cmp_ne_u64_e32 vcc, 0, v[2:3]
	s_and_saveexec_b64 s[36:37], vcc
	s_xor_b64 s[36:37], exec, s[36:37]
	s_cbranch_execz .LBB24_53
; %bb.52:                               ;   in Loop: Header=BB24_23 Depth=2
	s_ashr_i32 s38, s0, 31
	s_add_u32 s40, s60, s38
	s_mov_b32 s39, s38
	s_addc_u32 s41, s0, s38
	s_xor_b64 s[40:41], s[40:41], s[38:39]
	v_cvt_f32_u32_e32 v3, s40
	v_cvt_f32_u32_e32 v5, s41
	s_sub_u32 s39, 0, s40
	s_subb_u32 s61, 0, s41
	v_mov_b32_e32 v17, s41
	v_mac_f32_e32 v3, 0x4f800000, v5
	v_rcp_f32_e32 v3, v3
	v_mul_f32_e32 v3, 0x5f7ffffc, v3
	v_mul_f32_e32 v5, 0x2f800000, v3
	v_trunc_f32_e32 v5, v5
	v_mac_f32_e32 v3, 0xcf800000, v5
	v_cvt_u32_f32_e32 v5, v5
	v_cvt_u32_f32_e32 v3, v3
	v_readfirstlane_b32 s62, v5
	v_readfirstlane_b32 s0, v3
	s_mul_i32 s1, s39, s62
	s_mul_hi_u32 s64, s39, s0
	s_mul_i32 s63, s61, s0
	s_add_i32 s1, s64, s1
	s_add_i32 s1, s1, s63
	s_mul_i32 s65, s39, s0
	s_mul_i32 s64, s0, s1
	s_mul_hi_u32 s66, s0, s65
	s_mul_hi_u32 s63, s0, s1
	s_add_u32 s64, s66, s64
	s_addc_u32 s63, 0, s63
	s_mul_hi_u32 s67, s62, s65
	s_mul_i32 s65, s62, s65
	s_add_u32 s64, s64, s65
	s_mul_hi_u32 s66, s62, s1
	s_addc_u32 s63, s63, s67
	s_addc_u32 s64, s66, 0
	s_mul_i32 s1, s62, s1
	s_add_u32 s1, s63, s1
	s_addc_u32 s63, 0, s64
	s_add_u32 s64, s0, s1
	s_cselect_b64 s[0:1], -1, 0
	s_cmp_lg_u64 s[0:1], 0
	s_addc_u32 s62, s62, s63
	s_mul_i32 s0, s39, s62
	s_mul_hi_u32 s1, s39, s64
	s_add_i32 s0, s1, s0
	s_mul_i32 s61, s61, s64
	s_add_i32 s0, s0, s61
	s_mul_i32 s39, s39, s64
	s_mul_hi_u32 s61, s62, s39
	s_mul_i32 s63, s62, s39
	s_mul_i32 s66, s64, s0
	s_mul_hi_u32 s39, s64, s39
	s_mul_hi_u32 s65, s64, s0
	s_add_u32 s39, s39, s66
	s_addc_u32 s65, 0, s65
	s_add_u32 s39, s39, s63
	s_mul_hi_u32 s1, s62, s0
	s_addc_u32 s39, s65, s61
	s_addc_u32 s1, s1, 0
	s_mul_i32 s0, s62, s0
	s_add_u32 s0, s39, s0
	s_addc_u32 s39, 0, s1
	s_add_u32 s61, s64, s0
	s_cselect_b64 s[0:1], -1, 0
	v_ashrrev_i32_e32 v3, 31, v23
	s_cmp_lg_u64 s[0:1], 0
	v_add_co_u32_e32 v5, vcc, v22, v3
	s_addc_u32 s39, s62, s39
	v_xor_b32_e32 v5, v5, v3
	v_addc_co_u32_e32 v7, vcc, v23, v3, vcc
	v_mad_u64_u32 v[23:24], s[0:1], v5, s39, 0
	v_mul_hi_u32 v9, v5, s61
	v_xor_b32_e32 v7, v7, v3
	v_mad_u64_u32 v[28:29], s[0:1], v7, s39, 0
	v_add_co_u32_e32 v9, vcc, v9, v23
	v_addc_co_u32_e32 v11, vcc, 0, v24, vcc
	v_mad_u64_u32 v[23:24], s[0:1], v7, s61, 0
	v_xor_b32_e32 v3, s38, v3
	v_add_co_u32_e32 v9, vcc, v9, v23
	v_addc_co_u32_e32 v9, vcc, v11, v24, vcc
	v_addc_co_u32_e32 v11, vcc, 0, v29, vcc
	v_add_co_u32_e32 v9, vcc, v9, v28
	v_addc_co_u32_e32 v11, vcc, 0, v11, vcc
	v_mul_lo_u32 v13, s41, v9
	v_mul_lo_u32 v15, s40, v11
	v_mad_u64_u32 v[23:24], s[0:1], s40, v9, 0
	v_add3_u32 v13, v24, v15, v13
	v_sub_u32_e32 v15, v7, v13
	v_sub_co_u32_e32 v5, vcc, v5, v23
	v_subb_co_u32_e64 v15, s[0:1], v15, v17, vcc
	v_subrev_co_u32_e64 v17, s[0:1], s40, v5
	v_subbrev_co_u32_e64 v15, s[0:1], 0, v15, s[0:1]
	v_cmp_le_u32_e64 s[0:1], s41, v15
	v_cndmask_b32_e64 v19, 0, -1, s[0:1]
	v_cmp_le_u32_e64 s[0:1], s40, v17
	v_cndmask_b32_e64 v17, 0, -1, s[0:1]
	v_cmp_eq_u32_e64 s[0:1], s41, v15
	v_cndmask_b32_e64 v15, v19, v17, s[0:1]
	v_add_co_u32_e64 v17, s[0:1], 2, v9
	v_subb_co_u32_e32 v7, vcc, v7, v13, vcc
	v_addc_co_u32_e64 v19, s[0:1], 0, v11, s[0:1]
	v_cmp_le_u32_e32 vcc, s41, v7
	v_add_co_u32_e64 v21, s[0:1], 1, v9
	v_cndmask_b32_e64 v13, 0, -1, vcc
	v_cmp_le_u32_e32 vcc, s40, v5
	v_addc_co_u32_e64 v23, s[0:1], 0, v11, s[0:1]
	v_cndmask_b32_e64 v5, 0, -1, vcc
	v_cmp_eq_u32_e32 vcc, s41, v7
	v_cmp_ne_u32_e64 s[0:1], 0, v15
	v_cndmask_b32_e32 v5, v13, v5, vcc
	v_cmp_ne_u32_e32 vcc, 0, v5
	v_cndmask_b32_e64 v7, v21, v17, s[0:1]
	v_cndmask_b32_e64 v15, v23, v19, s[0:1]
	v_cndmask_b32_e32 v7, v9, v7, vcc
	v_cndmask_b32_e32 v5, v11, v15, vcc
	v_xor_b32_e32 v7, v7, v3
	v_xor_b32_e32 v5, v5, v3
	v_sub_co_u32_e32 v24, vcc, v7, v3
	v_subb_co_u32_e32 v25, vcc, v5, v3, vcc
.LBB24_53:                              ;   in Loop: Header=BB24_23 Depth=2
	s_andn2_saveexec_b64 s[0:1], s[36:37]
	s_cbranch_execz .LBB24_55
; %bb.54:                               ;   in Loop: Header=BB24_23 Depth=2
	v_cvt_f32_u32_e32 v3, s60
	s_sub_i32 s36, 0, s60
	v_mov_b32_e32 v25, v2
	v_rcp_iflag_f32_e32 v3, v3
	v_mul_f32_e32 v3, 0x4f7ffffe, v3
	v_cvt_u32_f32_e32 v3, v3
	v_mul_lo_u32 v5, s36, v3
	v_mul_hi_u32 v5, v3, v5
	v_add_u32_e32 v3, v3, v5
	v_mul_hi_u32 v3, v22, v3
	v_mul_lo_u32 v5, v3, s60
	v_add_u32_e32 v7, 1, v3
	v_sub_u32_e32 v5, v22, v5
	v_subrev_u32_e32 v9, s60, v5
	v_cmp_le_u32_e32 vcc, s60, v5
	v_cndmask_b32_e32 v5, v5, v9, vcc
	v_cndmask_b32_e32 v3, v3, v7, vcc
	v_add_u32_e32 v7, 1, v3
	v_cmp_le_u32_e32 vcc, s60, v5
	v_cndmask_b32_e32 v24, v3, v7, vcc
.LBB24_55:                              ;   in Loop: Header=BB24_23 Depth=2
	s_or_b64 exec, exec, s[0:1]
	v_mul_lo_u32 v3, v10, s25
	v_mul_lo_u32 v5, v12, s50
	;; [unrolled: 1-line block ×3, first 2 shown]
	s_add_u32 s0, s4, s34
	v_sub_u32_e32 v3, v8, v3
	v_mul_lo_u32 v8, v16, s54
	v_sub_u32_e32 v5, v10, v5
	v_mul_lo_u32 v3, s28, v3
	v_mul_lo_u32 v5, s51, v5
	v_sub_u32_e32 v7, v12, v7
	v_sub_u32_e32 v8, v14, v8
	v_mul_lo_u32 v7, s53, v7
	v_mul_lo_u32 v8, s56, v8
	;; [unrolled: 1-line block ×3, first 2 shown]
	v_add3_u32 v3, v3, v6, v5
	v_mul_lo_u32 v5, v20, s58
	s_addc_u32 s1, s5, s35
	v_add3_u32 v3, v7, v3, v8
	v_mul_lo_u32 v7, v22, s59
	v_mul_lo_u32 v8, v24, s60
	s_load_dword s0, s[0:1], 0x6c
	v_sub_u32_e32 v6, v16, v9
	v_sub_u32_e32 v5, v18, v5
	v_mul_lo_u32 v6, s57, v6
	v_mul_lo_u32 v5, s16, v5
	v_sub_u32_e32 v7, v20, v7
	v_sub_u32_e32 v8, v22, v8
	v_mul_lo_u32 v7, s31, v7
	s_waitcnt lgkmcnt(0)
	v_mul_lo_u32 v8, s0, v8
	v_add3_u32 v3, v6, v3, v5
	s_add_i32 s30, s30, -8
	s_cmp_eq_u32 s30, -8
	v_add3_u32 v6, v7, v3, v8
	s_cbranch_scc1 .LBB24_57
; %bb.56:                               ;   in Loop: Header=BB24_23 Depth=2
	v_mov_b32_e32 v8, v24
	v_mov_b32_e32 v9, v25
	s_branch .LBB24_23
.LBB24_57:                              ;   in Loop: Header=BB24_3 Depth=1
	s_load_dword s16, s[2:3], 0x4
	s_waitcnt lgkmcnt(0)
	v_cmp_gt_i32_e32 vcc, s16, v27
	s_and_b64 exec, exec, vcc
	s_cbranch_execz .LBB24_2
; %bb.58:                               ;   in Loop: Header=BB24_3 Depth=1
	v_ashrrev_i32_e32 v5, 31, v4
	v_cmp_lt_i64_e32 vcc, s[8:9], v[4:5]
	s_and_saveexec_b64 s[0:1], vcc
	s_cbranch_execz .LBB24_60
; %bb.59:                               ;   in Loop: Header=BB24_3 Depth=1
	v_ashrrev_i32_e32 v7, 31, v6
	v_lshlrev_b64 v[3:4], 2, v[6:7]
	v_mov_b32_e32 v5, s13
	v_add_co_u32_e32 v3, vcc, s12, v3
	v_addc_co_u32_e32 v4, vcc, v5, v4, vcc
	global_store_dword v[3:4], v2, off
.LBB24_60:                              ;   in Loop: Header=BB24_3 Depth=1
	s_or_b64 exec, exec, s[0:1]
	v_add_u32_e32 v3, 1, v27
	v_cmp_gt_i32_e32 vcc, s16, v3
	s_and_b64 exec, exec, vcc
	s_cbranch_execz .LBB24_2
; %bb.61:                               ;   in Loop: Header=BB24_3 Depth=1
	v_sub_u32_e32 v3, v3, v26
	v_ashrrev_i32_e32 v4, 31, v3
	v_cmp_lt_i64_e32 vcc, s[8:9], v[3:4]
	s_and_b64 exec, exec, vcc
	s_cbranch_execz .LBB24_2
; %bb.62:                               ;   in Loop: Header=BB24_3 Depth=1
	v_add_u32_e32 v3, s29, v6
	v_ashrrev_i32_e32 v4, 31, v3
	v_lshlrev_b64 v[3:4], 2, v[3:4]
	v_mov_b32_e32 v5, s13
	v_add_co_u32_e32 v3, vcc, s12, v3
	v_addc_co_u32_e32 v4, vcc, v5, v4, vcc
	global_store_dword v[3:4], v2, off
	s_branch .LBB24_2
.LBB24_63:
	s_endpgm
	.section	.rodata,"a",@progbits
	.p2align	6, 0x0
	.amdhsa_kernel _ZN2at6native16triu_tril_kernelIfiLb0ELi2ELb1EEEvNS_4cuda6detail10TensorInfoIT_T0_EENS4_IKS5_S6_EEllS6_
		.amdhsa_group_segment_fixed_size 0
		.amdhsa_private_segment_fixed_size 0
		.amdhsa_kernarg_size 712
		.amdhsa_user_sgpr_count 6
		.amdhsa_user_sgpr_private_segment_buffer 1
		.amdhsa_user_sgpr_dispatch_ptr 0
		.amdhsa_user_sgpr_queue_ptr 0
		.amdhsa_user_sgpr_kernarg_segment_ptr 1
		.amdhsa_user_sgpr_dispatch_id 0
		.amdhsa_user_sgpr_flat_scratch_init 0
		.amdhsa_user_sgpr_private_segment_size 0
		.amdhsa_uses_dynamic_stack 0
		.amdhsa_system_sgpr_private_segment_wavefront_offset 0
		.amdhsa_system_sgpr_workgroup_id_x 1
		.amdhsa_system_sgpr_workgroup_id_y 0
		.amdhsa_system_sgpr_workgroup_id_z 0
		.amdhsa_system_sgpr_workgroup_info 0
		.amdhsa_system_vgpr_workitem_id 0
		.amdhsa_next_free_vgpr 30
		.amdhsa_next_free_sgpr 68
		.amdhsa_reserve_vcc 1
		.amdhsa_reserve_flat_scratch 0
		.amdhsa_float_round_mode_32 0
		.amdhsa_float_round_mode_16_64 0
		.amdhsa_float_denorm_mode_32 3
		.amdhsa_float_denorm_mode_16_64 3
		.amdhsa_dx10_clamp 1
		.amdhsa_ieee_mode 1
		.amdhsa_fp16_overflow 0
		.amdhsa_exception_fp_ieee_invalid_op 0
		.amdhsa_exception_fp_denorm_src 0
		.amdhsa_exception_fp_ieee_div_zero 0
		.amdhsa_exception_fp_ieee_overflow 0
		.amdhsa_exception_fp_ieee_underflow 0
		.amdhsa_exception_fp_ieee_inexact 0
		.amdhsa_exception_int_div_zero 0
	.end_amdhsa_kernel
	.section	.text._ZN2at6native16triu_tril_kernelIfiLb0ELi2ELb1EEEvNS_4cuda6detail10TensorInfoIT_T0_EENS4_IKS5_S6_EEllS6_,"axG",@progbits,_ZN2at6native16triu_tril_kernelIfiLb0ELi2ELb1EEEvNS_4cuda6detail10TensorInfoIT_T0_EENS4_IKS5_S6_EEllS6_,comdat
.Lfunc_end24:
	.size	_ZN2at6native16triu_tril_kernelIfiLb0ELi2ELb1EEEvNS_4cuda6detail10TensorInfoIT_T0_EENS4_IKS5_S6_EEllS6_, .Lfunc_end24-_ZN2at6native16triu_tril_kernelIfiLb0ELi2ELb1EEEvNS_4cuda6detail10TensorInfoIT_T0_EENS4_IKS5_S6_EEllS6_
                                        ; -- End function
	.set _ZN2at6native16triu_tril_kernelIfiLb0ELi2ELb1EEEvNS_4cuda6detail10TensorInfoIT_T0_EENS4_IKS5_S6_EEllS6_.num_vgpr, 30
	.set _ZN2at6native16triu_tril_kernelIfiLb0ELi2ELb1EEEvNS_4cuda6detail10TensorInfoIT_T0_EENS4_IKS5_S6_EEllS6_.num_agpr, 0
	.set _ZN2at6native16triu_tril_kernelIfiLb0ELi2ELb1EEEvNS_4cuda6detail10TensorInfoIT_T0_EENS4_IKS5_S6_EEllS6_.numbered_sgpr, 68
	.set _ZN2at6native16triu_tril_kernelIfiLb0ELi2ELb1EEEvNS_4cuda6detail10TensorInfoIT_T0_EENS4_IKS5_S6_EEllS6_.num_named_barrier, 0
	.set _ZN2at6native16triu_tril_kernelIfiLb0ELi2ELb1EEEvNS_4cuda6detail10TensorInfoIT_T0_EENS4_IKS5_S6_EEllS6_.private_seg_size, 0
	.set _ZN2at6native16triu_tril_kernelIfiLb0ELi2ELb1EEEvNS_4cuda6detail10TensorInfoIT_T0_EENS4_IKS5_S6_EEllS6_.uses_vcc, 1
	.set _ZN2at6native16triu_tril_kernelIfiLb0ELi2ELb1EEEvNS_4cuda6detail10TensorInfoIT_T0_EENS4_IKS5_S6_EEllS6_.uses_flat_scratch, 0
	.set _ZN2at6native16triu_tril_kernelIfiLb0ELi2ELb1EEEvNS_4cuda6detail10TensorInfoIT_T0_EENS4_IKS5_S6_EEllS6_.has_dyn_sized_stack, 0
	.set _ZN2at6native16triu_tril_kernelIfiLb0ELi2ELb1EEEvNS_4cuda6detail10TensorInfoIT_T0_EENS4_IKS5_S6_EEllS6_.has_recursion, 0
	.set _ZN2at6native16triu_tril_kernelIfiLb0ELi2ELb1EEEvNS_4cuda6detail10TensorInfoIT_T0_EENS4_IKS5_S6_EEllS6_.has_indirect_call, 0
	.section	.AMDGPU.csdata,"",@progbits
; Kernel info:
; codeLenInByte = 9340
; TotalNumSgprs: 72
; NumVgprs: 30
; ScratchSize: 0
; MemoryBound: 0
; FloatMode: 240
; IeeeMode: 1
; LDSByteSize: 0 bytes/workgroup (compile time only)
; SGPRBlocks: 8
; VGPRBlocks: 7
; NumSGPRsForWavesPerEU: 72
; NumVGPRsForWavesPerEU: 30
; Occupancy: 8
; WaveLimiterHint : 0
; COMPUTE_PGM_RSRC2:SCRATCH_EN: 0
; COMPUTE_PGM_RSRC2:USER_SGPR: 6
; COMPUTE_PGM_RSRC2:TRAP_HANDLER: 0
; COMPUTE_PGM_RSRC2:TGID_X_EN: 1
; COMPUTE_PGM_RSRC2:TGID_Y_EN: 0
; COMPUTE_PGM_RSRC2:TGID_Z_EN: 0
; COMPUTE_PGM_RSRC2:TIDIG_COMP_CNT: 0
	.section	.text._ZN2at6native16triu_tril_kernelIfiLb0ELi2ELb0EEEvNS_4cuda6detail10TensorInfoIT_T0_EENS4_IKS5_S6_EEllS6_,"axG",@progbits,_ZN2at6native16triu_tril_kernelIfiLb0ELi2ELb0EEEvNS_4cuda6detail10TensorInfoIT_T0_EENS4_IKS5_S6_EEllS6_,comdat
	.protected	_ZN2at6native16triu_tril_kernelIfiLb0ELi2ELb0EEEvNS_4cuda6detail10TensorInfoIT_T0_EENS4_IKS5_S6_EEllS6_ ; -- Begin function _ZN2at6native16triu_tril_kernelIfiLb0ELi2ELb0EEEvNS_4cuda6detail10TensorInfoIT_T0_EENS4_IKS5_S6_EEllS6_
	.globl	_ZN2at6native16triu_tril_kernelIfiLb0ELi2ELb0EEEvNS_4cuda6detail10TensorInfoIT_T0_EENS4_IKS5_S6_EEllS6_
	.p2align	8
	.type	_ZN2at6native16triu_tril_kernelIfiLb0ELi2ELb0EEEvNS_4cuda6detail10TensorInfoIT_T0_EENS4_IKS5_S6_EEllS6_,@function
_ZN2at6native16triu_tril_kernelIfiLb0ELi2ELb0EEEvNS_4cuda6detail10TensorInfoIT_T0_EENS4_IKS5_S6_EEllS6_: ; @_ZN2at6native16triu_tril_kernelIfiLb0ELi2ELb0EEEvNS_4cuda6detail10TensorInfoIT_T0_EENS4_IKS5_S6_EEllS6_
; %bb.0:
	s_load_dword s2, s[4:5], 0x1d4
	s_load_dwordx4 s[8:11], s[4:5], 0x1b0
	s_add_u32 s0, s4, 0x1c8
	v_mov_b32_e32 v2, 0
	s_addc_u32 s1, s5, 0
	s_waitcnt lgkmcnt(0)
	s_and_b32 s12, s2, 0xffff
	v_mov_b32_e32 v1, v2
	v_mov_b32_e32 v3, s6
	v_mad_u64_u32 v[0:1], s[2:3], s12, v3, v[0:1]
	v_lshlrev_b64 v[0:1], 1, v[0:1]
	v_cmp_gt_i64_e32 vcc, s[10:11], v[0:1]
	s_and_saveexec_b64 s[2:3], vcc
	s_cbranch_execz .LBB25_48
; %bb.1:
	s_load_dword s33, s[4:5], 0x1c0
	s_load_dwordx2 s[2:3], s[4:5], 0xd8
	s_load_dwordx2 s[18:19], s[4:5], 0x0
	s_load_dword s20, s[4:5], 0x1a8
	s_load_dword s13, s[0:1], 0x0
	s_add_u32 s46, s4, 0xd8
	s_addc_u32 s47, s5, 0
	s_waitcnt lgkmcnt(0)
	s_ashr_i32 s48, s33, 31
	s_ashr_i32 s21, s20, 31
	s_lshl_b64 s[0:1], s[20:21], 2
	s_add_u32 s16, s46, s0
	s_addc_u32 s17, s47, s1
	s_load_dwordx2 s[6:7], s[16:17], 0x0
	s_load_dwordx2 s[14:15], s[16:17], 0x64
	s_mul_i32 s22, s13, s12
	v_cmp_gt_i64_e64 s[12:13], s[20:21], 2
	s_mov_b32 s21, 0
	s_waitcnt lgkmcnt(0)
	s_ashr_i32 s49, s6, 31
	s_add_u32 s0, s4, s0
	s_addc_u32 s1, s5, s1
	s_load_dwordx2 s[16:17], s[0:1], 0x64
	s_add_i32 s50, s20, -3
	s_lshl_b32 s51, s22, 1
	s_and_b32 s52, s20, 3
	s_cmp_lg_u32 s52, 2
	s_cselect_b64 s[22:23], -1, 0
	s_cmp_gt_u32 s50, 2
	s_cselect_b64 s[24:25], -1, 0
	s_ashr_i32 s27, s15, 31
	s_mov_b32 s26, s15
	s_waitcnt lgkmcnt(0)
	s_ashr_i32 s29, s17, 31
	s_mov_b32 s28, s17
	s_mov_b64 s[30:31], 0
	s_ashr_i32 s34, s48, 31
	s_branch .LBB25_3
.LBB25_2:                               ;   in Loop: Header=BB25_3 Depth=1
	s_or_b64 exec, exec, s[0:1]
	v_add_co_u32_e32 v0, vcc, s51, v0
	v_addc_co_u32_e32 v1, vcc, 0, v1, vcc
	v_cmp_le_i64_e32 vcc, s[10:11], v[0:1]
	s_or_b64 s[30:31], vcc, s[30:31]
	s_andn2_b64 exec, exec, s[30:31]
	s_cbranch_execz .LBB25_48
.LBB25_3:                               ; =>This Loop Header: Depth=1
                                        ;     Child Loop BB25_13 Depth 2
                                        ;     Child Loop BB25_21 Depth 2
	v_or_b32_e32 v3, s48, v1
	v_cmp_ne_u64_e32 vcc, 0, v[2:3]
                                        ; implicit-def: $vgpr4_vgpr5
	s_and_saveexec_b64 s[0:1], vcc
	s_xor_b64 s[36:37], exec, s[0:1]
	s_cbranch_execz .LBB25_5
; %bb.4:                                ;   in Loop: Header=BB25_3 Depth=1
	s_add_u32 s0, s33, s34
	s_mov_b32 s35, s34
	s_addc_u32 s1, s48, s34
	s_xor_b64 s[38:39], s[0:1], s[34:35]
	v_cvt_f32_u32_e32 v3, s38
	v_cvt_f32_u32_e32 v4, s39
	s_sub_u32 s15, 0, s38
	s_subb_u32 s17, 0, s39
	v_ashrrev_i32_e32 v7, 31, v1
	v_mac_f32_e32 v3, 0x4f800000, v4
	v_rcp_f32_e32 v3, v3
	v_mul_f32_e32 v3, 0x5f7ffffc, v3
	v_mul_f32_e32 v4, 0x2f800000, v3
	v_trunc_f32_e32 v4, v4
	v_mac_f32_e32 v3, 0xcf800000, v4
	v_cvt_u32_f32_e32 v4, v4
	v_cvt_u32_f32_e32 v3, v3
	v_readfirstlane_b32 s20, v4
	v_readfirstlane_b32 s0, v3
	s_mul_i32 s1, s15, s20
	s_mul_hi_u32 s40, s15, s0
	s_mul_i32 s35, s17, s0
	s_add_i32 s1, s40, s1
	s_add_i32 s1, s1, s35
	s_mul_i32 s41, s15, s0
	s_mul_i32 s40, s0, s1
	s_mul_hi_u32 s42, s0, s41
	s_mul_hi_u32 s35, s0, s1
	s_add_u32 s40, s42, s40
	s_addc_u32 s35, 0, s35
	s_mul_hi_u32 s43, s20, s41
	s_mul_i32 s41, s20, s41
	s_add_u32 s40, s40, s41
	s_mul_hi_u32 s42, s20, s1
	s_addc_u32 s35, s35, s43
	s_addc_u32 s40, s42, 0
	s_mul_i32 s1, s20, s1
	s_add_u32 s1, s35, s1
	s_addc_u32 s35, 0, s40
	s_add_u32 s40, s0, s1
	s_cselect_b64 s[0:1], -1, 0
	s_cmp_lg_u64 s[0:1], 0
	s_addc_u32 s20, s20, s35
	s_mul_i32 s0, s15, s20
	s_mul_hi_u32 s1, s15, s40
	s_add_i32 s0, s1, s0
	s_mul_i32 s17, s17, s40
	s_add_i32 s0, s0, s17
	s_mul_i32 s15, s15, s40
	s_mul_hi_u32 s17, s20, s15
	s_mul_i32 s35, s20, s15
	s_mul_i32 s42, s40, s0
	s_mul_hi_u32 s15, s40, s15
	s_mul_hi_u32 s41, s40, s0
	s_add_u32 s15, s15, s42
	s_addc_u32 s41, 0, s41
	s_add_u32 s15, s15, s35
	s_mul_hi_u32 s1, s20, s0
	s_addc_u32 s15, s41, s17
	s_addc_u32 s1, s1, 0
	s_mul_i32 s0, s20, s0
	s_add_u32 s0, s15, s0
	s_addc_u32 s15, 0, s1
	s_add_u32 s17, s40, s0
	s_cselect_b64 s[0:1], -1, 0
	s_cmp_lg_u64 s[0:1], 0
	v_add_co_u32_e32 v3, vcc, v0, v7
	s_addc_u32 s15, s20, s15
	v_xor_b32_e32 v8, v3, v7
	v_mad_u64_u32 v[3:4], s[0:1], v8, s15, 0
	v_mul_hi_u32 v6, v8, s17
	v_addc_co_u32_e32 v5, vcc, v1, v7, vcc
	v_xor_b32_e32 v9, v5, v7
	v_add_co_u32_e32 v10, vcc, v6, v3
	v_addc_co_u32_e32 v11, vcc, 0, v4, vcc
	v_mad_u64_u32 v[3:4], s[0:1], v9, s17, 0
	v_mad_u64_u32 v[5:6], s[0:1], v9, s15, 0
	v_add_co_u32_e32 v3, vcc, v10, v3
	v_addc_co_u32_e32 v3, vcc, v11, v4, vcc
	v_addc_co_u32_e32 v4, vcc, 0, v6, vcc
	v_add_co_u32_e32 v5, vcc, v3, v5
	v_addc_co_u32_e32 v6, vcc, 0, v4, vcc
	v_mul_lo_u32 v10, s39, v5
	v_mul_lo_u32 v11, s38, v6
	v_mad_u64_u32 v[3:4], s[0:1], s38, v5, 0
	v_add3_u32 v4, v4, v11, v10
	v_sub_u32_e32 v10, v9, v4
	v_mov_b32_e32 v11, s39
	v_sub_co_u32_e32 v3, vcc, v8, v3
	v_subb_co_u32_e64 v8, s[0:1], v10, v11, vcc
	v_subrev_co_u32_e64 v10, s[0:1], s38, v3
	v_subbrev_co_u32_e64 v8, s[0:1], 0, v8, s[0:1]
	v_cmp_le_u32_e64 s[0:1], s39, v8
	v_cndmask_b32_e64 v11, 0, -1, s[0:1]
	v_cmp_le_u32_e64 s[0:1], s38, v10
	v_cndmask_b32_e64 v10, 0, -1, s[0:1]
	v_cmp_eq_u32_e64 s[0:1], s39, v8
	v_cndmask_b32_e64 v8, v11, v10, s[0:1]
	v_add_co_u32_e64 v10, s[0:1], 2, v5
	v_subb_co_u32_e32 v4, vcc, v9, v4, vcc
	v_addc_co_u32_e64 v11, s[0:1], 0, v6, s[0:1]
	v_cmp_le_u32_e32 vcc, s39, v4
	v_add_co_u32_e64 v12, s[0:1], 1, v5
	v_cndmask_b32_e64 v9, 0, -1, vcc
	v_cmp_le_u32_e32 vcc, s38, v3
	v_addc_co_u32_e64 v13, s[0:1], 0, v6, s[0:1]
	v_cndmask_b32_e64 v3, 0, -1, vcc
	v_cmp_eq_u32_e32 vcc, s39, v4
	v_cmp_ne_u32_e64 s[0:1], 0, v8
	v_cndmask_b32_e32 v3, v9, v3, vcc
	v_cmp_ne_u32_e32 vcc, 0, v3
	v_cndmask_b32_e64 v4, v12, v10, s[0:1]
	v_cndmask_b32_e64 v8, v13, v11, s[0:1]
	v_cndmask_b32_e32 v4, v5, v4, vcc
	v_xor_b32_e32 v5, s34, v7
	v_cndmask_b32_e32 v3, v6, v8, vcc
	v_xor_b32_e32 v4, v4, v5
	v_xor_b32_e32 v3, v3, v5
	v_sub_co_u32_e32 v4, vcc, v4, v5
	v_subb_co_u32_e32 v5, vcc, v3, v5, vcc
.LBB25_5:                               ;   in Loop: Header=BB25_3 Depth=1
	s_andn2_saveexec_b64 s[0:1], s[36:37]
	s_cbranch_execz .LBB25_7
; %bb.6:                                ;   in Loop: Header=BB25_3 Depth=1
	v_cvt_f32_u32_e32 v3, s33
	s_sub_i32 s15, 0, s33
	v_rcp_iflag_f32_e32 v3, v3
	v_mul_f32_e32 v3, 0x4f7ffffe, v3
	v_cvt_u32_f32_e32 v3, v3
	v_mul_lo_u32 v4, s15, v3
	v_mul_hi_u32 v4, v3, v4
	v_add_u32_e32 v3, v3, v4
	v_mul_hi_u32 v3, v0, v3
	v_mul_lo_u32 v4, v3, s33
	v_add_u32_e32 v5, 1, v3
	v_sub_u32_e32 v4, v0, v4
	v_subrev_u32_e32 v6, s33, v4
	v_cmp_le_u32_e32 vcc, s33, v4
	v_cndmask_b32_e32 v4, v4, v6, vcc
	v_cndmask_b32_e32 v3, v3, v5, vcc
	v_add_u32_e32 v5, 1, v3
	v_cmp_le_u32_e32 vcc, s33, v4
	v_cndmask_b32_e32 v4, v3, v5, vcc
	v_mov_b32_e32 v5, v2
.LBB25_7:                               ;   in Loop: Header=BB25_3 Depth=1
	s_or_b64 exec, exec, s[0:1]
	v_or_b32_e32 v3, s49, v5
	v_cmp_ne_u64_e32 vcc, 0, v[2:3]
                                        ; implicit-def: $vgpr8_vgpr9
	s_and_saveexec_b64 s[0:1], vcc
	s_xor_b64 s[36:37], exec, s[0:1]
	s_cbranch_execz .LBB25_9
; %bb.8:                                ;   in Loop: Header=BB25_3 Depth=1
	s_ashr_i32 s38, s49, 31
	s_add_u32 s0, s6, s38
	s_mov_b32 s39, s38
	s_addc_u32 s1, s49, s38
	s_xor_b64 s[40:41], s[0:1], s[38:39]
	v_cvt_f32_u32_e32 v3, s40
	v_cvt_f32_u32_e32 v6, s41
	s_sub_u32 s15, 0, s40
	s_subb_u32 s17, 0, s41
	v_mac_f32_e32 v3, 0x4f800000, v6
	v_rcp_f32_e32 v3, v3
	v_mul_f32_e32 v3, 0x5f7ffffc, v3
	v_mul_f32_e32 v6, 0x2f800000, v3
	v_trunc_f32_e32 v6, v6
	v_mac_f32_e32 v3, 0xcf800000, v6
	v_cvt_u32_f32_e32 v6, v6
	v_cvt_u32_f32_e32 v3, v3
	v_readfirstlane_b32 s20, v6
	v_readfirstlane_b32 s0, v3
	s_mul_i32 s1, s15, s20
	s_mul_hi_u32 s39, s15, s0
	s_mul_i32 s35, s17, s0
	s_add_i32 s1, s39, s1
	s_add_i32 s1, s1, s35
	s_mul_i32 s42, s15, s0
	s_mul_i32 s39, s0, s1
	s_mul_hi_u32 s43, s0, s42
	s_mul_hi_u32 s35, s0, s1
	s_add_u32 s39, s43, s39
	s_addc_u32 s35, 0, s35
	s_mul_hi_u32 s44, s20, s42
	s_mul_i32 s42, s20, s42
	s_add_u32 s39, s39, s42
	s_mul_hi_u32 s43, s20, s1
	s_addc_u32 s35, s35, s44
	s_addc_u32 s39, s43, 0
	s_mul_i32 s1, s20, s1
	s_add_u32 s1, s35, s1
	s_addc_u32 s35, 0, s39
	s_add_u32 s39, s0, s1
	s_cselect_b64 s[0:1], -1, 0
	s_cmp_lg_u64 s[0:1], 0
	s_addc_u32 s20, s20, s35
	s_mul_i32 s0, s15, s20
	s_mul_hi_u32 s1, s15, s39
	s_add_i32 s0, s1, s0
	s_mul_i32 s17, s17, s39
	s_add_i32 s0, s0, s17
	s_mul_i32 s15, s15, s39
	s_mul_hi_u32 s17, s20, s15
	s_mul_i32 s35, s20, s15
	s_mul_i32 s43, s39, s0
	s_mul_hi_u32 s15, s39, s15
	s_mul_hi_u32 s42, s39, s0
	s_add_u32 s15, s15, s43
	s_addc_u32 s42, 0, s42
	s_add_u32 s15, s15, s35
	s_mul_hi_u32 s1, s20, s0
	s_addc_u32 s15, s42, s17
	s_addc_u32 s1, s1, 0
	s_mul_i32 s0, s20, s0
	s_add_u32 s0, s15, s0
	s_addc_u32 s15, 0, s1
	s_add_u32 s17, s39, s0
	s_cselect_b64 s[0:1], -1, 0
	v_ashrrev_i32_e32 v3, 31, v5
	s_cmp_lg_u64 s[0:1], 0
	v_add_co_u32_e32 v6, vcc, v4, v3
	s_addc_u32 s15, s20, s15
	v_xor_b32_e32 v9, v6, v3
	v_addc_co_u32_e32 v7, vcc, v5, v3, vcc
	v_mad_u64_u32 v[5:6], s[0:1], v9, s15, 0
	v_mul_hi_u32 v8, v9, s17
	v_xor_b32_e32 v10, v7, v3
	v_xor_b32_e32 v3, s38, v3
	v_add_co_u32_e32 v11, vcc, v8, v5
	v_addc_co_u32_e32 v12, vcc, 0, v6, vcc
	v_mad_u64_u32 v[5:6], s[0:1], v10, s17, 0
	v_mad_u64_u32 v[7:8], s[0:1], v10, s15, 0
	v_add_co_u32_e32 v5, vcc, v11, v5
	v_addc_co_u32_e32 v5, vcc, v12, v6, vcc
	v_addc_co_u32_e32 v6, vcc, 0, v8, vcc
	v_add_co_u32_e32 v7, vcc, v5, v7
	v_addc_co_u32_e32 v8, vcc, 0, v6, vcc
	v_mul_lo_u32 v11, s41, v7
	v_mul_lo_u32 v12, s40, v8
	v_mad_u64_u32 v[5:6], s[0:1], s40, v7, 0
	v_add3_u32 v6, v6, v12, v11
	v_sub_u32_e32 v11, v10, v6
	v_mov_b32_e32 v12, s41
	v_sub_co_u32_e32 v5, vcc, v9, v5
	v_subb_co_u32_e64 v9, s[0:1], v11, v12, vcc
	v_subrev_co_u32_e64 v11, s[0:1], s40, v5
	v_subbrev_co_u32_e64 v9, s[0:1], 0, v9, s[0:1]
	v_cmp_le_u32_e64 s[0:1], s41, v9
	v_cndmask_b32_e64 v12, 0, -1, s[0:1]
	v_cmp_le_u32_e64 s[0:1], s40, v11
	v_cndmask_b32_e64 v11, 0, -1, s[0:1]
	v_cmp_eq_u32_e64 s[0:1], s41, v9
	v_cndmask_b32_e64 v9, v12, v11, s[0:1]
	v_add_co_u32_e64 v11, s[0:1], 2, v7
	v_subb_co_u32_e32 v6, vcc, v10, v6, vcc
	v_addc_co_u32_e64 v12, s[0:1], 0, v8, s[0:1]
	v_cmp_le_u32_e32 vcc, s41, v6
	v_add_co_u32_e64 v13, s[0:1], 1, v7
	v_cndmask_b32_e64 v10, 0, -1, vcc
	v_cmp_le_u32_e32 vcc, s40, v5
	v_addc_co_u32_e64 v14, s[0:1], 0, v8, s[0:1]
	v_cndmask_b32_e64 v5, 0, -1, vcc
	v_cmp_eq_u32_e32 vcc, s41, v6
	v_cmp_ne_u32_e64 s[0:1], 0, v9
	v_cndmask_b32_e32 v5, v10, v5, vcc
	v_cmp_ne_u32_e32 vcc, 0, v5
	v_cndmask_b32_e64 v6, v13, v11, s[0:1]
	v_cndmask_b32_e64 v9, v14, v12, s[0:1]
	v_cndmask_b32_e32 v6, v7, v6, vcc
	v_cndmask_b32_e32 v5, v8, v9, vcc
	v_xor_b32_e32 v6, v6, v3
	v_xor_b32_e32 v5, v5, v3
	v_sub_co_u32_e32 v8, vcc, v6, v3
	v_subb_co_u32_e32 v9, vcc, v5, v3, vcc
.LBB25_9:                               ;   in Loop: Header=BB25_3 Depth=1
	s_andn2_saveexec_b64 s[0:1], s[36:37]
	s_cbranch_execz .LBB25_11
; %bb.10:                               ;   in Loop: Header=BB25_3 Depth=1
	v_cvt_f32_u32_e32 v3, s6
	s_sub_i32 s15, 0, s6
	v_mov_b32_e32 v9, v2
	v_rcp_iflag_f32_e32 v3, v3
	v_mul_f32_e32 v3, 0x4f7ffffe, v3
	v_cvt_u32_f32_e32 v3, v3
	v_mul_lo_u32 v5, s15, v3
	v_mul_hi_u32 v5, v3, v5
	v_add_u32_e32 v3, v3, v5
	v_mul_hi_u32 v3, v4, v3
	v_mul_lo_u32 v5, v3, s6
	v_add_u32_e32 v6, 1, v3
	v_sub_u32_e32 v5, v4, v5
	v_subrev_u32_e32 v7, s6, v5
	v_cmp_le_u32_e32 vcc, s6, v5
	v_cndmask_b32_e32 v5, v5, v7, vcc
	v_cndmask_b32_e32 v3, v3, v6, vcc
	v_add_u32_e32 v6, 1, v3
	v_cmp_le_u32_e32 vcc, s6, v5
	v_cndmask_b32_e32 v8, v3, v6, vcc
.LBB25_11:                              ;   in Loop: Header=BB25_3 Depth=1
	s_or_b64 exec, exec, s[0:1]
	v_mad_u64_u32 v[5:6], s[0:1], v4, s33, 0
	v_mad_u64_u32 v[6:7], s[0:1], v8, s6, 0
	v_sub_co_u32_e32 v18, vcc, v0, v5
	v_mul_lo_u32 v3, s26, v18
	v_sub_co_u32_e32 v19, vcc, v4, v6
	v_mul_lo_u32 v4, s28, v18
	s_andn2_b64 vcc, exec, s[12:13]
	v_mad_u64_u32 v[6:7], s[0:1], s14, v19, v[3:4]
	v_mad_u64_u32 v[4:5], s[0:1], s16, v19, v[4:5]
	s_cbranch_vccnz .LBB25_39
; %bb.12:                               ;   in Loop: Header=BB25_3 Depth=1
	s_mov_b32 s15, 1
	s_andn2_b64 vcc, exec, s[22:23]
	s_mov_b32 s20, s50
	s_mov_b32 s0, s50
	s_cbranch_vccnz .LBB25_20
.LBB25_13:                              ;   Parent Loop BB25_3 Depth=1
                                        ; =>  This Inner Loop Header: Depth=2
	s_lshl_b64 s[36:37], s[20:21], 2
	s_add_u32 s38, s46, s36
	s_addc_u32 s39, s47, s37
	s_load_dword s17, s[38:39], 0x8
                                        ; implicit-def: $vgpr10_vgpr11
	s_waitcnt lgkmcnt(0)
	s_ashr_i32 s0, s17, 31
	v_or_b32_e32 v3, s0, v9
	v_cmp_ne_u64_e32 vcc, 0, v[2:3]
	s_and_saveexec_b64 s[40:41], vcc
	s_xor_b64 s[40:41], exec, s[40:41]
	s_cbranch_execz .LBB25_15
; %bb.14:                               ;   in Loop: Header=BB25_13 Depth=2
	s_ashr_i32 s42, s0, 31
	s_add_u32 s44, s17, s42
	s_mov_b32 s43, s42
	s_addc_u32 s45, s0, s42
	s_xor_b64 s[44:45], s[44:45], s[42:43]
	v_cvt_f32_u32_e32 v3, s44
	v_cvt_f32_u32_e32 v5, s45
	s_sub_u32 s35, 0, s44
	s_subb_u32 s43, 0, s45
	v_mac_f32_e32 v3, 0x4f800000, v5
	v_rcp_f32_e32 v3, v3
	v_mul_f32_e32 v3, 0x5f7ffffc, v3
	v_mul_f32_e32 v5, 0x2f800000, v3
	v_trunc_f32_e32 v5, v5
	v_mac_f32_e32 v3, 0xcf800000, v5
	v_cvt_u32_f32_e32 v5, v5
	v_cvt_u32_f32_e32 v3, v3
	v_readfirstlane_b32 s53, v5
	v_readfirstlane_b32 s0, v3
	s_mul_i32 s1, s35, s53
	s_mul_hi_u32 s55, s35, s0
	s_mul_i32 s54, s43, s0
	s_add_i32 s1, s55, s1
	s_add_i32 s1, s1, s54
	s_mul_i32 s56, s35, s0
	s_mul_i32 s55, s0, s1
	s_mul_hi_u32 s57, s0, s56
	s_mul_hi_u32 s54, s0, s1
	s_add_u32 s55, s57, s55
	s_addc_u32 s54, 0, s54
	s_mul_hi_u32 s58, s53, s56
	s_mul_i32 s56, s53, s56
	s_add_u32 s55, s55, s56
	s_mul_hi_u32 s57, s53, s1
	s_addc_u32 s54, s54, s58
	s_addc_u32 s55, s57, 0
	s_mul_i32 s1, s53, s1
	s_add_u32 s1, s54, s1
	s_addc_u32 s54, 0, s55
	s_add_u32 s55, s0, s1
	s_cselect_b64 s[0:1], -1, 0
	s_cmp_lg_u64 s[0:1], 0
	s_addc_u32 s53, s53, s54
	s_mul_i32 s0, s35, s53
	s_mul_hi_u32 s1, s35, s55
	s_add_i32 s0, s1, s0
	s_mul_i32 s43, s43, s55
	s_add_i32 s0, s0, s43
	s_mul_i32 s35, s35, s55
	s_mul_hi_u32 s43, s53, s35
	s_mul_i32 s54, s53, s35
	s_mul_i32 s57, s55, s0
	s_mul_hi_u32 s35, s55, s35
	s_mul_hi_u32 s56, s55, s0
	s_add_u32 s35, s35, s57
	s_addc_u32 s56, 0, s56
	s_add_u32 s35, s35, s54
	s_mul_hi_u32 s1, s53, s0
	s_addc_u32 s35, s56, s43
	s_addc_u32 s1, s1, 0
	s_mul_i32 s0, s53, s0
	s_add_u32 s0, s35, s0
	s_addc_u32 s35, 0, s1
	s_add_u32 s43, s55, s0
	s_cselect_b64 s[0:1], -1, 0
	v_ashrrev_i32_e32 v3, 31, v9
	s_cmp_lg_u64 s[0:1], 0
	v_add_co_u32_e32 v5, vcc, v8, v3
	s_addc_u32 s35, s53, s35
	v_xor_b32_e32 v5, v5, v3
	v_addc_co_u32_e32 v7, vcc, v9, v3, vcc
	v_mad_u64_u32 v[9:10], s[0:1], v5, s35, 0
	v_mul_hi_u32 v11, v5, s43
	v_xor_b32_e32 v7, v7, v3
	v_xor_b32_e32 v3, s42, v3
	v_add_co_u32_e32 v13, vcc, v11, v9
	v_addc_co_u32_e32 v14, vcc, 0, v10, vcc
	v_mad_u64_u32 v[9:10], s[0:1], v7, s43, 0
	v_mad_u64_u32 v[11:12], s[0:1], v7, s35, 0
	v_add_co_u32_e32 v9, vcc, v13, v9
	v_addc_co_u32_e32 v9, vcc, v14, v10, vcc
	v_addc_co_u32_e32 v10, vcc, 0, v12, vcc
	v_add_co_u32_e32 v11, vcc, v9, v11
	v_addc_co_u32_e32 v12, vcc, 0, v10, vcc
	v_mul_lo_u32 v13, s45, v11
	v_mul_lo_u32 v14, s44, v12
	v_mad_u64_u32 v[9:10], s[0:1], s44, v11, 0
	v_add3_u32 v10, v10, v14, v13
	v_sub_u32_e32 v13, v7, v10
	v_mov_b32_e32 v14, s45
	v_sub_co_u32_e32 v5, vcc, v5, v9
	v_subb_co_u32_e64 v9, s[0:1], v13, v14, vcc
	v_subrev_co_u32_e64 v13, s[0:1], s44, v5
	v_subbrev_co_u32_e64 v9, s[0:1], 0, v9, s[0:1]
	v_cmp_le_u32_e64 s[0:1], s45, v9
	v_cndmask_b32_e64 v14, 0, -1, s[0:1]
	v_cmp_le_u32_e64 s[0:1], s44, v13
	v_cndmask_b32_e64 v13, 0, -1, s[0:1]
	v_cmp_eq_u32_e64 s[0:1], s45, v9
	v_cndmask_b32_e64 v9, v14, v13, s[0:1]
	v_add_co_u32_e64 v13, s[0:1], 2, v11
	v_subb_co_u32_e32 v7, vcc, v7, v10, vcc
	v_addc_co_u32_e64 v14, s[0:1], 0, v12, s[0:1]
	v_cmp_le_u32_e32 vcc, s45, v7
	v_add_co_u32_e64 v15, s[0:1], 1, v11
	v_cndmask_b32_e64 v10, 0, -1, vcc
	v_cmp_le_u32_e32 vcc, s44, v5
	v_addc_co_u32_e64 v16, s[0:1], 0, v12, s[0:1]
	v_cndmask_b32_e64 v5, 0, -1, vcc
	v_cmp_eq_u32_e32 vcc, s45, v7
	v_cmp_ne_u32_e64 s[0:1], 0, v9
	v_cndmask_b32_e32 v5, v10, v5, vcc
	v_cmp_ne_u32_e32 vcc, 0, v5
	v_cndmask_b32_e64 v7, v15, v13, s[0:1]
	v_cndmask_b32_e64 v9, v16, v14, s[0:1]
	v_cndmask_b32_e32 v7, v11, v7, vcc
	v_cndmask_b32_e32 v5, v12, v9, vcc
	v_xor_b32_e32 v7, v7, v3
	v_xor_b32_e32 v5, v5, v3
	v_sub_co_u32_e32 v10, vcc, v7, v3
	v_subb_co_u32_e32 v11, vcc, v5, v3, vcc
.LBB25_15:                              ;   in Loop: Header=BB25_13 Depth=2
	s_andn2_saveexec_b64 s[0:1], s[40:41]
	s_cbranch_execz .LBB25_17
; %bb.16:                               ;   in Loop: Header=BB25_13 Depth=2
	v_cvt_f32_u32_e32 v3, s17
	s_sub_i32 s35, 0, s17
	v_mov_b32_e32 v11, v2
	v_rcp_iflag_f32_e32 v3, v3
	v_mul_f32_e32 v3, 0x4f7ffffe, v3
	v_cvt_u32_f32_e32 v3, v3
	v_mul_lo_u32 v5, s35, v3
	v_mul_hi_u32 v5, v3, v5
	v_add_u32_e32 v3, v3, v5
	v_mul_hi_u32 v3, v8, v3
	v_mul_lo_u32 v5, v3, s17
	v_add_u32_e32 v7, 1, v3
	v_sub_u32_e32 v5, v8, v5
	v_subrev_u32_e32 v9, s17, v5
	v_cmp_le_u32_e32 vcc, s17, v5
	v_cndmask_b32_e32 v5, v5, v9, vcc
	v_cndmask_b32_e32 v3, v3, v7, vcc
	v_add_u32_e32 v7, 1, v3
	v_cmp_le_u32_e32 vcc, s17, v5
	v_cndmask_b32_e32 v10, v3, v7, vcc
.LBB25_17:                              ;   in Loop: Header=BB25_13 Depth=2
	s_or_b64 exec, exec, s[0:1]
	s_add_u32 s0, s4, s36
	s_addc_u32 s1, s5, s37
	v_mul_lo_u32 v3, v10, s17
	s_load_dword s17, s[38:39], 0x6c
	s_load_dword s35, s[0:1], 0x6c
	s_add_i32 s20, s20, -1
	v_sub_u32_e32 v3, v8, v3
	s_waitcnt lgkmcnt(0)
	v_mad_u64_u32 v[6:7], s[0:1], s17, v3, v[6:7]
	v_mad_u64_u32 v[4:5], s[0:1], s35, v3, v[4:5]
	s_xor_b32 s0, s52, s15
	s_add_i32 s15, s15, 1
	s_cmp_lg_u32 s0, 2
	s_cbranch_scc0 .LBB25_19
; %bb.18:                               ;   in Loop: Header=BB25_13 Depth=2
	v_mov_b32_e32 v8, v10
	v_mov_b32_e32 v9, v11
	s_branch .LBB25_13
.LBB25_19:                              ;   in Loop: Header=BB25_3 Depth=1
	v_mov_b32_e32 v8, v10
	s_mov_b32 s0, s20
	v_mov_b32_e32 v9, v11
.LBB25_20:                              ;   in Loop: Header=BB25_3 Depth=1
	s_and_b64 vcc, exec, s[24:25]
	s_mov_b32 s20, s0
	s_cbranch_vccz .LBB25_39
.LBB25_21:                              ;   Parent Loop BB25_3 Depth=1
                                        ; =>  This Inner Loop Header: Depth=2
	s_lshl_b64 s[36:37], s[20:21], 2
	s_add_u32 s38, s46, s36
	s_addc_u32 s39, s47, s37
	s_load_dword s15, s[38:39], 0x8
                                        ; implicit-def: $vgpr10_vgpr11
	s_waitcnt lgkmcnt(0)
	s_ashr_i32 s0, s15, 31
	v_or_b32_e32 v3, s0, v9
	v_cmp_ne_u64_e32 vcc, 0, v[2:3]
	s_and_saveexec_b64 s[40:41], vcc
	s_xor_b64 s[40:41], exec, s[40:41]
	s_cbranch_execz .LBB25_23
; %bb.22:                               ;   in Loop: Header=BB25_21 Depth=2
	s_ashr_i32 s42, s0, 31
	s_add_u32 s44, s15, s42
	s_mov_b32 s43, s42
	s_addc_u32 s45, s0, s42
	s_xor_b64 s[44:45], s[44:45], s[42:43]
	v_cvt_f32_u32_e32 v3, s44
	v_cvt_f32_u32_e32 v5, s45
	s_sub_u32 s17, 0, s44
	s_subb_u32 s35, 0, s45
	v_mac_f32_e32 v3, 0x4f800000, v5
	v_rcp_f32_e32 v3, v3
	v_mul_f32_e32 v3, 0x5f7ffffc, v3
	v_mul_f32_e32 v5, 0x2f800000, v3
	v_trunc_f32_e32 v5, v5
	v_mac_f32_e32 v3, 0xcf800000, v5
	v_cvt_u32_f32_e32 v5, v5
	v_cvt_u32_f32_e32 v3, v3
	v_readfirstlane_b32 s43, v5
	v_readfirstlane_b32 s0, v3
	s_mul_i32 s1, s17, s43
	s_mul_hi_u32 s54, s17, s0
	s_mul_i32 s53, s35, s0
	s_add_i32 s1, s54, s1
	s_add_i32 s1, s1, s53
	s_mul_i32 s55, s17, s0
	s_mul_i32 s54, s0, s1
	s_mul_hi_u32 s56, s0, s55
	s_mul_hi_u32 s53, s0, s1
	s_add_u32 s54, s56, s54
	s_addc_u32 s53, 0, s53
	s_mul_hi_u32 s57, s43, s55
	s_mul_i32 s55, s43, s55
	s_add_u32 s54, s54, s55
	s_mul_hi_u32 s56, s43, s1
	s_addc_u32 s53, s53, s57
	s_addc_u32 s54, s56, 0
	s_mul_i32 s1, s43, s1
	s_add_u32 s1, s53, s1
	s_addc_u32 s53, 0, s54
	s_add_u32 s54, s0, s1
	s_cselect_b64 s[0:1], -1, 0
	s_cmp_lg_u64 s[0:1], 0
	s_addc_u32 s43, s43, s53
	s_mul_i32 s0, s17, s43
	s_mul_hi_u32 s1, s17, s54
	s_add_i32 s0, s1, s0
	s_mul_i32 s35, s35, s54
	s_add_i32 s0, s0, s35
	s_mul_i32 s17, s17, s54
	s_mul_hi_u32 s35, s43, s17
	s_mul_i32 s53, s43, s17
	s_mul_i32 s56, s54, s0
	s_mul_hi_u32 s17, s54, s17
	s_mul_hi_u32 s55, s54, s0
	s_add_u32 s17, s17, s56
	s_addc_u32 s55, 0, s55
	s_add_u32 s17, s17, s53
	s_mul_hi_u32 s1, s43, s0
	s_addc_u32 s17, s55, s35
	s_addc_u32 s1, s1, 0
	s_mul_i32 s0, s43, s0
	s_add_u32 s0, s17, s0
	s_addc_u32 s17, 0, s1
	s_add_u32 s35, s54, s0
	s_cselect_b64 s[0:1], -1, 0
	v_ashrrev_i32_e32 v3, 31, v9
	s_cmp_lg_u64 s[0:1], 0
	v_add_co_u32_e32 v5, vcc, v8, v3
	s_addc_u32 s17, s43, s17
	v_xor_b32_e32 v5, v5, v3
	v_addc_co_u32_e32 v7, vcc, v9, v3, vcc
	v_mad_u64_u32 v[9:10], s[0:1], v5, s17, 0
	v_mul_hi_u32 v11, v5, s35
	v_xor_b32_e32 v7, v7, v3
	v_xor_b32_e32 v3, s42, v3
	v_add_co_u32_e32 v13, vcc, v11, v9
	v_addc_co_u32_e32 v14, vcc, 0, v10, vcc
	v_mad_u64_u32 v[9:10], s[0:1], v7, s35, 0
	v_mad_u64_u32 v[11:12], s[0:1], v7, s17, 0
	v_add_co_u32_e32 v9, vcc, v13, v9
	v_addc_co_u32_e32 v9, vcc, v14, v10, vcc
	v_addc_co_u32_e32 v10, vcc, 0, v12, vcc
	v_add_co_u32_e32 v11, vcc, v9, v11
	v_addc_co_u32_e32 v12, vcc, 0, v10, vcc
	v_mul_lo_u32 v13, s45, v11
	v_mul_lo_u32 v14, s44, v12
	v_mad_u64_u32 v[9:10], s[0:1], s44, v11, 0
	v_add3_u32 v10, v10, v14, v13
	v_sub_u32_e32 v13, v7, v10
	v_mov_b32_e32 v14, s45
	v_sub_co_u32_e32 v5, vcc, v5, v9
	v_subb_co_u32_e64 v9, s[0:1], v13, v14, vcc
	v_subrev_co_u32_e64 v13, s[0:1], s44, v5
	v_subbrev_co_u32_e64 v9, s[0:1], 0, v9, s[0:1]
	v_cmp_le_u32_e64 s[0:1], s45, v9
	v_cndmask_b32_e64 v14, 0, -1, s[0:1]
	v_cmp_le_u32_e64 s[0:1], s44, v13
	v_cndmask_b32_e64 v13, 0, -1, s[0:1]
	v_cmp_eq_u32_e64 s[0:1], s45, v9
	v_cndmask_b32_e64 v9, v14, v13, s[0:1]
	v_add_co_u32_e64 v13, s[0:1], 2, v11
	v_subb_co_u32_e32 v7, vcc, v7, v10, vcc
	v_addc_co_u32_e64 v14, s[0:1], 0, v12, s[0:1]
	v_cmp_le_u32_e32 vcc, s45, v7
	v_add_co_u32_e64 v15, s[0:1], 1, v11
	v_cndmask_b32_e64 v10, 0, -1, vcc
	v_cmp_le_u32_e32 vcc, s44, v5
	v_addc_co_u32_e64 v16, s[0:1], 0, v12, s[0:1]
	v_cndmask_b32_e64 v5, 0, -1, vcc
	v_cmp_eq_u32_e32 vcc, s45, v7
	v_cmp_ne_u32_e64 s[0:1], 0, v9
	v_cndmask_b32_e32 v5, v10, v5, vcc
	v_cmp_ne_u32_e32 vcc, 0, v5
	v_cndmask_b32_e64 v7, v15, v13, s[0:1]
	v_cndmask_b32_e64 v9, v16, v14, s[0:1]
	v_cndmask_b32_e32 v7, v11, v7, vcc
	v_cndmask_b32_e32 v5, v12, v9, vcc
	v_xor_b32_e32 v7, v7, v3
	v_xor_b32_e32 v5, v5, v3
	v_sub_co_u32_e32 v10, vcc, v7, v3
	v_subb_co_u32_e32 v11, vcc, v5, v3, vcc
.LBB25_23:                              ;   in Loop: Header=BB25_21 Depth=2
	s_andn2_saveexec_b64 s[0:1], s[40:41]
	s_cbranch_execz .LBB25_25
; %bb.24:                               ;   in Loop: Header=BB25_21 Depth=2
	v_cvt_f32_u32_e32 v3, s15
	s_sub_i32 s17, 0, s15
	v_mov_b32_e32 v11, v2
	v_rcp_iflag_f32_e32 v3, v3
	v_mul_f32_e32 v3, 0x4f7ffffe, v3
	v_cvt_u32_f32_e32 v3, v3
	v_mul_lo_u32 v5, s17, v3
	v_mul_hi_u32 v5, v3, v5
	v_add_u32_e32 v3, v3, v5
	v_mul_hi_u32 v3, v8, v3
	v_mul_lo_u32 v5, v3, s15
	v_add_u32_e32 v7, 1, v3
	v_sub_u32_e32 v5, v8, v5
	v_subrev_u32_e32 v9, s15, v5
	v_cmp_le_u32_e32 vcc, s15, v5
	v_cndmask_b32_e32 v5, v5, v9, vcc
	v_cndmask_b32_e32 v3, v3, v7, vcc
	v_add_u32_e32 v7, 1, v3
	v_cmp_le_u32_e32 vcc, s15, v5
	v_cndmask_b32_e32 v10, v3, v7, vcc
.LBB25_25:                              ;   in Loop: Header=BB25_21 Depth=2
	s_or_b64 exec, exec, s[0:1]
	s_add_u32 s0, s4, s36
	s_addc_u32 s1, s5, s37
	s_add_i32 s36, s20, -1
	s_mov_b32 s37, s21
	s_lshl_b64 s[40:41], s[36:37], 2
	s_add_u32 s36, s46, s40
	s_addc_u32 s37, s47, s41
	s_load_dword s53, s[36:37], 0x8
	s_load_dword s35, s[38:39], 0x6c
	;; [unrolled: 1-line block ×3, first 2 shown]
                                        ; implicit-def: $vgpr12_vgpr13
	s_waitcnt lgkmcnt(0)
	s_ashr_i32 s0, s53, 31
	v_or_b32_e32 v3, s0, v11
	v_cmp_ne_u64_e32 vcc, 0, v[2:3]
	s_and_saveexec_b64 s[38:39], vcc
	s_xor_b64 s[38:39], exec, s[38:39]
	s_cbranch_execz .LBB25_27
; %bb.26:                               ;   in Loop: Header=BB25_21 Depth=2
	s_ashr_i32 s42, s0, 31
	s_add_u32 s44, s53, s42
	s_mov_b32 s43, s42
	s_addc_u32 s45, s0, s42
	s_xor_b64 s[44:45], s[44:45], s[42:43]
	v_cvt_f32_u32_e32 v3, s44
	v_cvt_f32_u32_e32 v5, s45
	s_sub_u32 s43, 0, s44
	s_subb_u32 s54, 0, s45
	v_mac_f32_e32 v3, 0x4f800000, v5
	v_rcp_f32_e32 v3, v3
	v_mul_f32_e32 v3, 0x5f7ffffc, v3
	v_mul_f32_e32 v5, 0x2f800000, v3
	v_trunc_f32_e32 v5, v5
	v_mac_f32_e32 v3, 0xcf800000, v5
	v_cvt_u32_f32_e32 v5, v5
	v_cvt_u32_f32_e32 v3, v3
	v_readfirstlane_b32 s55, v5
	v_readfirstlane_b32 s0, v3
	s_mul_i32 s1, s43, s55
	s_mul_hi_u32 s57, s43, s0
	s_mul_i32 s56, s54, s0
	s_add_i32 s1, s57, s1
	s_add_i32 s1, s1, s56
	s_mul_i32 s58, s43, s0
	s_mul_i32 s57, s0, s1
	s_mul_hi_u32 s59, s0, s58
	s_mul_hi_u32 s56, s0, s1
	s_add_u32 s57, s59, s57
	s_addc_u32 s56, 0, s56
	s_mul_hi_u32 s60, s55, s58
	s_mul_i32 s58, s55, s58
	s_add_u32 s57, s57, s58
	s_mul_hi_u32 s59, s55, s1
	s_addc_u32 s56, s56, s60
	s_addc_u32 s57, s59, 0
	s_mul_i32 s1, s55, s1
	s_add_u32 s1, s56, s1
	s_addc_u32 s56, 0, s57
	s_add_u32 s57, s0, s1
	s_cselect_b64 s[0:1], -1, 0
	s_cmp_lg_u64 s[0:1], 0
	s_addc_u32 s55, s55, s56
	s_mul_i32 s0, s43, s55
	s_mul_hi_u32 s1, s43, s57
	s_add_i32 s0, s1, s0
	s_mul_i32 s54, s54, s57
	s_add_i32 s0, s0, s54
	s_mul_i32 s43, s43, s57
	s_mul_hi_u32 s54, s55, s43
	s_mul_i32 s56, s55, s43
	s_mul_i32 s59, s57, s0
	s_mul_hi_u32 s43, s57, s43
	s_mul_hi_u32 s58, s57, s0
	s_add_u32 s43, s43, s59
	s_addc_u32 s58, 0, s58
	s_add_u32 s43, s43, s56
	s_mul_hi_u32 s1, s55, s0
	s_addc_u32 s43, s58, s54
	s_addc_u32 s1, s1, 0
	s_mul_i32 s0, s55, s0
	s_add_u32 s0, s43, s0
	s_addc_u32 s43, 0, s1
	s_add_u32 s54, s57, s0
	s_cselect_b64 s[0:1], -1, 0
	v_ashrrev_i32_e32 v3, 31, v11
	s_cmp_lg_u64 s[0:1], 0
	v_add_co_u32_e32 v5, vcc, v10, v3
	s_addc_u32 s43, s55, s43
	v_xor_b32_e32 v5, v5, v3
	v_addc_co_u32_e32 v7, vcc, v11, v3, vcc
	v_mad_u64_u32 v[11:12], s[0:1], v5, s43, 0
	v_mul_hi_u32 v9, v5, s54
	v_xor_b32_e32 v7, v7, v3
	v_mad_u64_u32 v[13:14], s[0:1], v7, s43, 0
	v_add_co_u32_e32 v9, vcc, v9, v11
	v_addc_co_u32_e32 v15, vcc, 0, v12, vcc
	v_mad_u64_u32 v[11:12], s[0:1], v7, s54, 0
	v_xor_b32_e32 v3, s42, v3
	v_add_co_u32_e32 v9, vcc, v9, v11
	v_addc_co_u32_e32 v9, vcc, v15, v12, vcc
	v_addc_co_u32_e32 v11, vcc, 0, v14, vcc
	v_add_co_u32_e32 v9, vcc, v9, v13
	v_addc_co_u32_e32 v13, vcc, 0, v11, vcc
	v_mul_lo_u32 v14, s45, v9
	v_mul_lo_u32 v15, s44, v13
	v_mad_u64_u32 v[11:12], s[0:1], s44, v9, 0
	v_add3_u32 v12, v12, v15, v14
	v_sub_u32_e32 v14, v7, v12
	v_mov_b32_e32 v15, s45
	v_sub_co_u32_e32 v5, vcc, v5, v11
	v_subb_co_u32_e64 v11, s[0:1], v14, v15, vcc
	v_subrev_co_u32_e64 v14, s[0:1], s44, v5
	v_subbrev_co_u32_e64 v11, s[0:1], 0, v11, s[0:1]
	v_cmp_le_u32_e64 s[0:1], s45, v11
	v_cndmask_b32_e64 v15, 0, -1, s[0:1]
	v_cmp_le_u32_e64 s[0:1], s44, v14
	v_cndmask_b32_e64 v14, 0, -1, s[0:1]
	v_cmp_eq_u32_e64 s[0:1], s45, v11
	v_cndmask_b32_e64 v11, v15, v14, s[0:1]
	v_add_co_u32_e64 v14, s[0:1], 2, v9
	v_subb_co_u32_e32 v7, vcc, v7, v12, vcc
	v_addc_co_u32_e64 v15, s[0:1], 0, v13, s[0:1]
	v_cmp_le_u32_e32 vcc, s45, v7
	v_add_co_u32_e64 v16, s[0:1], 1, v9
	v_cndmask_b32_e64 v12, 0, -1, vcc
	v_cmp_le_u32_e32 vcc, s44, v5
	v_addc_co_u32_e64 v17, s[0:1], 0, v13, s[0:1]
	v_cndmask_b32_e64 v5, 0, -1, vcc
	v_cmp_eq_u32_e32 vcc, s45, v7
	v_cmp_ne_u32_e64 s[0:1], 0, v11
	v_cndmask_b32_e32 v5, v12, v5, vcc
	v_cmp_ne_u32_e32 vcc, 0, v5
	v_cndmask_b32_e64 v7, v16, v14, s[0:1]
	v_cndmask_b32_e64 v11, v17, v15, s[0:1]
	v_cndmask_b32_e32 v7, v9, v7, vcc
	v_cndmask_b32_e32 v5, v13, v11, vcc
	v_xor_b32_e32 v7, v7, v3
	v_xor_b32_e32 v5, v5, v3
	v_sub_co_u32_e32 v12, vcc, v7, v3
	v_subb_co_u32_e32 v13, vcc, v5, v3, vcc
.LBB25_27:                              ;   in Loop: Header=BB25_21 Depth=2
	s_andn2_saveexec_b64 s[0:1], s[38:39]
	s_cbranch_execz .LBB25_29
; %bb.28:                               ;   in Loop: Header=BB25_21 Depth=2
	v_cvt_f32_u32_e32 v3, s53
	s_sub_i32 s38, 0, s53
	v_mov_b32_e32 v13, v2
	v_rcp_iflag_f32_e32 v3, v3
	v_mul_f32_e32 v3, 0x4f7ffffe, v3
	v_cvt_u32_f32_e32 v3, v3
	v_mul_lo_u32 v5, s38, v3
	v_mul_hi_u32 v5, v3, v5
	v_add_u32_e32 v3, v3, v5
	v_mul_hi_u32 v3, v10, v3
	v_mul_lo_u32 v5, v3, s53
	v_add_u32_e32 v7, 1, v3
	v_sub_u32_e32 v5, v10, v5
	v_subrev_u32_e32 v9, s53, v5
	v_cmp_le_u32_e32 vcc, s53, v5
	v_cndmask_b32_e32 v5, v5, v9, vcc
	v_cndmask_b32_e32 v3, v3, v7, vcc
	v_add_u32_e32 v7, 1, v3
	v_cmp_le_u32_e32 vcc, s53, v5
	v_cndmask_b32_e32 v12, v3, v7, vcc
.LBB25_29:                              ;   in Loop: Header=BB25_21 Depth=2
	s_or_b64 exec, exec, s[0:1]
	s_add_u32 s0, s4, s40
	s_addc_u32 s1, s5, s41
	s_add_i32 s38, s20, -2
	s_mov_b32 s39, s21
	s_lshl_b64 s[38:39], s[38:39], 2
	s_add_u32 s40, s46, s38
	s_addc_u32 s41, s47, s39
	s_load_dword s55, s[40:41], 0x8
	s_load_dword s56, s[36:37], 0x6c
	;; [unrolled: 1-line block ×3, first 2 shown]
                                        ; implicit-def: $vgpr14_vgpr15
	s_waitcnt lgkmcnt(0)
	s_ashr_i32 s0, s55, 31
	v_or_b32_e32 v3, s0, v13
	v_cmp_ne_u64_e32 vcc, 0, v[2:3]
	s_and_saveexec_b64 s[36:37], vcc
	s_xor_b64 s[36:37], exec, s[36:37]
	s_cbranch_execz .LBB25_31
; %bb.30:                               ;   in Loop: Header=BB25_21 Depth=2
	s_ashr_i32 s42, s0, 31
	s_add_u32 s44, s55, s42
	s_mov_b32 s43, s42
	s_addc_u32 s45, s0, s42
	s_xor_b64 s[44:45], s[44:45], s[42:43]
	v_cvt_f32_u32_e32 v3, s44
	v_cvt_f32_u32_e32 v5, s45
	s_sub_u32 s43, 0, s44
	s_subb_u32 s57, 0, s45
	v_mac_f32_e32 v3, 0x4f800000, v5
	v_rcp_f32_e32 v3, v3
	v_mul_f32_e32 v3, 0x5f7ffffc, v3
	v_mul_f32_e32 v5, 0x2f800000, v3
	v_trunc_f32_e32 v5, v5
	v_mac_f32_e32 v3, 0xcf800000, v5
	v_cvt_u32_f32_e32 v5, v5
	v_cvt_u32_f32_e32 v3, v3
	v_readfirstlane_b32 s58, v5
	v_readfirstlane_b32 s0, v3
	s_mul_i32 s1, s43, s58
	s_mul_hi_u32 s60, s43, s0
	s_mul_i32 s59, s57, s0
	s_add_i32 s1, s60, s1
	s_add_i32 s1, s1, s59
	s_mul_i32 s61, s43, s0
	s_mul_i32 s60, s0, s1
	s_mul_hi_u32 s62, s0, s61
	s_mul_hi_u32 s59, s0, s1
	s_add_u32 s60, s62, s60
	s_addc_u32 s59, 0, s59
	s_mul_hi_u32 s63, s58, s61
	s_mul_i32 s61, s58, s61
	s_add_u32 s60, s60, s61
	s_mul_hi_u32 s62, s58, s1
	s_addc_u32 s59, s59, s63
	s_addc_u32 s60, s62, 0
	s_mul_i32 s1, s58, s1
	s_add_u32 s1, s59, s1
	s_addc_u32 s59, 0, s60
	s_add_u32 s60, s0, s1
	s_cselect_b64 s[0:1], -1, 0
	s_cmp_lg_u64 s[0:1], 0
	s_addc_u32 s58, s58, s59
	s_mul_i32 s0, s43, s58
	s_mul_hi_u32 s1, s43, s60
	s_add_i32 s0, s1, s0
	s_mul_i32 s57, s57, s60
	s_add_i32 s0, s0, s57
	s_mul_i32 s43, s43, s60
	s_mul_hi_u32 s57, s58, s43
	s_mul_i32 s59, s58, s43
	s_mul_i32 s62, s60, s0
	s_mul_hi_u32 s43, s60, s43
	s_mul_hi_u32 s61, s60, s0
	s_add_u32 s43, s43, s62
	s_addc_u32 s61, 0, s61
	s_add_u32 s43, s43, s59
	s_mul_hi_u32 s1, s58, s0
	s_addc_u32 s43, s61, s57
	s_addc_u32 s1, s1, 0
	s_mul_i32 s0, s58, s0
	s_add_u32 s0, s43, s0
	s_addc_u32 s43, 0, s1
	s_add_u32 s57, s60, s0
	s_cselect_b64 s[0:1], -1, 0
	v_ashrrev_i32_e32 v3, 31, v13
	s_cmp_lg_u64 s[0:1], 0
	v_add_co_u32_e32 v5, vcc, v12, v3
	s_addc_u32 s43, s58, s43
	v_xor_b32_e32 v5, v5, v3
	v_addc_co_u32_e32 v7, vcc, v13, v3, vcc
	v_mad_u64_u32 v[13:14], s[0:1], v5, s43, 0
	v_mul_hi_u32 v9, v5, s57
	v_xor_b32_e32 v7, v7, v3
	v_mad_u64_u32 v[15:16], s[0:1], v7, s43, 0
	v_add_co_u32_e32 v9, vcc, v9, v13
	v_addc_co_u32_e32 v11, vcc, 0, v14, vcc
	v_mad_u64_u32 v[13:14], s[0:1], v7, s57, 0
	v_xor_b32_e32 v3, s42, v3
	v_add_co_u32_e32 v9, vcc, v9, v13
	v_addc_co_u32_e32 v9, vcc, v11, v14, vcc
	v_addc_co_u32_e32 v11, vcc, 0, v16, vcc
	v_add_co_u32_e32 v9, vcc, v9, v15
	v_addc_co_u32_e32 v11, vcc, 0, v11, vcc
	v_mul_lo_u32 v15, s45, v9
	v_mul_lo_u32 v16, s44, v11
	v_mad_u64_u32 v[13:14], s[0:1], s44, v9, 0
	v_add3_u32 v14, v14, v16, v15
	v_sub_u32_e32 v15, v7, v14
	v_mov_b32_e32 v16, s45
	v_sub_co_u32_e32 v5, vcc, v5, v13
	v_subb_co_u32_e64 v13, s[0:1], v15, v16, vcc
	v_subrev_co_u32_e64 v15, s[0:1], s44, v5
	v_subbrev_co_u32_e64 v13, s[0:1], 0, v13, s[0:1]
	v_cmp_le_u32_e64 s[0:1], s45, v13
	v_cndmask_b32_e64 v16, 0, -1, s[0:1]
	v_cmp_le_u32_e64 s[0:1], s44, v15
	v_cndmask_b32_e64 v15, 0, -1, s[0:1]
	v_cmp_eq_u32_e64 s[0:1], s45, v13
	v_cndmask_b32_e64 v13, v16, v15, s[0:1]
	v_add_co_u32_e64 v15, s[0:1], 2, v9
	v_subb_co_u32_e32 v7, vcc, v7, v14, vcc
	v_addc_co_u32_e64 v16, s[0:1], 0, v11, s[0:1]
	v_cmp_le_u32_e32 vcc, s45, v7
	v_add_co_u32_e64 v17, s[0:1], 1, v9
	v_cndmask_b32_e64 v14, 0, -1, vcc
	v_cmp_le_u32_e32 vcc, s44, v5
	v_addc_co_u32_e64 v20, s[0:1], 0, v11, s[0:1]
	v_cndmask_b32_e64 v5, 0, -1, vcc
	v_cmp_eq_u32_e32 vcc, s45, v7
	v_cmp_ne_u32_e64 s[0:1], 0, v13
	v_cndmask_b32_e32 v5, v14, v5, vcc
	v_cmp_ne_u32_e32 vcc, 0, v5
	v_cndmask_b32_e64 v7, v17, v15, s[0:1]
	v_cndmask_b32_e64 v13, v20, v16, s[0:1]
	v_cndmask_b32_e32 v7, v9, v7, vcc
	v_cndmask_b32_e32 v5, v11, v13, vcc
	v_xor_b32_e32 v7, v7, v3
	v_xor_b32_e32 v5, v5, v3
	v_sub_co_u32_e32 v14, vcc, v7, v3
	v_subb_co_u32_e32 v15, vcc, v5, v3, vcc
.LBB25_31:                              ;   in Loop: Header=BB25_21 Depth=2
	s_andn2_saveexec_b64 s[0:1], s[36:37]
	s_cbranch_execz .LBB25_33
; %bb.32:                               ;   in Loop: Header=BB25_21 Depth=2
	v_cvt_f32_u32_e32 v3, s55
	s_sub_i32 s36, 0, s55
	v_mov_b32_e32 v15, v2
	v_rcp_iflag_f32_e32 v3, v3
	v_mul_f32_e32 v3, 0x4f7ffffe, v3
	v_cvt_u32_f32_e32 v3, v3
	v_mul_lo_u32 v5, s36, v3
	v_mul_hi_u32 v5, v3, v5
	v_add_u32_e32 v3, v3, v5
	v_mul_hi_u32 v3, v12, v3
	v_mul_lo_u32 v5, v3, s55
	v_add_u32_e32 v7, 1, v3
	v_sub_u32_e32 v5, v12, v5
	v_subrev_u32_e32 v9, s55, v5
	v_cmp_le_u32_e32 vcc, s55, v5
	v_cndmask_b32_e32 v5, v5, v9, vcc
	v_cndmask_b32_e32 v3, v3, v7, vcc
	v_add_u32_e32 v7, 1, v3
	v_cmp_le_u32_e32 vcc, s55, v5
	v_cndmask_b32_e32 v14, v3, v7, vcc
.LBB25_33:                              ;   in Loop: Header=BB25_21 Depth=2
	s_or_b64 exec, exec, s[0:1]
	s_add_u32 s0, s4, s38
	s_addc_u32 s1, s5, s39
	s_add_i32 s36, s20, -3
	s_mov_b32 s37, s21
	s_lshl_b64 s[36:37], s[36:37], 2
	s_add_u32 s38, s46, s36
	s_addc_u32 s39, s47, s37
	s_load_dword s58, s[38:39], 0x8
	s_load_dword s59, s[40:41], 0x6c
	;; [unrolled: 1-line block ×3, first 2 shown]
                                        ; implicit-def: $vgpr16_vgpr17
	s_waitcnt lgkmcnt(0)
	s_ashr_i32 s0, s58, 31
	v_or_b32_e32 v3, s0, v15
	v_cmp_ne_u64_e32 vcc, 0, v[2:3]
	s_and_saveexec_b64 s[40:41], vcc
	s_xor_b64 s[40:41], exec, s[40:41]
	s_cbranch_execz .LBB25_35
; %bb.34:                               ;   in Loop: Header=BB25_21 Depth=2
	s_ashr_i32 s42, s0, 31
	s_add_u32 s44, s58, s42
	s_mov_b32 s43, s42
	s_addc_u32 s45, s0, s42
	s_xor_b64 s[44:45], s[44:45], s[42:43]
	v_cvt_f32_u32_e32 v3, s44
	v_cvt_f32_u32_e32 v5, s45
	s_sub_u32 s43, 0, s44
	s_subb_u32 s60, 0, s45
	v_mac_f32_e32 v3, 0x4f800000, v5
	v_rcp_f32_e32 v3, v3
	v_mul_f32_e32 v3, 0x5f7ffffc, v3
	v_mul_f32_e32 v5, 0x2f800000, v3
	v_trunc_f32_e32 v5, v5
	v_mac_f32_e32 v3, 0xcf800000, v5
	v_cvt_u32_f32_e32 v5, v5
	v_cvt_u32_f32_e32 v3, v3
	v_readfirstlane_b32 s61, v5
	v_readfirstlane_b32 s0, v3
	s_mul_i32 s1, s43, s61
	s_mul_hi_u32 s63, s43, s0
	s_mul_i32 s62, s60, s0
	s_add_i32 s1, s63, s1
	s_add_i32 s1, s1, s62
	s_mul_i32 s64, s43, s0
	s_mul_i32 s63, s0, s1
	s_mul_hi_u32 s65, s0, s64
	s_mul_hi_u32 s62, s0, s1
	s_add_u32 s63, s65, s63
	s_addc_u32 s62, 0, s62
	s_mul_hi_u32 s66, s61, s64
	s_mul_i32 s64, s61, s64
	s_add_u32 s63, s63, s64
	s_mul_hi_u32 s65, s61, s1
	s_addc_u32 s62, s62, s66
	s_addc_u32 s63, s65, 0
	s_mul_i32 s1, s61, s1
	s_add_u32 s1, s62, s1
	s_addc_u32 s62, 0, s63
	s_add_u32 s63, s0, s1
	s_cselect_b64 s[0:1], -1, 0
	s_cmp_lg_u64 s[0:1], 0
	s_addc_u32 s61, s61, s62
	s_mul_i32 s0, s43, s61
	s_mul_hi_u32 s1, s43, s63
	s_add_i32 s0, s1, s0
	s_mul_i32 s60, s60, s63
	s_add_i32 s0, s0, s60
	s_mul_i32 s43, s43, s63
	s_mul_hi_u32 s60, s61, s43
	s_mul_i32 s62, s61, s43
	s_mul_i32 s65, s63, s0
	s_mul_hi_u32 s43, s63, s43
	s_mul_hi_u32 s64, s63, s0
	s_add_u32 s43, s43, s65
	s_addc_u32 s64, 0, s64
	s_add_u32 s43, s43, s62
	s_mul_hi_u32 s1, s61, s0
	s_addc_u32 s43, s64, s60
	s_addc_u32 s1, s1, 0
	s_mul_i32 s0, s61, s0
	s_add_u32 s0, s43, s0
	s_addc_u32 s43, 0, s1
	s_add_u32 s60, s63, s0
	s_cselect_b64 s[0:1], -1, 0
	v_ashrrev_i32_e32 v3, 31, v15
	s_cmp_lg_u64 s[0:1], 0
	v_add_co_u32_e32 v5, vcc, v14, v3
	s_addc_u32 s43, s61, s43
	v_xor_b32_e32 v5, v5, v3
	v_addc_co_u32_e32 v7, vcc, v15, v3, vcc
	v_mad_u64_u32 v[15:16], s[0:1], v5, s43, 0
	v_mul_hi_u32 v9, v5, s60
	v_xor_b32_e32 v7, v7, v3
	v_mad_u64_u32 v[20:21], s[0:1], v7, s43, 0
	v_add_co_u32_e32 v9, vcc, v9, v15
	v_addc_co_u32_e32 v11, vcc, 0, v16, vcc
	v_mad_u64_u32 v[15:16], s[0:1], v7, s60, 0
	v_xor_b32_e32 v3, s42, v3
	v_add_co_u32_e32 v9, vcc, v9, v15
	v_addc_co_u32_e32 v9, vcc, v11, v16, vcc
	v_addc_co_u32_e32 v11, vcc, 0, v21, vcc
	v_add_co_u32_e32 v9, vcc, v9, v20
	v_addc_co_u32_e32 v11, vcc, 0, v11, vcc
	v_mul_lo_u32 v13, s45, v9
	v_mul_lo_u32 v17, s44, v11
	v_mad_u64_u32 v[15:16], s[0:1], s44, v9, 0
	v_add3_u32 v13, v16, v17, v13
	v_sub_u32_e32 v16, v7, v13
	v_mov_b32_e32 v17, s45
	v_sub_co_u32_e32 v5, vcc, v5, v15
	v_subb_co_u32_e64 v15, s[0:1], v16, v17, vcc
	v_subrev_co_u32_e64 v16, s[0:1], s44, v5
	v_subbrev_co_u32_e64 v15, s[0:1], 0, v15, s[0:1]
	v_cmp_le_u32_e64 s[0:1], s45, v15
	v_cndmask_b32_e64 v17, 0, -1, s[0:1]
	v_cmp_le_u32_e64 s[0:1], s44, v16
	v_cndmask_b32_e64 v16, 0, -1, s[0:1]
	v_cmp_eq_u32_e64 s[0:1], s45, v15
	v_cndmask_b32_e64 v15, v17, v16, s[0:1]
	v_add_co_u32_e64 v16, s[0:1], 2, v9
	v_subb_co_u32_e32 v7, vcc, v7, v13, vcc
	v_addc_co_u32_e64 v17, s[0:1], 0, v11, s[0:1]
	v_cmp_le_u32_e32 vcc, s45, v7
	v_add_co_u32_e64 v20, s[0:1], 1, v9
	v_cndmask_b32_e64 v13, 0, -1, vcc
	v_cmp_le_u32_e32 vcc, s44, v5
	v_addc_co_u32_e64 v21, s[0:1], 0, v11, s[0:1]
	v_cndmask_b32_e64 v5, 0, -1, vcc
	v_cmp_eq_u32_e32 vcc, s45, v7
	v_cmp_ne_u32_e64 s[0:1], 0, v15
	v_cndmask_b32_e32 v5, v13, v5, vcc
	v_cmp_ne_u32_e32 vcc, 0, v5
	v_cndmask_b32_e64 v7, v20, v16, s[0:1]
	v_cndmask_b32_e64 v15, v21, v17, s[0:1]
	v_cndmask_b32_e32 v7, v9, v7, vcc
	v_cndmask_b32_e32 v5, v11, v15, vcc
	v_xor_b32_e32 v7, v7, v3
	v_xor_b32_e32 v5, v5, v3
	v_sub_co_u32_e32 v16, vcc, v7, v3
	v_subb_co_u32_e32 v17, vcc, v5, v3, vcc
.LBB25_35:                              ;   in Loop: Header=BB25_21 Depth=2
	s_andn2_saveexec_b64 s[0:1], s[40:41]
	s_cbranch_execz .LBB25_37
; %bb.36:                               ;   in Loop: Header=BB25_21 Depth=2
	v_cvt_f32_u32_e32 v3, s58
	s_sub_i32 s40, 0, s58
	v_mov_b32_e32 v17, v2
	v_rcp_iflag_f32_e32 v3, v3
	v_mul_f32_e32 v3, 0x4f7ffffe, v3
	v_cvt_u32_f32_e32 v3, v3
	v_mul_lo_u32 v5, s40, v3
	v_mul_hi_u32 v5, v3, v5
	v_add_u32_e32 v3, v3, v5
	v_mul_hi_u32 v3, v14, v3
	v_mul_lo_u32 v5, v3, s58
	v_add_u32_e32 v7, 1, v3
	v_sub_u32_e32 v5, v14, v5
	v_subrev_u32_e32 v9, s58, v5
	v_cmp_le_u32_e32 vcc, s58, v5
	v_cndmask_b32_e32 v5, v5, v9, vcc
	v_cndmask_b32_e32 v3, v3, v7, vcc
	v_add_u32_e32 v7, 1, v3
	v_cmp_le_u32_e32 vcc, s58, v5
	v_cndmask_b32_e32 v16, v3, v7, vcc
.LBB25_37:                              ;   in Loop: Header=BB25_21 Depth=2
	s_or_b64 exec, exec, s[0:1]
	v_mul_lo_u32 v3, v10, s15
	v_mul_lo_u32 v5, v12, s53
	v_mul_lo_u32 v9, v14, s55
	s_add_u32 s0, s4, s36
	v_sub_u32_e32 v3, v8, v3
	v_sub_u32_e32 v5, v10, v5
	v_mul_lo_u32 v7, s35, v3
	v_mul_lo_u32 v8, s56, v5
	s_addc_u32 s1, s5, s37
	s_load_dword s15, s[38:39], 0x6c
	v_mul_lo_u32 v3, s17, v3
	v_add3_u32 v6, v7, v6, v8
	v_sub_u32_e32 v7, v12, v9
	v_mul_lo_u32 v9, v16, s58
	s_load_dword s0, s[0:1], 0x6c
	v_mul_lo_u32 v5, s54, v5
	v_mul_lo_u32 v8, s59, v7
	v_sub_u32_e32 v9, v14, v9
	s_waitcnt lgkmcnt(0)
	v_mul_lo_u32 v10, s15, v9
	v_add3_u32 v3, v3, v4, v5
	v_mul_lo_u32 v4, s57, v7
	v_mul_lo_u32 v5, s0, v9
	s_add_i32 s20, s20, -4
	v_add3_u32 v6, v8, v6, v10
	s_cmp_eq_u32 s20, -1
	v_add3_u32 v4, v4, v3, v5
	s_cbranch_scc1 .LBB25_39
; %bb.38:                               ;   in Loop: Header=BB25_21 Depth=2
	v_mov_b32_e32 v8, v16
	v_mov_b32_e32 v9, v17
	s_branch .LBB25_21
.LBB25_39:                              ;   in Loop: Header=BB25_3 Depth=1
	v_sub_u32_e32 v8, v18, v19
	v_ashrrev_i32_e32 v9, 31, v8
	v_cmp_ge_i64_e32 vcc, s[8:9], v[8:9]
	v_mov_b32_e32 v7, 0
	v_mov_b32_e32 v10, 0
	s_and_saveexec_b64 s[0:1], vcc
	s_cbranch_execz .LBB25_45
; %bb.40:                               ;   in Loop: Header=BB25_3 Depth=1
	v_cmp_gt_i32_e32 vcc, s7, v18
	v_mov_b32_e32 v3, 0
	v_mov_b32_e32 v7, 0
	s_and_saveexec_b64 s[36:37], vcc
	s_cbranch_execz .LBB25_44
; %bb.41:                               ;   in Loop: Header=BB25_3 Depth=1
	v_ashrrev_i32_e32 v7, 31, v6
	v_lshlrev_b64 v[5:6], 2, v[6:7]
	v_mov_b32_e32 v3, s3
	v_add_co_u32_e32 v5, vcc, s2, v5
	v_addc_co_u32_e32 v6, vcc, v3, v6, vcc
	global_load_dword v3, v[5:6], off
	v_add_u32_e32 v7, 1, v18
	v_cmp_gt_i32_e32 vcc, s7, v7
	v_mov_b32_e32 v7, 0
	s_and_saveexec_b64 s[38:39], vcc
	s_xor_b64 s[38:39], exec, s[38:39]
	s_cbranch_execz .LBB25_43
; %bb.42:                               ;   in Loop: Header=BB25_3 Depth=1
	s_lshl_b64 s[40:41], s[26:27], 2
	v_mov_b32_e32 v7, s41
	v_add_co_u32_e32 v5, vcc, s40, v5
	v_addc_co_u32_e32 v6, vcc, v6, v7, vcc
	global_load_dword v7, v[5:6], off
.LBB25_43:                              ;   in Loop: Header=BB25_3 Depth=1
	s_or_b64 exec, exec, s[38:39]
.LBB25_44:                              ;   in Loop: Header=BB25_3 Depth=1
	s_or_b64 exec, exec, s[36:37]
	v_cmp_ge_i64_e32 vcc, s[8:9], v[8:9]
	v_add_u32_e32 v5, 1, v8
	v_ashrrev_i32_e32 v6, 31, v5
	s_waitcnt vmcnt(0)
	v_cndmask_b32_e32 v10, 0, v3, vcc
	v_cmp_ge_i64_e32 vcc, s[8:9], v[5:6]
	v_cndmask_b32_e32 v7, 0, v7, vcc
.LBB25_45:                              ;   in Loop: Header=BB25_3 Depth=1
	s_or_b64 exec, exec, s[0:1]
	v_cmp_gt_i32_e32 vcc, s7, v18
	s_and_saveexec_b64 s[0:1], vcc
	s_cbranch_execz .LBB25_2
; %bb.46:                               ;   in Loop: Header=BB25_3 Depth=1
	v_ashrrev_i32_e32 v5, 31, v4
	v_lshlrev_b64 v[3:4], 2, v[4:5]
	v_mov_b32_e32 v5, s19
	v_add_co_u32_e32 v3, vcc, s18, v3
	v_addc_co_u32_e32 v4, vcc, v5, v4, vcc
	v_add_u32_e32 v5, 1, v18
	v_cmp_gt_i32_e32 vcc, s7, v5
	global_store_dword v[3:4], v10, off
	s_and_saveexec_b64 s[36:37], vcc
	s_xor_b64 s[36:37], exec, s[36:37]
	s_cbranch_execz .LBB25_2
; %bb.47:                               ;   in Loop: Header=BB25_3 Depth=1
	s_lshl_b64 s[36:37], s[28:29], 2
	v_mov_b32_e32 v5, s37
	v_add_co_u32_e32 v3, vcc, s36, v3
	v_addc_co_u32_e32 v4, vcc, v4, v5, vcc
	global_store_dword v[3:4], v7, off
	s_branch .LBB25_2
.LBB25_48:
	s_endpgm
	.section	.rodata,"a",@progbits
	.p2align	6, 0x0
	.amdhsa_kernel _ZN2at6native16triu_tril_kernelIfiLb0ELi2ELb0EEEvNS_4cuda6detail10TensorInfoIT_T0_EENS4_IKS5_S6_EEllS6_
		.amdhsa_group_segment_fixed_size 0
		.amdhsa_private_segment_fixed_size 0
		.amdhsa_kernarg_size 712
		.amdhsa_user_sgpr_count 6
		.amdhsa_user_sgpr_private_segment_buffer 1
		.amdhsa_user_sgpr_dispatch_ptr 0
		.amdhsa_user_sgpr_queue_ptr 0
		.amdhsa_user_sgpr_kernarg_segment_ptr 1
		.amdhsa_user_sgpr_dispatch_id 0
		.amdhsa_user_sgpr_flat_scratch_init 0
		.amdhsa_user_sgpr_private_segment_size 0
		.amdhsa_uses_dynamic_stack 0
		.amdhsa_system_sgpr_private_segment_wavefront_offset 0
		.amdhsa_system_sgpr_workgroup_id_x 1
		.amdhsa_system_sgpr_workgroup_id_y 0
		.amdhsa_system_sgpr_workgroup_id_z 0
		.amdhsa_system_sgpr_workgroup_info 0
		.amdhsa_system_vgpr_workitem_id 0
		.amdhsa_next_free_vgpr 22
		.amdhsa_next_free_sgpr 67
		.amdhsa_reserve_vcc 1
		.amdhsa_reserve_flat_scratch 0
		.amdhsa_float_round_mode_32 0
		.amdhsa_float_round_mode_16_64 0
		.amdhsa_float_denorm_mode_32 3
		.amdhsa_float_denorm_mode_16_64 3
		.amdhsa_dx10_clamp 1
		.amdhsa_ieee_mode 1
		.amdhsa_fp16_overflow 0
		.amdhsa_exception_fp_ieee_invalid_op 0
		.amdhsa_exception_fp_denorm_src 0
		.amdhsa_exception_fp_ieee_div_zero 0
		.amdhsa_exception_fp_ieee_overflow 0
		.amdhsa_exception_fp_ieee_underflow 0
		.amdhsa_exception_fp_ieee_inexact 0
		.amdhsa_exception_int_div_zero 0
	.end_amdhsa_kernel
	.section	.text._ZN2at6native16triu_tril_kernelIfiLb0ELi2ELb0EEEvNS_4cuda6detail10TensorInfoIT_T0_EENS4_IKS5_S6_EEllS6_,"axG",@progbits,_ZN2at6native16triu_tril_kernelIfiLb0ELi2ELb0EEEvNS_4cuda6detail10TensorInfoIT_T0_EENS4_IKS5_S6_EEllS6_,comdat
.Lfunc_end25:
	.size	_ZN2at6native16triu_tril_kernelIfiLb0ELi2ELb0EEEvNS_4cuda6detail10TensorInfoIT_T0_EENS4_IKS5_S6_EEllS6_, .Lfunc_end25-_ZN2at6native16triu_tril_kernelIfiLb0ELi2ELb0EEEvNS_4cuda6detail10TensorInfoIT_T0_EENS4_IKS5_S6_EEllS6_
                                        ; -- End function
	.set _ZN2at6native16triu_tril_kernelIfiLb0ELi2ELb0EEEvNS_4cuda6detail10TensorInfoIT_T0_EENS4_IKS5_S6_EEllS6_.num_vgpr, 22
	.set _ZN2at6native16triu_tril_kernelIfiLb0ELi2ELb0EEEvNS_4cuda6detail10TensorInfoIT_T0_EENS4_IKS5_S6_EEllS6_.num_agpr, 0
	.set _ZN2at6native16triu_tril_kernelIfiLb0ELi2ELb0EEEvNS_4cuda6detail10TensorInfoIT_T0_EENS4_IKS5_S6_EEllS6_.numbered_sgpr, 67
	.set _ZN2at6native16triu_tril_kernelIfiLb0ELi2ELb0EEEvNS_4cuda6detail10TensorInfoIT_T0_EENS4_IKS5_S6_EEllS6_.num_named_barrier, 0
	.set _ZN2at6native16triu_tril_kernelIfiLb0ELi2ELb0EEEvNS_4cuda6detail10TensorInfoIT_T0_EENS4_IKS5_S6_EEllS6_.private_seg_size, 0
	.set _ZN2at6native16triu_tril_kernelIfiLb0ELi2ELb0EEEvNS_4cuda6detail10TensorInfoIT_T0_EENS4_IKS5_S6_EEllS6_.uses_vcc, 1
	.set _ZN2at6native16triu_tril_kernelIfiLb0ELi2ELb0EEEvNS_4cuda6detail10TensorInfoIT_T0_EENS4_IKS5_S6_EEllS6_.uses_flat_scratch, 0
	.set _ZN2at6native16triu_tril_kernelIfiLb0ELi2ELb0EEEvNS_4cuda6detail10TensorInfoIT_T0_EENS4_IKS5_S6_EEllS6_.has_dyn_sized_stack, 0
	.set _ZN2at6native16triu_tril_kernelIfiLb0ELi2ELb0EEEvNS_4cuda6detail10TensorInfoIT_T0_EENS4_IKS5_S6_EEllS6_.has_recursion, 0
	.set _ZN2at6native16triu_tril_kernelIfiLb0ELi2ELb0EEEvNS_4cuda6detail10TensorInfoIT_T0_EENS4_IKS5_S6_EEllS6_.has_indirect_call, 0
	.section	.AMDGPU.csdata,"",@progbits
; Kernel info:
; codeLenInByte = 6340
; TotalNumSgprs: 71
; NumVgprs: 22
; ScratchSize: 0
; MemoryBound: 0
; FloatMode: 240
; IeeeMode: 1
; LDSByteSize: 0 bytes/workgroup (compile time only)
; SGPRBlocks: 8
; VGPRBlocks: 5
; NumSGPRsForWavesPerEU: 71
; NumVGPRsForWavesPerEU: 22
; Occupancy: 10
; WaveLimiterHint : 1
; COMPUTE_PGM_RSRC2:SCRATCH_EN: 0
; COMPUTE_PGM_RSRC2:USER_SGPR: 6
; COMPUTE_PGM_RSRC2:TRAP_HANDLER: 0
; COMPUTE_PGM_RSRC2:TGID_X_EN: 1
; COMPUTE_PGM_RSRC2:TGID_Y_EN: 0
; COMPUTE_PGM_RSRC2:TGID_Z_EN: 0
; COMPUTE_PGM_RSRC2:TIDIG_COMP_CNT: 0
	.section	.text._ZN2at6native16triu_tril_kernelIflLb0ELi2ELb1EEEvNS_4cuda6detail10TensorInfoIT_T0_EENS4_IKS5_S6_EEllS6_,"axG",@progbits,_ZN2at6native16triu_tril_kernelIflLb0ELi2ELb1EEEvNS_4cuda6detail10TensorInfoIT_T0_EENS4_IKS5_S6_EEllS6_,comdat
	.protected	_ZN2at6native16triu_tril_kernelIflLb0ELi2ELb1EEEvNS_4cuda6detail10TensorInfoIT_T0_EENS4_IKS5_S6_EEllS6_ ; -- Begin function _ZN2at6native16triu_tril_kernelIflLb0ELi2ELb1EEEvNS_4cuda6detail10TensorInfoIT_T0_EENS4_IKS5_S6_EEllS6_
	.globl	_ZN2at6native16triu_tril_kernelIflLb0ELi2ELb1EEEvNS_4cuda6detail10TensorInfoIT_T0_EENS4_IKS5_S6_EEllS6_
	.p2align	8
	.type	_ZN2at6native16triu_tril_kernelIflLb0ELi2ELb1EEEvNS_4cuda6detail10TensorInfoIT_T0_EENS4_IKS5_S6_EEllS6_,@function
_ZN2at6native16triu_tril_kernelIflLb0ELi2ELb1EEEvNS_4cuda6detail10TensorInfoIT_T0_EENS4_IKS5_S6_EEllS6_: ; @_ZN2at6native16triu_tril_kernelIflLb0ELi2ELb1EEEvNS_4cuda6detail10TensorInfoIT_T0_EENS4_IKS5_S6_EEllS6_
; %bb.0:
	s_load_dword s2, s[4:5], 0x364
	s_load_dwordx4 s[8:11], s[4:5], 0x340
	s_add_u32 s0, s4, 0x358
	v_mov_b32_e32 v2, 0
	s_addc_u32 s1, s5, 0
	s_waitcnt lgkmcnt(0)
	s_and_b32 s2, s2, 0xffff
	v_mov_b32_e32 v1, v2
	v_mov_b32_e32 v3, s6
	v_mad_u64_u32 v[0:1], s[6:7], s2, v3, v[0:1]
	v_lshlrev_b64 v[0:1], 1, v[0:1]
	v_cmp_gt_i64_e32 vcc, s[10:11], v[0:1]
	s_and_saveexec_b64 s[6:7], vcc
	s_cbranch_execz .LBB26_43
; %bb.1:
	s_load_dword s1, s[0:1], 0x0
	s_add_u32 s34, s4, 0x1a0
	s_load_dword s0, s[4:5], 0x338
	s_addc_u32 s35, s5, 0
	s_load_dwordx2 s[6:7], s[4:5], 0x350
	s_load_dwordx2 s[12:13], s[4:5], 0x0
	s_waitcnt lgkmcnt(0)
	s_mul_i32 s24, s1, s2
	s_mov_b32 s25, 0
	s_add_i32 s2, s0, -2
	s_ashr_i32 s3, s2, 31
	s_ashr_i32 s1, s0, 31
	s_lshl_b64 s[16:17], s[2:3], 3
	s_add_u32 s16, s34, s16
	s_addc_u32 s17, s35, s17
	s_lshl_b64 s[22:23], s[0:1], 3
	s_add_u32 s18, s4, s22
	s_addc_u32 s19, s5, s23
	s_add_i32 s20, s0, -3
	s_ashr_i32 s21, s20, 31
	s_add_u32 s22, s34, s22
	v_cmp_gt_i64_e64 s[14:15], s[0:1], 2
	s_addc_u32 s23, s35, s23
	s_lshl_b32 s33, s24, 1
	s_and_b32 s24, s2, 3
	s_and_b32 s0, s20, 3
	s_cmp_lg_u32 s0, 3
	s_cselect_b64 s[26:27], -1, 0
	s_cmp_gt_u32 s20, 2
	s_cselect_b64 s[28:29], -1, 0
	s_lshl_b64 s[0:1], s[20:21], 3
	s_add_u32 s2, s4, s0
	s_addc_u32 s3, s5, s1
	s_add_u32 s30, s2, 0xd0
	s_addc_u32 s31, s3, 0
	;; [unrolled: 2-line block ×3, first 2 shown]
	s_add_u32 s34, s0, 8
	s_load_dwordx2 s[16:17], s[16:17], 0x8
	s_addc_u32 s35, s1, 0
	s_add_u32 s64, s4, 0xb8
	s_addc_u32 s65, s5, 0
	s_add_u32 s66, s4, 0x190
	s_addc_u32 s67, s5, 0
	s_mov_b64 s[4:5], 0
	s_branch .LBB26_3
.LBB26_2:                               ;   in Loop: Header=BB26_3 Depth=1
	s_or_b64 exec, exec, s[36:37]
	v_add_co_u32_e32 v0, vcc, s33, v0
	v_addc_co_u32_e32 v1, vcc, 0, v1, vcc
	v_cmp_le_i64_e32 vcc, s[10:11], v[0:1]
	s_or_b64 s[4:5], vcc, s[4:5]
	s_andn2_b64 exec, exec, s[4:5]
	s_cbranch_execz .LBB26_43
.LBB26_3:                               ; =>This Loop Header: Depth=1
                                        ;     Child Loop BB26_17 Depth 2
                                        ;     Child Loop BB26_22 Depth 2
	v_or_b32_e32 v3, s7, v1
	v_cmp_ne_u64_e32 vcc, 0, v[2:3]
                                        ; implicit-def: $vgpr6_vgpr7
	s_and_saveexec_b64 s[0:1], vcc
	s_xor_b64 s[2:3], exec, s[0:1]
	s_cbranch_execz .LBB26_5
; %bb.4:                                ;   in Loop: Header=BB26_3 Depth=1
	s_ashr_i32 s36, s7, 31
	s_add_u32 s0, s6, s36
	s_mov_b32 s37, s36
	s_addc_u32 s1, s7, s36
	s_xor_b64 s[38:39], s[0:1], s[36:37]
	v_cvt_f32_u32_e32 v3, s38
	v_cvt_f32_u32_e32 v4, s39
	s_sub_u32 s37, 0, s38
	s_subb_u32 s40, 0, s39
	v_ashrrev_i32_e32 v7, 31, v1
	v_mac_f32_e32 v3, 0x4f800000, v4
	v_rcp_f32_e32 v3, v3
	v_mul_f32_e32 v3, 0x5f7ffffc, v3
	v_mul_f32_e32 v4, 0x2f800000, v3
	v_trunc_f32_e32 v4, v4
	v_mac_f32_e32 v3, 0xcf800000, v4
	v_cvt_u32_f32_e32 v4, v4
	v_cvt_u32_f32_e32 v3, v3
	v_readfirstlane_b32 s41, v4
	v_readfirstlane_b32 s0, v3
	s_mul_i32 s1, s37, s41
	s_mul_hi_u32 s43, s37, s0
	s_mul_i32 s42, s40, s0
	s_add_i32 s1, s43, s1
	s_add_i32 s1, s1, s42
	s_mul_i32 s44, s37, s0
	s_mul_i32 s43, s0, s1
	s_mul_hi_u32 s45, s0, s44
	s_mul_hi_u32 s42, s0, s1
	s_add_u32 s43, s45, s43
	s_addc_u32 s42, 0, s42
	s_mul_hi_u32 s46, s41, s44
	s_mul_i32 s44, s41, s44
	s_add_u32 s43, s43, s44
	s_mul_hi_u32 s45, s41, s1
	s_addc_u32 s42, s42, s46
	s_addc_u32 s43, s45, 0
	s_mul_i32 s1, s41, s1
	s_add_u32 s1, s42, s1
	s_addc_u32 s42, 0, s43
	s_add_u32 s43, s0, s1
	s_cselect_b64 s[0:1], -1, 0
	s_cmp_lg_u64 s[0:1], 0
	s_addc_u32 s41, s41, s42
	s_mul_i32 s0, s37, s41
	s_mul_hi_u32 s1, s37, s43
	s_add_i32 s0, s1, s0
	s_mul_i32 s40, s40, s43
	s_add_i32 s0, s0, s40
	s_mul_i32 s37, s37, s43
	s_mul_hi_u32 s40, s41, s37
	s_mul_i32 s42, s41, s37
	s_mul_i32 s45, s43, s0
	s_mul_hi_u32 s37, s43, s37
	s_mul_hi_u32 s44, s43, s0
	s_add_u32 s37, s37, s45
	s_addc_u32 s44, 0, s44
	s_add_u32 s37, s37, s42
	s_mul_hi_u32 s1, s41, s0
	s_addc_u32 s37, s44, s40
	s_addc_u32 s1, s1, 0
	s_mul_i32 s0, s41, s0
	s_add_u32 s0, s37, s0
	s_addc_u32 s37, 0, s1
	s_add_u32 s40, s43, s0
	s_cselect_b64 s[0:1], -1, 0
	s_cmp_lg_u64 s[0:1], 0
	v_add_co_u32_e32 v3, vcc, v0, v7
	s_addc_u32 s37, s41, s37
	v_xor_b32_e32 v8, v3, v7
	v_mad_u64_u32 v[3:4], s[0:1], v8, s37, 0
	v_mul_hi_u32 v6, v8, s40
	v_addc_co_u32_e32 v5, vcc, v1, v7, vcc
	v_xor_b32_e32 v9, v5, v7
	v_add_co_u32_e32 v10, vcc, v6, v3
	v_addc_co_u32_e32 v11, vcc, 0, v4, vcc
	v_mad_u64_u32 v[3:4], s[0:1], v9, s40, 0
	v_mad_u64_u32 v[5:6], s[0:1], v9, s37, 0
	v_add_co_u32_e32 v3, vcc, v10, v3
	v_addc_co_u32_e32 v3, vcc, v11, v4, vcc
	v_addc_co_u32_e32 v4, vcc, 0, v6, vcc
	v_add_co_u32_e32 v5, vcc, v3, v5
	v_addc_co_u32_e32 v6, vcc, 0, v4, vcc
	v_mul_lo_u32 v10, s39, v5
	v_mul_lo_u32 v11, s38, v6
	v_mad_u64_u32 v[3:4], s[0:1], s38, v5, 0
	v_add3_u32 v4, v4, v11, v10
	v_sub_u32_e32 v10, v9, v4
	v_mov_b32_e32 v11, s39
	v_sub_co_u32_e32 v3, vcc, v8, v3
	v_subb_co_u32_e64 v8, s[0:1], v10, v11, vcc
	v_subrev_co_u32_e64 v10, s[0:1], s38, v3
	v_subbrev_co_u32_e64 v8, s[0:1], 0, v8, s[0:1]
	v_cmp_le_u32_e64 s[0:1], s39, v8
	v_cndmask_b32_e64 v11, 0, -1, s[0:1]
	v_cmp_le_u32_e64 s[0:1], s38, v10
	v_cndmask_b32_e64 v10, 0, -1, s[0:1]
	v_cmp_eq_u32_e64 s[0:1], s39, v8
	v_cndmask_b32_e64 v8, v11, v10, s[0:1]
	v_add_co_u32_e64 v10, s[0:1], 2, v5
	v_subb_co_u32_e32 v4, vcc, v9, v4, vcc
	v_addc_co_u32_e64 v11, s[0:1], 0, v6, s[0:1]
	v_cmp_le_u32_e32 vcc, s39, v4
	v_add_co_u32_e64 v12, s[0:1], 1, v5
	v_cndmask_b32_e64 v9, 0, -1, vcc
	v_cmp_le_u32_e32 vcc, s38, v3
	v_addc_co_u32_e64 v13, s[0:1], 0, v6, s[0:1]
	v_cndmask_b32_e64 v3, 0, -1, vcc
	v_cmp_eq_u32_e32 vcc, s39, v4
	v_cmp_ne_u32_e64 s[0:1], 0, v8
	v_cndmask_b32_e32 v3, v9, v3, vcc
	v_cmp_ne_u32_e32 vcc, 0, v3
	v_cndmask_b32_e64 v4, v12, v10, s[0:1]
	v_cndmask_b32_e64 v8, v13, v11, s[0:1]
	v_cndmask_b32_e32 v4, v5, v4, vcc
	v_xor_b32_e32 v5, s36, v7
	v_cndmask_b32_e32 v3, v6, v8, vcc
	v_xor_b32_e32 v4, v4, v5
	v_xor_b32_e32 v3, v3, v5
	v_sub_co_u32_e32 v6, vcc, v4, v5
	v_subb_co_u32_e32 v7, vcc, v3, v5, vcc
.LBB26_5:                               ;   in Loop: Header=BB26_3 Depth=1
	s_andn2_saveexec_b64 s[0:1], s[2:3]
	s_cbranch_execz .LBB26_7
; %bb.6:                                ;   in Loop: Header=BB26_3 Depth=1
	v_cvt_f32_u32_e32 v3, s6
	s_sub_i32 s2, 0, s6
	v_mov_b32_e32 v7, v2
	v_rcp_iflag_f32_e32 v3, v3
	v_mul_f32_e32 v3, 0x4f7ffffe, v3
	v_cvt_u32_f32_e32 v3, v3
	v_mul_lo_u32 v4, s2, v3
	v_mul_hi_u32 v4, v3, v4
	v_add_u32_e32 v3, v3, v4
	v_mul_hi_u32 v3, v0, v3
	v_mul_lo_u32 v4, v3, s6
	v_add_u32_e32 v5, 1, v3
	v_sub_u32_e32 v4, v0, v4
	v_subrev_u32_e32 v6, s6, v4
	v_cmp_le_u32_e32 vcc, s6, v4
	v_cndmask_b32_e32 v4, v4, v6, vcc
	v_cndmask_b32_e32 v3, v3, v5, vcc
	v_add_u32_e32 v5, 1, v3
	v_cmp_le_u32_e32 vcc, s6, v4
	v_cndmask_b32_e32 v6, v3, v5, vcc
.LBB26_7:                               ;   in Loop: Header=BB26_3 Depth=1
	s_or_b64 exec, exec, s[0:1]
	s_waitcnt lgkmcnt(0)
	v_or_b32_e32 v3, s17, v7
	v_cmp_ne_u64_e32 vcc, 0, v[2:3]
                                        ; implicit-def: $vgpr10_vgpr11
	s_and_saveexec_b64 s[0:1], vcc
	s_xor_b64 s[2:3], exec, s[0:1]
	s_cbranch_execz .LBB26_9
; %bb.8:                                ;   in Loop: Header=BB26_3 Depth=1
	s_ashr_i32 s36, s17, 31
	s_add_u32 s0, s16, s36
	s_mov_b32 s37, s36
	s_addc_u32 s1, s17, s36
	s_xor_b64 s[38:39], s[0:1], s[36:37]
	v_cvt_f32_u32_e32 v3, s38
	v_cvt_f32_u32_e32 v4, s39
	s_sub_u32 s37, 0, s38
	s_subb_u32 s40, 0, s39
	v_ashrrev_i32_e32 v5, 31, v7
	v_mac_f32_e32 v3, 0x4f800000, v4
	v_rcp_f32_e32 v3, v3
	v_mul_f32_e32 v3, 0x5f7ffffc, v3
	v_mul_f32_e32 v4, 0x2f800000, v3
	v_trunc_f32_e32 v4, v4
	v_mac_f32_e32 v3, 0xcf800000, v4
	v_cvt_u32_f32_e32 v4, v4
	v_cvt_u32_f32_e32 v3, v3
	v_readfirstlane_b32 s41, v4
	v_readfirstlane_b32 s0, v3
	s_mul_i32 s1, s37, s41
	s_mul_hi_u32 s43, s37, s0
	s_mul_i32 s42, s40, s0
	s_add_i32 s1, s43, s1
	s_add_i32 s1, s1, s42
	s_mul_i32 s44, s37, s0
	s_mul_i32 s43, s0, s1
	s_mul_hi_u32 s45, s0, s44
	s_mul_hi_u32 s42, s0, s1
	s_add_u32 s43, s45, s43
	s_addc_u32 s42, 0, s42
	s_mul_hi_u32 s46, s41, s44
	s_mul_i32 s44, s41, s44
	s_add_u32 s43, s43, s44
	s_mul_hi_u32 s45, s41, s1
	s_addc_u32 s42, s42, s46
	s_addc_u32 s43, s45, 0
	s_mul_i32 s1, s41, s1
	s_add_u32 s1, s42, s1
	s_addc_u32 s42, 0, s43
	s_add_u32 s43, s0, s1
	s_cselect_b64 s[0:1], -1, 0
	s_cmp_lg_u64 s[0:1], 0
	s_addc_u32 s41, s41, s42
	s_mul_i32 s0, s37, s41
	s_mul_hi_u32 s1, s37, s43
	s_add_i32 s0, s1, s0
	s_mul_i32 s40, s40, s43
	s_add_i32 s0, s0, s40
	s_mul_i32 s37, s37, s43
	s_mul_hi_u32 s40, s41, s37
	s_mul_i32 s42, s41, s37
	s_mul_i32 s45, s43, s0
	s_mul_hi_u32 s37, s43, s37
	s_mul_hi_u32 s44, s43, s0
	s_add_u32 s37, s37, s45
	s_addc_u32 s44, 0, s44
	s_add_u32 s37, s37, s42
	s_mul_hi_u32 s1, s41, s0
	s_addc_u32 s37, s44, s40
	s_addc_u32 s1, s1, 0
	s_mul_i32 s0, s41, s0
	s_add_u32 s0, s37, s0
	s_addc_u32 s37, 0, s1
	s_add_u32 s40, s43, s0
	s_cselect_b64 s[0:1], -1, 0
	s_cmp_lg_u64 s[0:1], 0
	v_add_co_u32_e32 v3, vcc, v6, v5
	s_addc_u32 s37, s41, s37
	v_xor_b32_e32 v10, v3, v5
	v_mad_u64_u32 v[3:4], s[0:1], v10, s37, 0
	v_mul_hi_u32 v9, v10, s40
	v_addc_co_u32_e32 v8, vcc, v7, v5, vcc
	v_xor_b32_e32 v11, v8, v5
	v_add_co_u32_e32 v12, vcc, v9, v3
	v_addc_co_u32_e32 v13, vcc, 0, v4, vcc
	v_mad_u64_u32 v[3:4], s[0:1], v11, s40, 0
	v_mad_u64_u32 v[8:9], s[0:1], v11, s37, 0
	v_add_co_u32_e32 v3, vcc, v12, v3
	v_addc_co_u32_e32 v3, vcc, v13, v4, vcc
	v_addc_co_u32_e32 v4, vcc, 0, v9, vcc
	v_add_co_u32_e32 v8, vcc, v3, v8
	v_addc_co_u32_e32 v9, vcc, 0, v4, vcc
	v_mul_lo_u32 v12, s39, v8
	v_mul_lo_u32 v13, s38, v9
	v_mad_u64_u32 v[3:4], s[0:1], s38, v8, 0
	v_xor_b32_e32 v5, s36, v5
	v_add3_u32 v4, v4, v13, v12
	v_sub_u32_e32 v12, v11, v4
	v_mov_b32_e32 v13, s39
	v_sub_co_u32_e32 v3, vcc, v10, v3
	v_subb_co_u32_e64 v10, s[0:1], v12, v13, vcc
	v_subrev_co_u32_e64 v12, s[0:1], s38, v3
	v_subbrev_co_u32_e64 v10, s[0:1], 0, v10, s[0:1]
	v_cmp_le_u32_e64 s[0:1], s39, v10
	v_cndmask_b32_e64 v13, 0, -1, s[0:1]
	v_cmp_le_u32_e64 s[0:1], s38, v12
	v_cndmask_b32_e64 v12, 0, -1, s[0:1]
	v_cmp_eq_u32_e64 s[0:1], s39, v10
	v_cndmask_b32_e64 v10, v13, v12, s[0:1]
	v_add_co_u32_e64 v12, s[0:1], 2, v8
	v_subb_co_u32_e32 v4, vcc, v11, v4, vcc
	v_addc_co_u32_e64 v13, s[0:1], 0, v9, s[0:1]
	v_cmp_le_u32_e32 vcc, s39, v4
	v_add_co_u32_e64 v14, s[0:1], 1, v8
	v_cndmask_b32_e64 v11, 0, -1, vcc
	v_cmp_le_u32_e32 vcc, s38, v3
	v_addc_co_u32_e64 v15, s[0:1], 0, v9, s[0:1]
	v_cndmask_b32_e64 v3, 0, -1, vcc
	v_cmp_eq_u32_e32 vcc, s39, v4
	v_cmp_ne_u32_e64 s[0:1], 0, v10
	v_cndmask_b32_e32 v3, v11, v3, vcc
	v_cmp_ne_u32_e32 vcc, 0, v3
	v_cndmask_b32_e64 v4, v14, v12, s[0:1]
	v_cndmask_b32_e64 v10, v15, v13, s[0:1]
	v_cndmask_b32_e32 v4, v8, v4, vcc
	v_cndmask_b32_e32 v3, v9, v10, vcc
	v_xor_b32_e32 v4, v4, v5
	v_xor_b32_e32 v3, v3, v5
	v_sub_co_u32_e32 v10, vcc, v4, v5
	v_subb_co_u32_e32 v11, vcc, v3, v5, vcc
.LBB26_9:                               ;   in Loop: Header=BB26_3 Depth=1
	s_andn2_saveexec_b64 s[0:1], s[2:3]
	s_cbranch_execz .LBB26_11
; %bb.10:                               ;   in Loop: Header=BB26_3 Depth=1
	v_cvt_f32_u32_e32 v3, s16
	s_sub_i32 s2, 0, s16
	v_mov_b32_e32 v11, v2
	v_rcp_iflag_f32_e32 v3, v3
	v_mul_f32_e32 v3, 0x4f7ffffe, v3
	v_cvt_u32_f32_e32 v3, v3
	v_mul_lo_u32 v4, s2, v3
	v_mul_hi_u32 v4, v3, v4
	v_add_u32_e32 v3, v3, v4
	v_mul_hi_u32 v3, v6, v3
	v_mul_lo_u32 v4, v3, s16
	v_add_u32_e32 v5, 1, v3
	v_sub_u32_e32 v4, v6, v4
	v_subrev_u32_e32 v8, s16, v4
	v_cmp_le_u32_e32 vcc, s16, v4
	v_cndmask_b32_e32 v4, v4, v8, vcc
	v_cndmask_b32_e32 v3, v3, v5, vcc
	v_add_u32_e32 v5, 1, v3
	v_cmp_le_u32_e32 vcc, s16, v4
	v_cndmask_b32_e32 v10, v3, v5, vcc
.LBB26_11:                              ;   in Loop: Header=BB26_3 Depth=1
	s_or_b64 exec, exec, s[0:1]
	v_mul_lo_u32 v5, v7, s6
	v_mul_lo_u32 v8, v6, s7
	v_mad_u64_u32 v[3:4], s[0:1], v6, s6, 0
	v_mul_lo_u32 v12, v11, s16
	v_mul_lo_u32 v13, v10, s17
	v_add3_u32 v5, v4, v8, v5
	v_mad_u64_u32 v[8:9], s[0:1], v10, s16, 0
	v_sub_co_u32_e32 v4, vcc, v0, v3
	v_subb_co_u32_e32 v5, vcc, v1, v5, vcc
	v_add3_u32 v3, v9, v13, v12
	v_sub_co_u32_e32 v20, vcc, v6, v8
	v_subb_co_u32_e32 v21, vcc, v7, v3, vcc
	v_sub_co_u32_e32 v6, vcc, v4, v20
	v_subb_co_u32_e32 v7, vcc, v5, v21, vcc
	v_add_co_u32_e32 v8, vcc, 2, v6
	v_addc_co_u32_e32 v9, vcc, 0, v7, vcc
	v_cmp_lt_i64_e32 vcc, s[8:9], v[8:9]
	s_and_saveexec_b64 s[36:37], vcc
	s_cbranch_execz .LBB26_2
; %bb.12:                               ;   in Loop: Header=BB26_3 Depth=1
	s_load_dwordx4 s[0:3], s[18:19], 0xc0
	s_andn2_b64 vcc, exec, s[14:15]
	s_waitcnt lgkmcnt(0)
	v_mul_lo_u32 v3, s3, v4
	v_mul_lo_u32 v12, s2, v5
	v_mad_u64_u32 v[8:9], s[38:39], s2, v4, 0
	v_mul_lo_u32 v13, s0, v21
	v_add3_u32 v9, v9, v12, v3
	v_mad_u64_u32 v[8:9], s[38:39], s0, v20, v[8:9]
	v_mul_lo_u32 v3, s1, v20
	v_add3_u32 v9, v3, v9, v13
	s_cbranch_vccnz .LBB26_38
; %bb.13:                               ;   in Loop: Header=BB26_3 Depth=1
	s_andn2_b64 vcc, exec, s[26:27]
	s_mov_b64 s[38:39], s[24:25]
	s_mov_b64 s[40:41], s[34:35]
	;; [unrolled: 1-line block ×4, first 2 shown]
	s_cbranch_vccz .LBB26_17
.LBB26_14:                              ;   in Loop: Header=BB26_3 Depth=1
	s_andn2_b64 vcc, exec, s[28:29]
	s_cbranch_vccnz .LBB26_38
; %bb.15:                               ;   in Loop: Header=BB26_3 Depth=1
	s_lshl_b64 s[0:1], s[42:43], 3
	s_add_u32 s38, s64, s0
	s_addc_u32 s39, s65, s1
	s_add_u32 s40, s66, s0
	s_addc_u32 s41, s67, s1
	;; [unrolled: 2-line block ×3, first 2 shown]
	s_branch .LBB26_22
.LBB26_16:                              ;   in Loop: Header=BB26_17 Depth=2
	s_or_b64 exec, exec, s[0:1]
	v_mul_lo_u32 v3, v13, s46
	v_mul_lo_u32 v16, v12, s47
	v_mad_u64_u32 v[14:15], s[0:1], v12, s46, 0
	s_load_dwordx2 s[0:1], s[44:45], 0x0
	s_add_u32 s42, s42, -1
	v_add3_u32 v3, v15, v16, v3
	v_sub_co_u32_e32 v10, vcc, v10, v14
	s_addc_u32 s43, s43, -1
	v_subb_co_u32_e32 v3, vcc, v11, v3, vcc
	s_add_u32 s44, s44, -8
	s_waitcnt lgkmcnt(0)
	v_mul_lo_u32 v3, s0, v3
	v_mul_lo_u32 v11, s1, v10
	v_mad_u64_u32 v[8:9], s[0:1], s0, v10, v[8:9]
	s_addc_u32 s45, s45, -1
	s_add_u32 s40, s40, -8
	s_addc_u32 s41, s41, -1
	s_add_u32 s38, s38, -1
	s_addc_u32 s39, s39, -1
	v_add3_u32 v9, v11, v9, v3
	v_mov_b32_e32 v10, v12
	s_cmp_lg_u64 s[38:39], 0
	v_mov_b32_e32 v11, v13
	s_cbranch_scc0 .LBB26_14
.LBB26_17:                              ;   Parent Loop BB26_3 Depth=1
                                        ; =>  This Inner Loop Header: Depth=2
	s_load_dwordx2 s[46:47], s[40:41], 0x0
                                        ; implicit-def: $vgpr12_vgpr13
	s_waitcnt lgkmcnt(0)
	v_or_b32_e32 v3, s47, v11
	v_cmp_ne_u64_e32 vcc, 0, v[2:3]
	s_and_saveexec_b64 s[0:1], vcc
	s_xor_b64 s[48:49], exec, s[0:1]
	s_cbranch_execz .LBB26_19
; %bb.18:                               ;   in Loop: Header=BB26_17 Depth=2
	s_ashr_i32 s50, s47, 31
	s_add_u32 s0, s46, s50
	s_mov_b32 s51, s50
	s_addc_u32 s1, s47, s50
	s_xor_b64 s[52:53], s[0:1], s[50:51]
	v_cvt_f32_u32_e32 v3, s52
	v_cvt_f32_u32_e32 v12, s53
	s_sub_u32 s51, 0, s52
	s_subb_u32 s54, 0, s53
	v_mac_f32_e32 v3, 0x4f800000, v12
	v_rcp_f32_e32 v3, v3
	v_mul_f32_e32 v3, 0x5f7ffffc, v3
	v_mul_f32_e32 v12, 0x2f800000, v3
	v_trunc_f32_e32 v12, v12
	v_mac_f32_e32 v3, 0xcf800000, v12
	v_cvt_u32_f32_e32 v12, v12
	v_cvt_u32_f32_e32 v3, v3
	v_readfirstlane_b32 s55, v12
	v_readfirstlane_b32 s0, v3
	s_mul_i32 s1, s51, s55
	s_mul_hi_u32 s57, s51, s0
	s_mul_i32 s56, s54, s0
	s_add_i32 s1, s57, s1
	s_add_i32 s1, s1, s56
	s_mul_i32 s58, s51, s0
	s_mul_i32 s57, s0, s1
	s_mul_hi_u32 s59, s0, s58
	s_mul_hi_u32 s56, s0, s1
	s_add_u32 s57, s59, s57
	s_addc_u32 s56, 0, s56
	s_mul_hi_u32 s60, s55, s58
	s_mul_i32 s58, s55, s58
	s_add_u32 s57, s57, s58
	s_mul_hi_u32 s59, s55, s1
	s_addc_u32 s56, s56, s60
	s_addc_u32 s57, s59, 0
	s_mul_i32 s1, s55, s1
	s_add_u32 s1, s56, s1
	s_addc_u32 s56, 0, s57
	s_add_u32 s57, s0, s1
	s_cselect_b64 s[0:1], -1, 0
	s_cmp_lg_u64 s[0:1], 0
	s_addc_u32 s55, s55, s56
	s_mul_i32 s0, s51, s55
	s_mul_hi_u32 s1, s51, s57
	s_add_i32 s0, s1, s0
	s_mul_i32 s54, s54, s57
	s_add_i32 s0, s0, s54
	s_mul_i32 s51, s51, s57
	s_mul_hi_u32 s54, s55, s51
	s_mul_i32 s56, s55, s51
	s_mul_i32 s59, s57, s0
	s_mul_hi_u32 s51, s57, s51
	s_mul_hi_u32 s58, s57, s0
	s_add_u32 s51, s51, s59
	s_addc_u32 s58, 0, s58
	s_add_u32 s51, s51, s56
	s_mul_hi_u32 s1, s55, s0
	s_addc_u32 s51, s58, s54
	s_addc_u32 s1, s1, 0
	s_mul_i32 s0, s55, s0
	s_add_u32 s0, s51, s0
	s_addc_u32 s51, 0, s1
	s_add_u32 s54, s57, s0
	s_cselect_b64 s[0:1], -1, 0
	v_ashrrev_i32_e32 v3, 31, v11
	s_cmp_lg_u64 s[0:1], 0
	v_add_co_u32_e32 v12, vcc, v10, v3
	s_addc_u32 s51, s55, s51
	v_xor_b32_e32 v16, v12, v3
	v_mad_u64_u32 v[12:13], s[0:1], v16, s51, 0
	v_mul_hi_u32 v15, v16, s54
	v_addc_co_u32_e32 v14, vcc, v11, v3, vcc
	v_xor_b32_e32 v17, v14, v3
	v_add_co_u32_e32 v18, vcc, v15, v12
	v_addc_co_u32_e32 v19, vcc, 0, v13, vcc
	v_mad_u64_u32 v[12:13], s[0:1], v17, s54, 0
	v_mad_u64_u32 v[14:15], s[0:1], v17, s51, 0
	v_add_co_u32_e32 v12, vcc, v18, v12
	v_addc_co_u32_e32 v12, vcc, v19, v13, vcc
	v_addc_co_u32_e32 v13, vcc, 0, v15, vcc
	v_add_co_u32_e32 v14, vcc, v12, v14
	v_addc_co_u32_e32 v15, vcc, 0, v13, vcc
	v_mul_lo_u32 v18, s53, v14
	v_mul_lo_u32 v19, s52, v15
	v_mad_u64_u32 v[12:13], s[0:1], s52, v14, 0
	v_xor_b32_e32 v3, s50, v3
	v_add3_u32 v13, v13, v19, v18
	v_sub_u32_e32 v18, v17, v13
	v_mov_b32_e32 v19, s53
	v_sub_co_u32_e32 v12, vcc, v16, v12
	v_subb_co_u32_e64 v16, s[0:1], v18, v19, vcc
	v_subrev_co_u32_e64 v18, s[0:1], s52, v12
	v_subbrev_co_u32_e64 v16, s[0:1], 0, v16, s[0:1]
	v_cmp_le_u32_e64 s[0:1], s53, v16
	v_cndmask_b32_e64 v19, 0, -1, s[0:1]
	v_cmp_le_u32_e64 s[0:1], s52, v18
	v_cndmask_b32_e64 v18, 0, -1, s[0:1]
	v_cmp_eq_u32_e64 s[0:1], s53, v16
	v_cndmask_b32_e64 v16, v19, v18, s[0:1]
	v_add_co_u32_e64 v18, s[0:1], 2, v14
	v_subb_co_u32_e32 v13, vcc, v17, v13, vcc
	v_addc_co_u32_e64 v19, s[0:1], 0, v15, s[0:1]
	v_cmp_le_u32_e32 vcc, s53, v13
	v_add_co_u32_e64 v22, s[0:1], 1, v14
	v_cndmask_b32_e64 v17, 0, -1, vcc
	v_cmp_le_u32_e32 vcc, s52, v12
	v_addc_co_u32_e64 v23, s[0:1], 0, v15, s[0:1]
	v_cndmask_b32_e64 v12, 0, -1, vcc
	v_cmp_eq_u32_e32 vcc, s53, v13
	v_cmp_ne_u32_e64 s[0:1], 0, v16
	v_cndmask_b32_e32 v12, v17, v12, vcc
	v_cndmask_b32_e64 v16, v23, v19, s[0:1]
	v_cmp_ne_u32_e32 vcc, 0, v12
	v_cndmask_b32_e64 v13, v22, v18, s[0:1]
	v_cndmask_b32_e32 v12, v15, v16, vcc
	v_cndmask_b32_e32 v13, v14, v13, vcc
	v_xor_b32_e32 v14, v12, v3
	v_xor_b32_e32 v12, v13, v3
	v_sub_co_u32_e32 v12, vcc, v12, v3
	v_subb_co_u32_e32 v13, vcc, v14, v3, vcc
.LBB26_19:                              ;   in Loop: Header=BB26_17 Depth=2
	s_andn2_saveexec_b64 s[0:1], s[48:49]
	s_cbranch_execz .LBB26_16
; %bb.20:                               ;   in Loop: Header=BB26_17 Depth=2
	v_cvt_f32_u32_e32 v3, s46
	s_sub_i32 s48, 0, s46
	v_rcp_iflag_f32_e32 v3, v3
	v_mul_f32_e32 v3, 0x4f7ffffe, v3
	v_cvt_u32_f32_e32 v3, v3
	v_mul_lo_u32 v12, s48, v3
	v_mul_hi_u32 v12, v3, v12
	v_add_u32_e32 v3, v3, v12
	v_mul_hi_u32 v3, v10, v3
	v_mul_lo_u32 v12, v3, s46
	v_add_u32_e32 v13, 1, v3
	v_sub_u32_e32 v12, v10, v12
	v_subrev_u32_e32 v14, s46, v12
	v_cmp_le_u32_e32 vcc, s46, v12
	v_cndmask_b32_e32 v12, v12, v14, vcc
	v_cndmask_b32_e32 v3, v3, v13, vcc
	v_add_u32_e32 v13, 1, v3
	v_cmp_le_u32_e32 vcc, s46, v12
	v_cndmask_b32_e32 v12, v3, v13, vcc
	v_mov_b32_e32 v13, v2
	s_branch .LBB26_16
.LBB26_21:                              ;   in Loop: Header=BB26_22 Depth=2
	s_or_b64 exec, exec, s[0:1]
	v_mul_lo_u32 v3, v13, s44
	v_mul_lo_u32 v24, v12, s45
	v_mad_u64_u32 v[22:23], s[0:1], v12, s44, 0
	v_add3_u32 v3, v23, v24, v3
	v_sub_co_u32_e32 v10, vcc, v10, v22
	v_subb_co_u32_e32 v3, vcc, v11, v3, vcc
	v_mul_lo_u32 v3, s48, v3
	v_mul_lo_u32 v22, s49, v10
	v_mad_u64_u32 v[8:9], s[0:1], s48, v10, v[8:9]
	v_mul_lo_u32 v23, v15, s46
	v_mul_lo_u32 v24, v14, s47
	v_mad_u64_u32 v[10:11], s[0:1], v14, s46, 0
	v_add3_u32 v9, v22, v9, v3
	v_mul_lo_u32 v22, v16, s51
	v_add3_u32 v3, v11, v24, v23
	v_sub_co_u32_e32 v10, vcc, v12, v10
	v_subb_co_u32_e32 v3, vcc, v13, v3, vcc
	v_mad_u64_u32 v[8:9], s[0:1], s52, v10, v[8:9]
	v_mul_lo_u32 v3, s52, v3
	v_mul_lo_u32 v12, s53, v10
	;; [unrolled: 1-line block ×3, first 2 shown]
	v_mad_u64_u32 v[10:11], s[0:1], v16, s50, 0
	v_add3_u32 v9, v12, v9, v3
	v_add3_u32 v3, v11, v22, v13
	v_sub_co_u32_e32 v10, vcc, v14, v10
	v_subb_co_u32_e32 v3, vcc, v15, v3, vcc
	v_mad_u64_u32 v[8:9], s[0:1], s56, v10, v[8:9]
	v_mul_lo_u32 v3, s56, v3
	v_mul_lo_u32 v12, s57, v10
	v_mul_lo_u32 v13, v19, s54
	v_mul_lo_u32 v14, v18, s55
	v_mad_u64_u32 v[10:11], s[0:1], v18, s54, 0
	s_load_dwordx2 s[0:1], s[38:39], 0x0
	v_add3_u32 v9, v12, v9, v3
	v_add3_u32 v3, v11, v14, v13
	v_sub_co_u32_e32 v10, vcc, v16, v10
	v_subb_co_u32_e32 v3, vcc, v17, v3, vcc
	s_add_u32 s38, s38, 0xffffffe0
	s_waitcnt lgkmcnt(0)
	v_mad_u64_u32 v[8:9], s[44:45], s0, v10, v[8:9]
	v_mul_lo_u32 v3, s0, v3
	v_mul_lo_u32 v10, s1, v10
	s_addc_u32 s39, s39, -1
	s_add_u32 s40, s40, 0xffffffe0
	s_addc_u32 s41, s41, -1
	s_add_u32 s42, s42, -4
	v_add3_u32 v9, v10, v9, v3
	s_addc_u32 s43, s43, -1
	v_mov_b32_e32 v10, v18
	s_cmp_eq_u64 s[42:43], 0
	v_mov_b32_e32 v11, v19
	s_cbranch_scc1 .LBB26_38
.LBB26_22:                              ;   Parent Loop BB26_3 Depth=1
                                        ; =>  This Inner Loop Header: Depth=2
	s_load_dwordx2 s[44:45], s[40:41], 0x18
                                        ; implicit-def: $vgpr12_vgpr13
	s_waitcnt lgkmcnt(0)
	v_or_b32_e32 v3, s45, v11
	v_cmp_ne_u64_e32 vcc, 0, v[2:3]
	s_and_saveexec_b64 s[0:1], vcc
	s_xor_b64 s[46:47], exec, s[0:1]
	s_cbranch_execz .LBB26_24
; %bb.23:                               ;   in Loop: Header=BB26_22 Depth=2
	s_ashr_i32 s48, s45, 31
	s_add_u32 s0, s44, s48
	s_mov_b32 s49, s48
	s_addc_u32 s1, s45, s48
	s_xor_b64 s[50:51], s[0:1], s[48:49]
	v_cvt_f32_u32_e32 v3, s50
	v_cvt_f32_u32_e32 v12, s51
	s_sub_u32 s49, 0, s50
	s_subb_u32 s52, 0, s51
	v_mac_f32_e32 v3, 0x4f800000, v12
	v_rcp_f32_e32 v3, v3
	v_mul_f32_e32 v3, 0x5f7ffffc, v3
	v_mul_f32_e32 v12, 0x2f800000, v3
	v_trunc_f32_e32 v12, v12
	v_mac_f32_e32 v3, 0xcf800000, v12
	v_cvt_u32_f32_e32 v12, v12
	v_cvt_u32_f32_e32 v3, v3
	v_readfirstlane_b32 s53, v12
	v_readfirstlane_b32 s0, v3
	s_mul_i32 s1, s49, s53
	s_mul_hi_u32 s55, s49, s0
	s_mul_i32 s54, s52, s0
	s_add_i32 s1, s55, s1
	s_add_i32 s1, s1, s54
	s_mul_i32 s56, s49, s0
	s_mul_i32 s55, s0, s1
	s_mul_hi_u32 s57, s0, s56
	s_mul_hi_u32 s54, s0, s1
	s_add_u32 s55, s57, s55
	s_addc_u32 s54, 0, s54
	s_mul_hi_u32 s58, s53, s56
	s_mul_i32 s56, s53, s56
	s_add_u32 s55, s55, s56
	s_mul_hi_u32 s57, s53, s1
	s_addc_u32 s54, s54, s58
	s_addc_u32 s55, s57, 0
	s_mul_i32 s1, s53, s1
	s_add_u32 s1, s54, s1
	s_addc_u32 s54, 0, s55
	s_add_u32 s55, s0, s1
	s_cselect_b64 s[0:1], -1, 0
	s_cmp_lg_u64 s[0:1], 0
	s_addc_u32 s53, s53, s54
	s_mul_i32 s0, s49, s53
	s_mul_hi_u32 s1, s49, s55
	s_add_i32 s0, s1, s0
	s_mul_i32 s52, s52, s55
	s_add_i32 s0, s0, s52
	s_mul_i32 s49, s49, s55
	s_mul_hi_u32 s52, s53, s49
	s_mul_i32 s54, s53, s49
	s_mul_i32 s57, s55, s0
	s_mul_hi_u32 s49, s55, s49
	s_mul_hi_u32 s56, s55, s0
	s_add_u32 s49, s49, s57
	s_addc_u32 s56, 0, s56
	s_add_u32 s49, s49, s54
	s_mul_hi_u32 s1, s53, s0
	s_addc_u32 s49, s56, s52
	s_addc_u32 s1, s1, 0
	s_mul_i32 s0, s53, s0
	s_add_u32 s0, s49, s0
	s_addc_u32 s49, 0, s1
	s_add_u32 s52, s55, s0
	s_cselect_b64 s[0:1], -1, 0
	v_ashrrev_i32_e32 v3, 31, v11
	s_cmp_lg_u64 s[0:1], 0
	v_add_co_u32_e32 v12, vcc, v10, v3
	s_addc_u32 s49, s53, s49
	v_xor_b32_e32 v16, v12, v3
	v_mad_u64_u32 v[12:13], s[0:1], v16, s49, 0
	v_mul_hi_u32 v15, v16, s52
	v_addc_co_u32_e32 v14, vcc, v11, v3, vcc
	v_xor_b32_e32 v17, v14, v3
	v_add_co_u32_e32 v18, vcc, v15, v12
	v_addc_co_u32_e32 v19, vcc, 0, v13, vcc
	v_mad_u64_u32 v[12:13], s[0:1], v17, s52, 0
	v_mad_u64_u32 v[14:15], s[0:1], v17, s49, 0
	v_add_co_u32_e32 v12, vcc, v18, v12
	v_addc_co_u32_e32 v12, vcc, v19, v13, vcc
	v_addc_co_u32_e32 v13, vcc, 0, v15, vcc
	v_add_co_u32_e32 v14, vcc, v12, v14
	v_addc_co_u32_e32 v15, vcc, 0, v13, vcc
	v_mul_lo_u32 v18, s51, v14
	v_mul_lo_u32 v19, s50, v15
	v_mad_u64_u32 v[12:13], s[0:1], s50, v14, 0
	v_xor_b32_e32 v3, s48, v3
	v_add3_u32 v13, v13, v19, v18
	v_sub_u32_e32 v18, v17, v13
	v_mov_b32_e32 v19, s51
	v_sub_co_u32_e32 v12, vcc, v16, v12
	v_subb_co_u32_e64 v16, s[0:1], v18, v19, vcc
	v_subrev_co_u32_e64 v18, s[0:1], s50, v12
	v_subbrev_co_u32_e64 v16, s[0:1], 0, v16, s[0:1]
	v_cmp_le_u32_e64 s[0:1], s51, v16
	v_cndmask_b32_e64 v19, 0, -1, s[0:1]
	v_cmp_le_u32_e64 s[0:1], s50, v18
	v_cndmask_b32_e64 v18, 0, -1, s[0:1]
	v_cmp_eq_u32_e64 s[0:1], s51, v16
	v_cndmask_b32_e64 v16, v19, v18, s[0:1]
	v_add_co_u32_e64 v18, s[0:1], 2, v14
	v_subb_co_u32_e32 v13, vcc, v17, v13, vcc
	v_addc_co_u32_e64 v19, s[0:1], 0, v15, s[0:1]
	v_cmp_le_u32_e32 vcc, s51, v13
	v_add_co_u32_e64 v22, s[0:1], 1, v14
	v_cndmask_b32_e64 v17, 0, -1, vcc
	v_cmp_le_u32_e32 vcc, s50, v12
	v_addc_co_u32_e64 v23, s[0:1], 0, v15, s[0:1]
	v_cndmask_b32_e64 v12, 0, -1, vcc
	v_cmp_eq_u32_e32 vcc, s51, v13
	v_cmp_ne_u32_e64 s[0:1], 0, v16
	v_cndmask_b32_e32 v12, v17, v12, vcc
	v_cndmask_b32_e64 v16, v23, v19, s[0:1]
	v_cmp_ne_u32_e32 vcc, 0, v12
	v_cndmask_b32_e64 v13, v22, v18, s[0:1]
	v_cndmask_b32_e32 v12, v15, v16, vcc
	v_cndmask_b32_e32 v13, v14, v13, vcc
	v_xor_b32_e32 v14, v12, v3
	v_xor_b32_e32 v12, v13, v3
	v_sub_co_u32_e32 v12, vcc, v12, v3
	v_subb_co_u32_e32 v13, vcc, v14, v3, vcc
.LBB26_24:                              ;   in Loop: Header=BB26_22 Depth=2
	s_andn2_saveexec_b64 s[0:1], s[46:47]
	s_cbranch_execz .LBB26_26
; %bb.25:                               ;   in Loop: Header=BB26_22 Depth=2
	v_cvt_f32_u32_e32 v3, s44
	s_sub_i32 s46, 0, s44
	v_rcp_iflag_f32_e32 v3, v3
	v_mul_f32_e32 v3, 0x4f7ffffe, v3
	v_cvt_u32_f32_e32 v3, v3
	v_mul_lo_u32 v12, s46, v3
	v_mul_hi_u32 v12, v3, v12
	v_add_u32_e32 v3, v3, v12
	v_mul_hi_u32 v3, v10, v3
	v_mul_lo_u32 v12, v3, s44
	v_add_u32_e32 v13, 1, v3
	v_sub_u32_e32 v12, v10, v12
	v_subrev_u32_e32 v14, s44, v12
	v_cmp_le_u32_e32 vcc, s44, v12
	v_cndmask_b32_e32 v12, v12, v14, vcc
	v_cndmask_b32_e32 v3, v3, v13, vcc
	v_add_u32_e32 v13, 1, v3
	v_cmp_le_u32_e32 vcc, s44, v12
	v_cndmask_b32_e32 v12, v3, v13, vcc
	v_mov_b32_e32 v13, v2
.LBB26_26:                              ;   in Loop: Header=BB26_22 Depth=2
	s_or_b64 exec, exec, s[0:1]
	s_load_dwordx2 s[46:47], s[40:41], 0x10
	s_load_dwordx2 s[48:49], s[38:39], 0x18
                                        ; implicit-def: $vgpr14_vgpr15
	s_waitcnt lgkmcnt(0)
	v_or_b32_e32 v3, s47, v13
	v_cmp_ne_u64_e32 vcc, 0, v[2:3]
	s_and_saveexec_b64 s[0:1], vcc
	s_xor_b64 s[50:51], exec, s[0:1]
	s_cbranch_execz .LBB26_28
; %bb.27:                               ;   in Loop: Header=BB26_22 Depth=2
	s_ashr_i32 s52, s47, 31
	s_add_u32 s0, s46, s52
	s_mov_b32 s53, s52
	s_addc_u32 s1, s47, s52
	s_xor_b64 s[54:55], s[0:1], s[52:53]
	v_cvt_f32_u32_e32 v3, s54
	v_cvt_f32_u32_e32 v14, s55
	s_sub_u32 s53, 0, s54
	s_subb_u32 s56, 0, s55
	v_mac_f32_e32 v3, 0x4f800000, v14
	v_rcp_f32_e32 v3, v3
	v_mul_f32_e32 v3, 0x5f7ffffc, v3
	v_mul_f32_e32 v14, 0x2f800000, v3
	v_trunc_f32_e32 v14, v14
	v_mac_f32_e32 v3, 0xcf800000, v14
	v_cvt_u32_f32_e32 v14, v14
	v_cvt_u32_f32_e32 v3, v3
	v_readfirstlane_b32 s57, v14
	v_readfirstlane_b32 s0, v3
	s_mul_i32 s1, s53, s57
	s_mul_hi_u32 s59, s53, s0
	s_mul_i32 s58, s56, s0
	s_add_i32 s1, s59, s1
	s_add_i32 s1, s1, s58
	s_mul_i32 s60, s53, s0
	s_mul_i32 s59, s0, s1
	s_mul_hi_u32 s61, s0, s60
	s_mul_hi_u32 s58, s0, s1
	s_add_u32 s59, s61, s59
	s_addc_u32 s58, 0, s58
	s_mul_hi_u32 s62, s57, s60
	s_mul_i32 s60, s57, s60
	s_add_u32 s59, s59, s60
	s_mul_hi_u32 s61, s57, s1
	s_addc_u32 s58, s58, s62
	s_addc_u32 s59, s61, 0
	s_mul_i32 s1, s57, s1
	s_add_u32 s1, s58, s1
	s_addc_u32 s58, 0, s59
	s_add_u32 s59, s0, s1
	s_cselect_b64 s[0:1], -1, 0
	s_cmp_lg_u64 s[0:1], 0
	s_addc_u32 s57, s57, s58
	s_mul_i32 s0, s53, s57
	s_mul_hi_u32 s1, s53, s59
	s_add_i32 s0, s1, s0
	s_mul_i32 s56, s56, s59
	s_add_i32 s0, s0, s56
	s_mul_i32 s53, s53, s59
	s_mul_hi_u32 s56, s57, s53
	s_mul_i32 s58, s57, s53
	s_mul_i32 s61, s59, s0
	s_mul_hi_u32 s53, s59, s53
	s_mul_hi_u32 s60, s59, s0
	s_add_u32 s53, s53, s61
	s_addc_u32 s60, 0, s60
	s_add_u32 s53, s53, s58
	s_mul_hi_u32 s1, s57, s0
	s_addc_u32 s53, s60, s56
	s_addc_u32 s1, s1, 0
	s_mul_i32 s0, s57, s0
	s_add_u32 s0, s53, s0
	s_addc_u32 s53, 0, s1
	s_add_u32 s56, s59, s0
	s_cselect_b64 s[0:1], -1, 0
	v_ashrrev_i32_e32 v3, 31, v13
	s_cmp_lg_u64 s[0:1], 0
	v_add_co_u32_e32 v14, vcc, v12, v3
	s_addc_u32 s53, s57, s53
	v_xor_b32_e32 v18, v14, v3
	v_mad_u64_u32 v[14:15], s[0:1], v18, s53, 0
	v_mul_hi_u32 v17, v18, s56
	v_addc_co_u32_e32 v16, vcc, v13, v3, vcc
	v_xor_b32_e32 v19, v16, v3
	v_add_co_u32_e32 v22, vcc, v17, v14
	v_addc_co_u32_e32 v23, vcc, 0, v15, vcc
	v_mad_u64_u32 v[14:15], s[0:1], v19, s56, 0
	v_mad_u64_u32 v[16:17], s[0:1], v19, s53, 0
	v_add_co_u32_e32 v14, vcc, v22, v14
	v_addc_co_u32_e32 v14, vcc, v23, v15, vcc
	v_addc_co_u32_e32 v15, vcc, 0, v17, vcc
	v_add_co_u32_e32 v16, vcc, v14, v16
	v_addc_co_u32_e32 v17, vcc, 0, v15, vcc
	v_mul_lo_u32 v22, s55, v16
	v_mul_lo_u32 v23, s54, v17
	v_mad_u64_u32 v[14:15], s[0:1], s54, v16, 0
	v_xor_b32_e32 v3, s52, v3
	v_add3_u32 v15, v15, v23, v22
	v_sub_u32_e32 v22, v19, v15
	v_mov_b32_e32 v23, s55
	v_sub_co_u32_e32 v14, vcc, v18, v14
	v_subb_co_u32_e64 v18, s[0:1], v22, v23, vcc
	v_subrev_co_u32_e64 v22, s[0:1], s54, v14
	v_subbrev_co_u32_e64 v18, s[0:1], 0, v18, s[0:1]
	v_cmp_le_u32_e64 s[0:1], s55, v18
	v_cndmask_b32_e64 v23, 0, -1, s[0:1]
	v_cmp_le_u32_e64 s[0:1], s54, v22
	v_cndmask_b32_e64 v22, 0, -1, s[0:1]
	v_cmp_eq_u32_e64 s[0:1], s55, v18
	v_cndmask_b32_e64 v18, v23, v22, s[0:1]
	v_add_co_u32_e64 v22, s[0:1], 2, v16
	v_subb_co_u32_e32 v15, vcc, v19, v15, vcc
	v_addc_co_u32_e64 v23, s[0:1], 0, v17, s[0:1]
	v_cmp_le_u32_e32 vcc, s55, v15
	v_add_co_u32_e64 v24, s[0:1], 1, v16
	v_cndmask_b32_e64 v19, 0, -1, vcc
	v_cmp_le_u32_e32 vcc, s54, v14
	v_addc_co_u32_e64 v25, s[0:1], 0, v17, s[0:1]
	v_cndmask_b32_e64 v14, 0, -1, vcc
	v_cmp_eq_u32_e32 vcc, s55, v15
	v_cmp_ne_u32_e64 s[0:1], 0, v18
	v_cndmask_b32_e32 v14, v19, v14, vcc
	v_cndmask_b32_e64 v18, v25, v23, s[0:1]
	v_cmp_ne_u32_e32 vcc, 0, v14
	v_cndmask_b32_e64 v15, v24, v22, s[0:1]
	v_cndmask_b32_e32 v14, v17, v18, vcc
	v_cndmask_b32_e32 v15, v16, v15, vcc
	v_xor_b32_e32 v16, v14, v3
	v_xor_b32_e32 v14, v15, v3
	v_sub_co_u32_e32 v14, vcc, v14, v3
	v_subb_co_u32_e32 v15, vcc, v16, v3, vcc
.LBB26_28:                              ;   in Loop: Header=BB26_22 Depth=2
	s_andn2_saveexec_b64 s[0:1], s[50:51]
	s_cbranch_execz .LBB26_30
; %bb.29:                               ;   in Loop: Header=BB26_22 Depth=2
	v_cvt_f32_u32_e32 v3, s46
	s_sub_i32 s50, 0, s46
	v_rcp_iflag_f32_e32 v3, v3
	v_mul_f32_e32 v3, 0x4f7ffffe, v3
	v_cvt_u32_f32_e32 v3, v3
	v_mul_lo_u32 v14, s50, v3
	v_mul_hi_u32 v14, v3, v14
	v_add_u32_e32 v3, v3, v14
	v_mul_hi_u32 v3, v12, v3
	v_mul_lo_u32 v14, v3, s46
	v_add_u32_e32 v15, 1, v3
	v_sub_u32_e32 v14, v12, v14
	v_subrev_u32_e32 v16, s46, v14
	v_cmp_le_u32_e32 vcc, s46, v14
	v_cndmask_b32_e32 v14, v14, v16, vcc
	v_cndmask_b32_e32 v3, v3, v15, vcc
	v_add_u32_e32 v15, 1, v3
	v_cmp_le_u32_e32 vcc, s46, v14
	v_cndmask_b32_e32 v14, v3, v15, vcc
	v_mov_b32_e32 v15, v2
.LBB26_30:                              ;   in Loop: Header=BB26_22 Depth=2
	s_or_b64 exec, exec, s[0:1]
	s_load_dwordx2 s[50:51], s[40:41], 0x8
	s_load_dwordx2 s[52:53], s[38:39], 0x10
                                        ; implicit-def: $vgpr16_vgpr17
	s_waitcnt lgkmcnt(0)
	v_or_b32_e32 v3, s51, v15
	v_cmp_ne_u64_e32 vcc, 0, v[2:3]
	s_and_saveexec_b64 s[0:1], vcc
	s_xor_b64 s[54:55], exec, s[0:1]
	s_cbranch_execz .LBB26_32
; %bb.31:                               ;   in Loop: Header=BB26_22 Depth=2
	s_ashr_i32 s56, s51, 31
	s_add_u32 s0, s50, s56
	s_mov_b32 s57, s56
	s_addc_u32 s1, s51, s56
	s_xor_b64 s[58:59], s[0:1], s[56:57]
	v_cvt_f32_u32_e32 v3, s58
	v_cvt_f32_u32_e32 v16, s59
	s_sub_u32 s57, 0, s58
	s_subb_u32 s60, 0, s59
	v_mac_f32_e32 v3, 0x4f800000, v16
	v_rcp_f32_e32 v3, v3
	v_mul_f32_e32 v3, 0x5f7ffffc, v3
	v_mul_f32_e32 v16, 0x2f800000, v3
	v_trunc_f32_e32 v16, v16
	v_mac_f32_e32 v3, 0xcf800000, v16
	v_cvt_u32_f32_e32 v16, v16
	v_cvt_u32_f32_e32 v3, v3
	v_readfirstlane_b32 s61, v16
	v_readfirstlane_b32 s0, v3
	s_mul_i32 s1, s57, s61
	s_mul_hi_u32 s63, s57, s0
	s_mul_i32 s62, s60, s0
	s_add_i32 s1, s63, s1
	s_add_i32 s1, s1, s62
	s_mul_i32 s68, s57, s0
	s_mul_i32 s63, s0, s1
	s_mul_hi_u32 s69, s0, s68
	s_mul_hi_u32 s62, s0, s1
	s_add_u32 s63, s69, s63
	s_addc_u32 s62, 0, s62
	s_mul_hi_u32 s70, s61, s68
	s_mul_i32 s68, s61, s68
	s_add_u32 s63, s63, s68
	s_mul_hi_u32 s69, s61, s1
	s_addc_u32 s62, s62, s70
	s_addc_u32 s63, s69, 0
	s_mul_i32 s1, s61, s1
	s_add_u32 s1, s62, s1
	s_addc_u32 s62, 0, s63
	s_add_u32 s63, s0, s1
	s_cselect_b64 s[0:1], -1, 0
	s_cmp_lg_u64 s[0:1], 0
	s_addc_u32 s61, s61, s62
	s_mul_i32 s0, s57, s61
	s_mul_hi_u32 s1, s57, s63
	s_add_i32 s0, s1, s0
	s_mul_i32 s60, s60, s63
	s_add_i32 s0, s0, s60
	s_mul_i32 s57, s57, s63
	s_mul_hi_u32 s60, s61, s57
	s_mul_i32 s62, s61, s57
	s_mul_i32 s69, s63, s0
	s_mul_hi_u32 s57, s63, s57
	s_mul_hi_u32 s68, s63, s0
	s_add_u32 s57, s57, s69
	s_addc_u32 s68, 0, s68
	s_add_u32 s57, s57, s62
	s_mul_hi_u32 s1, s61, s0
	s_addc_u32 s57, s68, s60
	s_addc_u32 s1, s1, 0
	s_mul_i32 s0, s61, s0
	s_add_u32 s0, s57, s0
	s_addc_u32 s57, 0, s1
	s_add_u32 s60, s63, s0
	s_cselect_b64 s[0:1], -1, 0
	v_ashrrev_i32_e32 v3, 31, v15
	s_cmp_lg_u64 s[0:1], 0
	v_add_co_u32_e32 v16, vcc, v14, v3
	s_addc_u32 s57, s61, s57
	v_xor_b32_e32 v22, v16, v3
	v_mad_u64_u32 v[16:17], s[0:1], v22, s57, 0
	v_mul_hi_u32 v19, v22, s60
	v_addc_co_u32_e32 v18, vcc, v15, v3, vcc
	v_xor_b32_e32 v23, v18, v3
	v_add_co_u32_e32 v24, vcc, v19, v16
	v_addc_co_u32_e32 v25, vcc, 0, v17, vcc
	v_mad_u64_u32 v[16:17], s[0:1], v23, s60, 0
	v_mad_u64_u32 v[18:19], s[0:1], v23, s57, 0
	v_add_co_u32_e32 v16, vcc, v24, v16
	v_addc_co_u32_e32 v16, vcc, v25, v17, vcc
	v_addc_co_u32_e32 v17, vcc, 0, v19, vcc
	v_add_co_u32_e32 v18, vcc, v16, v18
	v_addc_co_u32_e32 v19, vcc, 0, v17, vcc
	v_mul_lo_u32 v24, s59, v18
	v_mul_lo_u32 v25, s58, v19
	v_mad_u64_u32 v[16:17], s[0:1], s58, v18, 0
	v_xor_b32_e32 v3, s56, v3
	v_add3_u32 v17, v17, v25, v24
	v_sub_u32_e32 v24, v23, v17
	v_mov_b32_e32 v25, s59
	v_sub_co_u32_e32 v16, vcc, v22, v16
	v_subb_co_u32_e64 v22, s[0:1], v24, v25, vcc
	v_subrev_co_u32_e64 v24, s[0:1], s58, v16
	v_subbrev_co_u32_e64 v22, s[0:1], 0, v22, s[0:1]
	v_cmp_le_u32_e64 s[0:1], s59, v22
	v_cndmask_b32_e64 v25, 0, -1, s[0:1]
	v_cmp_le_u32_e64 s[0:1], s58, v24
	v_cndmask_b32_e64 v24, 0, -1, s[0:1]
	v_cmp_eq_u32_e64 s[0:1], s59, v22
	v_cndmask_b32_e64 v22, v25, v24, s[0:1]
	v_add_co_u32_e64 v24, s[0:1], 2, v18
	v_subb_co_u32_e32 v17, vcc, v23, v17, vcc
	v_addc_co_u32_e64 v25, s[0:1], 0, v19, s[0:1]
	v_cmp_le_u32_e32 vcc, s59, v17
	v_add_co_u32_e64 v26, s[0:1], 1, v18
	v_cndmask_b32_e64 v23, 0, -1, vcc
	v_cmp_le_u32_e32 vcc, s58, v16
	v_addc_co_u32_e64 v27, s[0:1], 0, v19, s[0:1]
	v_cndmask_b32_e64 v16, 0, -1, vcc
	v_cmp_eq_u32_e32 vcc, s59, v17
	v_cmp_ne_u32_e64 s[0:1], 0, v22
	v_cndmask_b32_e32 v16, v23, v16, vcc
	v_cndmask_b32_e64 v22, v27, v25, s[0:1]
	v_cmp_ne_u32_e32 vcc, 0, v16
	v_cndmask_b32_e64 v17, v26, v24, s[0:1]
	v_cndmask_b32_e32 v16, v19, v22, vcc
	v_cndmask_b32_e32 v17, v18, v17, vcc
	v_xor_b32_e32 v18, v16, v3
	v_xor_b32_e32 v16, v17, v3
	v_sub_co_u32_e32 v16, vcc, v16, v3
	v_subb_co_u32_e32 v17, vcc, v18, v3, vcc
.LBB26_32:                              ;   in Loop: Header=BB26_22 Depth=2
	s_andn2_saveexec_b64 s[0:1], s[54:55]
	s_cbranch_execz .LBB26_34
; %bb.33:                               ;   in Loop: Header=BB26_22 Depth=2
	v_cvt_f32_u32_e32 v3, s50
	s_sub_i32 s54, 0, s50
	v_rcp_iflag_f32_e32 v3, v3
	v_mul_f32_e32 v3, 0x4f7ffffe, v3
	v_cvt_u32_f32_e32 v3, v3
	v_mul_lo_u32 v16, s54, v3
	v_mul_hi_u32 v16, v3, v16
	v_add_u32_e32 v3, v3, v16
	v_mul_hi_u32 v3, v14, v3
	v_mul_lo_u32 v16, v3, s50
	v_add_u32_e32 v17, 1, v3
	v_sub_u32_e32 v16, v14, v16
	v_subrev_u32_e32 v18, s50, v16
	v_cmp_le_u32_e32 vcc, s50, v16
	v_cndmask_b32_e32 v16, v16, v18, vcc
	v_cndmask_b32_e32 v3, v3, v17, vcc
	v_add_u32_e32 v17, 1, v3
	v_cmp_le_u32_e32 vcc, s50, v16
	v_cndmask_b32_e32 v16, v3, v17, vcc
	v_mov_b32_e32 v17, v2
.LBB26_34:                              ;   in Loop: Header=BB26_22 Depth=2
	s_or_b64 exec, exec, s[0:1]
	s_load_dwordx2 s[54:55], s[40:41], 0x0
	s_load_dwordx2 s[56:57], s[38:39], 0x8
                                        ; implicit-def: $vgpr18_vgpr19
	s_waitcnt lgkmcnt(0)
	v_or_b32_e32 v3, s55, v17
	v_cmp_ne_u64_e32 vcc, 0, v[2:3]
	s_and_saveexec_b64 s[0:1], vcc
	s_xor_b64 s[58:59], exec, s[0:1]
	s_cbranch_execz .LBB26_36
; %bb.35:                               ;   in Loop: Header=BB26_22 Depth=2
	s_ashr_i32 s60, s55, 31
	s_add_u32 s0, s54, s60
	s_mov_b32 s61, s60
	s_addc_u32 s1, s55, s60
	s_xor_b64 s[62:63], s[0:1], s[60:61]
	v_cvt_f32_u32_e32 v3, s62
	v_cvt_f32_u32_e32 v18, s63
	s_sub_u32 s61, 0, s62
	s_subb_u32 s68, 0, s63
	v_mac_f32_e32 v3, 0x4f800000, v18
	v_rcp_f32_e32 v3, v3
	v_mul_f32_e32 v3, 0x5f7ffffc, v3
	v_mul_f32_e32 v18, 0x2f800000, v3
	v_trunc_f32_e32 v18, v18
	v_mac_f32_e32 v3, 0xcf800000, v18
	v_cvt_u32_f32_e32 v18, v18
	v_cvt_u32_f32_e32 v3, v3
	v_readfirstlane_b32 s69, v18
	v_readfirstlane_b32 s0, v3
	s_mul_i32 s1, s61, s69
	s_mul_hi_u32 s71, s61, s0
	s_mul_i32 s70, s68, s0
	s_add_i32 s1, s71, s1
	s_add_i32 s1, s1, s70
	s_mul_i32 s72, s61, s0
	s_mul_i32 s71, s0, s1
	s_mul_hi_u32 s73, s0, s72
	s_mul_hi_u32 s70, s0, s1
	s_add_u32 s71, s73, s71
	s_addc_u32 s70, 0, s70
	s_mul_hi_u32 s74, s69, s72
	s_mul_i32 s72, s69, s72
	s_add_u32 s71, s71, s72
	s_mul_hi_u32 s73, s69, s1
	s_addc_u32 s70, s70, s74
	s_addc_u32 s71, s73, 0
	s_mul_i32 s1, s69, s1
	s_add_u32 s1, s70, s1
	s_addc_u32 s70, 0, s71
	s_add_u32 s71, s0, s1
	s_cselect_b64 s[0:1], -1, 0
	s_cmp_lg_u64 s[0:1], 0
	s_addc_u32 s69, s69, s70
	s_mul_i32 s0, s61, s69
	s_mul_hi_u32 s1, s61, s71
	s_add_i32 s0, s1, s0
	s_mul_i32 s68, s68, s71
	s_add_i32 s0, s0, s68
	s_mul_i32 s61, s61, s71
	s_mul_hi_u32 s68, s69, s61
	s_mul_i32 s70, s69, s61
	s_mul_i32 s73, s71, s0
	s_mul_hi_u32 s61, s71, s61
	s_mul_hi_u32 s72, s71, s0
	s_add_u32 s61, s61, s73
	s_addc_u32 s72, 0, s72
	s_add_u32 s61, s61, s70
	s_mul_hi_u32 s1, s69, s0
	s_addc_u32 s61, s72, s68
	s_addc_u32 s1, s1, 0
	s_mul_i32 s0, s69, s0
	s_add_u32 s0, s61, s0
	s_addc_u32 s61, 0, s1
	s_add_u32 s68, s71, s0
	s_cselect_b64 s[0:1], -1, 0
	v_ashrrev_i32_e32 v3, 31, v17
	s_cmp_lg_u64 s[0:1], 0
	v_add_co_u32_e32 v18, vcc, v16, v3
	s_addc_u32 s61, s69, s61
	v_xor_b32_e32 v24, v18, v3
	v_mad_u64_u32 v[18:19], s[0:1], v24, s61, 0
	v_mul_hi_u32 v23, v24, s68
	v_addc_co_u32_e32 v22, vcc, v17, v3, vcc
	v_xor_b32_e32 v25, v22, v3
	v_add_co_u32_e32 v26, vcc, v23, v18
	v_addc_co_u32_e32 v27, vcc, 0, v19, vcc
	v_mad_u64_u32 v[18:19], s[0:1], v25, s68, 0
	v_mad_u64_u32 v[22:23], s[0:1], v25, s61, 0
	v_add_co_u32_e32 v18, vcc, v26, v18
	v_addc_co_u32_e32 v18, vcc, v27, v19, vcc
	v_addc_co_u32_e32 v19, vcc, 0, v23, vcc
	v_add_co_u32_e32 v22, vcc, v18, v22
	v_addc_co_u32_e32 v23, vcc, 0, v19, vcc
	v_mul_lo_u32 v26, s63, v22
	v_mul_lo_u32 v27, s62, v23
	v_mad_u64_u32 v[18:19], s[0:1], s62, v22, 0
	v_xor_b32_e32 v3, s60, v3
	v_add3_u32 v19, v19, v27, v26
	v_sub_u32_e32 v26, v25, v19
	v_mov_b32_e32 v27, s63
	v_sub_co_u32_e32 v18, vcc, v24, v18
	v_subb_co_u32_e64 v24, s[0:1], v26, v27, vcc
	v_subrev_co_u32_e64 v26, s[0:1], s62, v18
	v_subbrev_co_u32_e64 v24, s[0:1], 0, v24, s[0:1]
	v_cmp_le_u32_e64 s[0:1], s63, v24
	v_cndmask_b32_e64 v27, 0, -1, s[0:1]
	v_cmp_le_u32_e64 s[0:1], s62, v26
	v_cndmask_b32_e64 v26, 0, -1, s[0:1]
	v_cmp_eq_u32_e64 s[0:1], s63, v24
	v_cndmask_b32_e64 v24, v27, v26, s[0:1]
	v_add_co_u32_e64 v26, s[0:1], 2, v22
	v_subb_co_u32_e32 v19, vcc, v25, v19, vcc
	v_addc_co_u32_e64 v27, s[0:1], 0, v23, s[0:1]
	v_cmp_le_u32_e32 vcc, s63, v19
	v_add_co_u32_e64 v28, s[0:1], 1, v22
	v_cndmask_b32_e64 v25, 0, -1, vcc
	v_cmp_le_u32_e32 vcc, s62, v18
	v_addc_co_u32_e64 v29, s[0:1], 0, v23, s[0:1]
	v_cndmask_b32_e64 v18, 0, -1, vcc
	v_cmp_eq_u32_e32 vcc, s63, v19
	v_cmp_ne_u32_e64 s[0:1], 0, v24
	v_cndmask_b32_e32 v18, v25, v18, vcc
	v_cndmask_b32_e64 v24, v29, v27, s[0:1]
	v_cmp_ne_u32_e32 vcc, 0, v18
	v_cndmask_b32_e64 v19, v28, v26, s[0:1]
	v_cndmask_b32_e32 v18, v23, v24, vcc
	v_cndmask_b32_e32 v19, v22, v19, vcc
	v_xor_b32_e32 v22, v18, v3
	v_xor_b32_e32 v18, v19, v3
	v_sub_co_u32_e32 v18, vcc, v18, v3
	v_subb_co_u32_e32 v19, vcc, v22, v3, vcc
.LBB26_36:                              ;   in Loop: Header=BB26_22 Depth=2
	s_andn2_saveexec_b64 s[0:1], s[58:59]
	s_cbranch_execz .LBB26_21
; %bb.37:                               ;   in Loop: Header=BB26_22 Depth=2
	v_cvt_f32_u32_e32 v3, s54
	s_sub_i32 s58, 0, s54
	v_rcp_iflag_f32_e32 v3, v3
	v_mul_f32_e32 v3, 0x4f7ffffe, v3
	v_cvt_u32_f32_e32 v3, v3
	v_mul_lo_u32 v18, s58, v3
	v_mul_hi_u32 v18, v3, v18
	v_add_u32_e32 v3, v3, v18
	v_mul_hi_u32 v3, v16, v3
	v_mul_lo_u32 v18, v3, s54
	v_add_u32_e32 v19, 1, v3
	v_sub_u32_e32 v18, v16, v18
	v_subrev_u32_e32 v22, s54, v18
	v_cmp_le_u32_e32 vcc, s54, v18
	v_cndmask_b32_e32 v18, v18, v22, vcc
	v_cndmask_b32_e32 v3, v3, v19, vcc
	v_add_u32_e32 v19, 1, v3
	v_cmp_le_u32_e32 vcc, s54, v18
	v_cndmask_b32_e32 v18, v3, v19, vcc
	v_mov_b32_e32 v19, v2
	s_branch .LBB26_21
.LBB26_38:                              ;   in Loop: Header=BB26_3 Depth=1
	s_load_dwordx2 s[38:39], s[22:23], 0x0
	s_waitcnt lgkmcnt(0)
	v_cmp_gt_i64_e32 vcc, s[38:39], v[4:5]
	s_and_b64 exec, exec, vcc
	s_cbranch_execz .LBB26_2
; %bb.39:                               ;   in Loop: Header=BB26_3 Depth=1
	v_lshlrev_b64 v[8:9], 2, v[8:9]
	v_mov_b32_e32 v3, s13
	v_cmp_lt_i64_e32 vcc, s[8:9], v[6:7]
	v_add_co_u32_e64 v6, s[0:1], s12, v8
	v_addc_co_u32_e64 v7, s[0:1], v3, v9, s[0:1]
	s_and_saveexec_b64 s[0:1], vcc
	s_cbranch_execz .LBB26_41
; %bb.40:                               ;   in Loop: Header=BB26_3 Depth=1
	global_store_dword v[6:7], v2, off
.LBB26_41:                              ;   in Loop: Header=BB26_3 Depth=1
	s_or_b64 exec, exec, s[0:1]
	v_add_co_u32_e32 v3, vcc, 1, v4
	v_addc_co_u32_e32 v4, vcc, 0, v5, vcc
	v_cmp_gt_i64_e32 vcc, s[38:39], v[3:4]
	v_sub_co_u32_e64 v3, s[0:1], v3, v20
	v_subb_co_u32_e64 v4, s[0:1], v4, v21, s[0:1]
	v_cmp_lt_i64_e64 s[0:1], s[8:9], v[3:4]
	s_and_b64 s[0:1], vcc, s[0:1]
	s_and_b64 exec, exec, s[0:1]
	s_cbranch_execz .LBB26_2
; %bb.42:                               ;   in Loop: Header=BB26_3 Depth=1
	s_lshl_b64 s[0:1], s[2:3], 2
	v_mov_b32_e32 v4, s1
	v_add_co_u32_e32 v3, vcc, s0, v6
	v_addc_co_u32_e32 v4, vcc, v7, v4, vcc
	global_store_dword v[3:4], v2, off
	s_branch .LBB26_2
.LBB26_43:
	s_endpgm
	.section	.rodata,"a",@progbits
	.p2align	6, 0x0
	.amdhsa_kernel _ZN2at6native16triu_tril_kernelIflLb0ELi2ELb1EEEvNS_4cuda6detail10TensorInfoIT_T0_EENS4_IKS5_S6_EEllS6_
		.amdhsa_group_segment_fixed_size 0
		.amdhsa_private_segment_fixed_size 0
		.amdhsa_kernarg_size 1112
		.amdhsa_user_sgpr_count 6
		.amdhsa_user_sgpr_private_segment_buffer 1
		.amdhsa_user_sgpr_dispatch_ptr 0
		.amdhsa_user_sgpr_queue_ptr 0
		.amdhsa_user_sgpr_kernarg_segment_ptr 1
		.amdhsa_user_sgpr_dispatch_id 0
		.amdhsa_user_sgpr_flat_scratch_init 0
		.amdhsa_user_sgpr_private_segment_size 0
		.amdhsa_uses_dynamic_stack 0
		.amdhsa_system_sgpr_private_segment_wavefront_offset 0
		.amdhsa_system_sgpr_workgroup_id_x 1
		.amdhsa_system_sgpr_workgroup_id_y 0
		.amdhsa_system_sgpr_workgroup_id_z 0
		.amdhsa_system_sgpr_workgroup_info 0
		.amdhsa_system_vgpr_workitem_id 0
		.amdhsa_next_free_vgpr 30
		.amdhsa_next_free_sgpr 75
		.amdhsa_reserve_vcc 1
		.amdhsa_reserve_flat_scratch 0
		.amdhsa_float_round_mode_32 0
		.amdhsa_float_round_mode_16_64 0
		.amdhsa_float_denorm_mode_32 3
		.amdhsa_float_denorm_mode_16_64 3
		.amdhsa_dx10_clamp 1
		.amdhsa_ieee_mode 1
		.amdhsa_fp16_overflow 0
		.amdhsa_exception_fp_ieee_invalid_op 0
		.amdhsa_exception_fp_denorm_src 0
		.amdhsa_exception_fp_ieee_div_zero 0
		.amdhsa_exception_fp_ieee_overflow 0
		.amdhsa_exception_fp_ieee_underflow 0
		.amdhsa_exception_fp_ieee_inexact 0
		.amdhsa_exception_int_div_zero 0
	.end_amdhsa_kernel
	.section	.text._ZN2at6native16triu_tril_kernelIflLb0ELi2ELb1EEEvNS_4cuda6detail10TensorInfoIT_T0_EENS4_IKS5_S6_EEllS6_,"axG",@progbits,_ZN2at6native16triu_tril_kernelIflLb0ELi2ELb1EEEvNS_4cuda6detail10TensorInfoIT_T0_EENS4_IKS5_S6_EEllS6_,comdat
.Lfunc_end26:
	.size	_ZN2at6native16triu_tril_kernelIflLb0ELi2ELb1EEEvNS_4cuda6detail10TensorInfoIT_T0_EENS4_IKS5_S6_EEllS6_, .Lfunc_end26-_ZN2at6native16triu_tril_kernelIflLb0ELi2ELb1EEEvNS_4cuda6detail10TensorInfoIT_T0_EENS4_IKS5_S6_EEllS6_
                                        ; -- End function
	.set _ZN2at6native16triu_tril_kernelIflLb0ELi2ELb1EEEvNS_4cuda6detail10TensorInfoIT_T0_EENS4_IKS5_S6_EEllS6_.num_vgpr, 30
	.set _ZN2at6native16triu_tril_kernelIflLb0ELi2ELb1EEEvNS_4cuda6detail10TensorInfoIT_T0_EENS4_IKS5_S6_EEllS6_.num_agpr, 0
	.set _ZN2at6native16triu_tril_kernelIflLb0ELi2ELb1EEEvNS_4cuda6detail10TensorInfoIT_T0_EENS4_IKS5_S6_EEllS6_.numbered_sgpr, 75
	.set _ZN2at6native16triu_tril_kernelIflLb0ELi2ELb1EEEvNS_4cuda6detail10TensorInfoIT_T0_EENS4_IKS5_S6_EEllS6_.num_named_barrier, 0
	.set _ZN2at6native16triu_tril_kernelIflLb0ELi2ELb1EEEvNS_4cuda6detail10TensorInfoIT_T0_EENS4_IKS5_S6_EEllS6_.private_seg_size, 0
	.set _ZN2at6native16triu_tril_kernelIflLb0ELi2ELb1EEEvNS_4cuda6detail10TensorInfoIT_T0_EENS4_IKS5_S6_EEllS6_.uses_vcc, 1
	.set _ZN2at6native16triu_tril_kernelIflLb0ELi2ELb1EEEvNS_4cuda6detail10TensorInfoIT_T0_EENS4_IKS5_S6_EEllS6_.uses_flat_scratch, 0
	.set _ZN2at6native16triu_tril_kernelIflLb0ELi2ELb1EEEvNS_4cuda6detail10TensorInfoIT_T0_EENS4_IKS5_S6_EEllS6_.has_dyn_sized_stack, 0
	.set _ZN2at6native16triu_tril_kernelIflLb0ELi2ELb1EEEvNS_4cuda6detail10TensorInfoIT_T0_EENS4_IKS5_S6_EEllS6_.has_recursion, 0
	.set _ZN2at6native16triu_tril_kernelIflLb0ELi2ELb1EEEvNS_4cuda6detail10TensorInfoIT_T0_EENS4_IKS5_S6_EEllS6_.has_indirect_call, 0
	.section	.AMDGPU.csdata,"",@progbits
; Kernel info:
; codeLenInByte = 6472
; TotalNumSgprs: 79
; NumVgprs: 30
; ScratchSize: 0
; MemoryBound: 0
; FloatMode: 240
; IeeeMode: 1
; LDSByteSize: 0 bytes/workgroup (compile time only)
; SGPRBlocks: 9
; VGPRBlocks: 7
; NumSGPRsForWavesPerEU: 79
; NumVGPRsForWavesPerEU: 30
; Occupancy: 8
; WaveLimiterHint : 0
; COMPUTE_PGM_RSRC2:SCRATCH_EN: 0
; COMPUTE_PGM_RSRC2:USER_SGPR: 6
; COMPUTE_PGM_RSRC2:TRAP_HANDLER: 0
; COMPUTE_PGM_RSRC2:TGID_X_EN: 1
; COMPUTE_PGM_RSRC2:TGID_Y_EN: 0
; COMPUTE_PGM_RSRC2:TGID_Z_EN: 0
; COMPUTE_PGM_RSRC2:TIDIG_COMP_CNT: 0
	.section	.text._ZN2at6native16triu_tril_kernelIflLb0ELi2ELb0EEEvNS_4cuda6detail10TensorInfoIT_T0_EENS4_IKS5_S6_EEllS6_,"axG",@progbits,_ZN2at6native16triu_tril_kernelIflLb0ELi2ELb0EEEvNS_4cuda6detail10TensorInfoIT_T0_EENS4_IKS5_S6_EEllS6_,comdat
	.protected	_ZN2at6native16triu_tril_kernelIflLb0ELi2ELb0EEEvNS_4cuda6detail10TensorInfoIT_T0_EENS4_IKS5_S6_EEllS6_ ; -- Begin function _ZN2at6native16triu_tril_kernelIflLb0ELi2ELb0EEEvNS_4cuda6detail10TensorInfoIT_T0_EENS4_IKS5_S6_EEllS6_
	.globl	_ZN2at6native16triu_tril_kernelIflLb0ELi2ELb0EEEvNS_4cuda6detail10TensorInfoIT_T0_EENS4_IKS5_S6_EEllS6_
	.p2align	8
	.type	_ZN2at6native16triu_tril_kernelIflLb0ELi2ELb0EEEvNS_4cuda6detail10TensorInfoIT_T0_EENS4_IKS5_S6_EEllS6_,@function
_ZN2at6native16triu_tril_kernelIflLb0ELi2ELb0EEEvNS_4cuda6detail10TensorInfoIT_T0_EENS4_IKS5_S6_EEllS6_: ; @_ZN2at6native16triu_tril_kernelIflLb0ELi2ELb0EEEvNS_4cuda6detail10TensorInfoIT_T0_EENS4_IKS5_S6_EEllS6_
; %bb.0:
	s_load_dword s2, s[4:5], 0x364
	s_load_dwordx4 s[8:11], s[4:5], 0x340
	s_add_u32 s0, s4, 0x358
	v_mov_b32_e32 v2, 0
	s_addc_u32 s1, s5, 0
	s_waitcnt lgkmcnt(0)
	s_and_b32 s7, s2, 0xffff
	v_mov_b32_e32 v1, v2
	v_mov_b32_e32 v3, s6
	v_mad_u64_u32 v[0:1], s[2:3], s7, v3, v[0:1]
	v_lshlrev_b64 v[0:1], 1, v[0:1]
	v_cmp_gt_i64_e32 vcc, s[10:11], v[0:1]
	s_and_saveexec_b64 s[2:3], vcc
	s_cbranch_execz .LBB27_38
; %bb.1:
	s_load_dword s6, s[0:1], 0x0
	s_load_dword s24, s[4:5], 0x338
	s_add_u32 s33, s4, 0x1a0
	s_addc_u32 s62, s5, 0
	s_load_dwordx2 s[2:3], s[4:5], 0x1a0
	s_waitcnt lgkmcnt(0)
	s_mul_i32 s30, s6, s7
	s_ashr_i32 s25, s24, 31
	s_lshl_b64 s[0:1], s[24:25], 3
	s_add_u32 s20, s33, s0
	s_addc_u32 s21, s62, s1
	s_add_u32 s22, s20, -8
	s_addc_u32 s23, s21, -1
	s_add_u32 s0, s4, s0
	v_cmp_gt_i64_e64 s[6:7], s[24:25], 2
	s_addc_u32 s1, s5, s1
	s_add_i32 s24, s24, -3
	s_ashr_i32 s25, s24, 31
	s_lshl_b32 s63, s30, 1
	s_bitcmp0_b32 s24, 0
	s_load_dwordx4 s[12:15], s[22:23], 0x0
	s_load_dwordx4 s[16:19], s[20:21], 0xc0
	s_cselect_b64 s[30:31], -1, 0
	s_load_dwordx4 s[20:23], s[0:1], 0xc0
	s_lshl_b64 s[0:1], s[24:25], 3
	s_add_u32 s34, s33, s0
	s_addc_u32 s35, s62, s1
	s_add_u32 s36, s4, s0
	s_addc_u32 s37, s5, s1
	s_load_dwordx2 s[26:27], s[4:5], 0x350
	s_load_dwordx2 s[28:29], s[4:5], 0x0
	s_add_u32 s38, s24, -1
	s_addc_u32 s39, s25, -1
	s_cmp_lg_u32 s24, 0
	s_cselect_b64 s[40:41], -1, 0
	s_add_u32 s64, s4, 0xc8
	s_addc_u32 s65, s5, 0
	s_mov_b64 s[4:5], 0
	s_branch .LBB27_3
.LBB27_2:                               ;   in Loop: Header=BB27_3 Depth=1
	s_or_b64 exec, exec, s[0:1]
	v_add_co_u32_e32 v0, vcc, s63, v0
	v_addc_co_u32_e32 v1, vcc, 0, v1, vcc
	v_cmp_le_i64_e32 vcc, s[10:11], v[0:1]
	s_or_b64 s[4:5], vcc, s[4:5]
	s_andn2_b64 exec, exec, s[4:5]
	s_cbranch_execz .LBB27_38
.LBB27_3:                               ; =>This Loop Header: Depth=1
                                        ;     Child Loop BB27_21 Depth 2
	s_waitcnt lgkmcnt(0)
	v_or_b32_e32 v3, s27, v1
	v_cmp_ne_u64_e32 vcc, 0, v[2:3]
                                        ; implicit-def: $vgpr6_vgpr7
	s_and_saveexec_b64 s[0:1], vcc
	s_xor_b64 s[42:43], exec, s[0:1]
	s_cbranch_execz .LBB27_5
; %bb.4:                                ;   in Loop: Header=BB27_3 Depth=1
	s_ashr_i32 s44, s27, 31
	s_add_u32 s0, s26, s44
	s_mov_b32 s45, s44
	s_addc_u32 s1, s27, s44
	s_xor_b64 s[46:47], s[0:1], s[44:45]
	v_cvt_f32_u32_e32 v3, s46
	v_cvt_f32_u32_e32 v4, s47
	s_sub_u32 s45, 0, s46
	s_subb_u32 s48, 0, s47
	v_ashrrev_i32_e32 v7, 31, v1
	v_mac_f32_e32 v3, 0x4f800000, v4
	v_rcp_f32_e32 v3, v3
	v_mul_f32_e32 v3, 0x5f7ffffc, v3
	v_mul_f32_e32 v4, 0x2f800000, v3
	v_trunc_f32_e32 v4, v4
	v_mac_f32_e32 v3, 0xcf800000, v4
	v_cvt_u32_f32_e32 v4, v4
	v_cvt_u32_f32_e32 v3, v3
	v_readfirstlane_b32 s49, v4
	v_readfirstlane_b32 s0, v3
	s_mul_i32 s1, s45, s49
	s_mul_hi_u32 s51, s45, s0
	s_mul_i32 s50, s48, s0
	s_add_i32 s1, s51, s1
	s_add_i32 s1, s1, s50
	s_mul_i32 s52, s45, s0
	s_mul_i32 s51, s0, s1
	s_mul_hi_u32 s53, s0, s52
	s_mul_hi_u32 s50, s0, s1
	s_add_u32 s51, s53, s51
	s_addc_u32 s50, 0, s50
	s_mul_hi_u32 s54, s49, s52
	s_mul_i32 s52, s49, s52
	s_add_u32 s51, s51, s52
	s_mul_hi_u32 s53, s49, s1
	s_addc_u32 s50, s50, s54
	s_addc_u32 s51, s53, 0
	s_mul_i32 s1, s49, s1
	s_add_u32 s1, s50, s1
	s_addc_u32 s50, 0, s51
	s_add_u32 s51, s0, s1
	s_cselect_b64 s[0:1], -1, 0
	s_cmp_lg_u64 s[0:1], 0
	s_addc_u32 s49, s49, s50
	s_mul_i32 s0, s45, s49
	s_mul_hi_u32 s1, s45, s51
	s_add_i32 s0, s1, s0
	s_mul_i32 s48, s48, s51
	s_add_i32 s0, s0, s48
	s_mul_i32 s45, s45, s51
	s_mul_hi_u32 s48, s49, s45
	s_mul_i32 s50, s49, s45
	s_mul_i32 s53, s51, s0
	s_mul_hi_u32 s45, s51, s45
	s_mul_hi_u32 s52, s51, s0
	s_add_u32 s45, s45, s53
	s_addc_u32 s52, 0, s52
	s_add_u32 s45, s45, s50
	s_mul_hi_u32 s1, s49, s0
	s_addc_u32 s45, s52, s48
	s_addc_u32 s1, s1, 0
	s_mul_i32 s0, s49, s0
	s_add_u32 s0, s45, s0
	s_addc_u32 s45, 0, s1
	s_add_u32 s48, s51, s0
	s_cselect_b64 s[0:1], -1, 0
	s_cmp_lg_u64 s[0:1], 0
	v_add_co_u32_e32 v3, vcc, v0, v7
	s_addc_u32 s45, s49, s45
	v_xor_b32_e32 v8, v3, v7
	v_mad_u64_u32 v[3:4], s[0:1], v8, s45, 0
	v_mul_hi_u32 v6, v8, s48
	v_addc_co_u32_e32 v5, vcc, v1, v7, vcc
	v_xor_b32_e32 v9, v5, v7
	v_add_co_u32_e32 v10, vcc, v6, v3
	v_addc_co_u32_e32 v11, vcc, 0, v4, vcc
	v_mad_u64_u32 v[3:4], s[0:1], v9, s48, 0
	v_mad_u64_u32 v[5:6], s[0:1], v9, s45, 0
	v_add_co_u32_e32 v3, vcc, v10, v3
	v_addc_co_u32_e32 v3, vcc, v11, v4, vcc
	v_addc_co_u32_e32 v4, vcc, 0, v6, vcc
	v_add_co_u32_e32 v5, vcc, v3, v5
	v_addc_co_u32_e32 v6, vcc, 0, v4, vcc
	v_mul_lo_u32 v10, s47, v5
	v_mul_lo_u32 v11, s46, v6
	v_mad_u64_u32 v[3:4], s[0:1], s46, v5, 0
	v_add3_u32 v4, v4, v11, v10
	v_sub_u32_e32 v10, v9, v4
	v_mov_b32_e32 v11, s47
	v_sub_co_u32_e32 v3, vcc, v8, v3
	v_subb_co_u32_e64 v8, s[0:1], v10, v11, vcc
	v_subrev_co_u32_e64 v10, s[0:1], s46, v3
	v_subbrev_co_u32_e64 v8, s[0:1], 0, v8, s[0:1]
	v_cmp_le_u32_e64 s[0:1], s47, v8
	v_cndmask_b32_e64 v11, 0, -1, s[0:1]
	v_cmp_le_u32_e64 s[0:1], s46, v10
	v_cndmask_b32_e64 v10, 0, -1, s[0:1]
	v_cmp_eq_u32_e64 s[0:1], s47, v8
	v_cndmask_b32_e64 v8, v11, v10, s[0:1]
	v_add_co_u32_e64 v10, s[0:1], 2, v5
	v_subb_co_u32_e32 v4, vcc, v9, v4, vcc
	v_addc_co_u32_e64 v11, s[0:1], 0, v6, s[0:1]
	v_cmp_le_u32_e32 vcc, s47, v4
	v_add_co_u32_e64 v12, s[0:1], 1, v5
	v_cndmask_b32_e64 v9, 0, -1, vcc
	v_cmp_le_u32_e32 vcc, s46, v3
	v_addc_co_u32_e64 v13, s[0:1], 0, v6, s[0:1]
	v_cndmask_b32_e64 v3, 0, -1, vcc
	v_cmp_eq_u32_e32 vcc, s47, v4
	v_cmp_ne_u32_e64 s[0:1], 0, v8
	v_cndmask_b32_e32 v3, v9, v3, vcc
	v_cmp_ne_u32_e32 vcc, 0, v3
	v_cndmask_b32_e64 v4, v12, v10, s[0:1]
	v_cndmask_b32_e64 v8, v13, v11, s[0:1]
	v_cndmask_b32_e32 v4, v5, v4, vcc
	v_xor_b32_e32 v5, s44, v7
	v_cndmask_b32_e32 v3, v6, v8, vcc
	v_xor_b32_e32 v4, v4, v5
	v_xor_b32_e32 v3, v3, v5
	v_sub_co_u32_e32 v6, vcc, v4, v5
	v_subb_co_u32_e32 v7, vcc, v3, v5, vcc
.LBB27_5:                               ;   in Loop: Header=BB27_3 Depth=1
	s_andn2_saveexec_b64 s[0:1], s[42:43]
	s_cbranch_execz .LBB27_7
; %bb.6:                                ;   in Loop: Header=BB27_3 Depth=1
	v_cvt_f32_u32_e32 v3, s26
	s_sub_i32 s42, 0, s26
	v_mov_b32_e32 v7, v2
	v_rcp_iflag_f32_e32 v3, v3
	v_mul_f32_e32 v3, 0x4f7ffffe, v3
	v_cvt_u32_f32_e32 v3, v3
	v_mul_lo_u32 v4, s42, v3
	v_mul_hi_u32 v4, v3, v4
	v_add_u32_e32 v3, v3, v4
	v_mul_hi_u32 v3, v0, v3
	v_mul_lo_u32 v4, v3, s26
	v_add_u32_e32 v5, 1, v3
	v_sub_u32_e32 v4, v0, v4
	v_subrev_u32_e32 v6, s26, v4
	v_cmp_le_u32_e32 vcc, s26, v4
	v_cndmask_b32_e32 v4, v4, v6, vcc
	v_cndmask_b32_e32 v3, v3, v5, vcc
	v_add_u32_e32 v5, 1, v3
	v_cmp_le_u32_e32 vcc, s26, v4
	v_cndmask_b32_e32 v6, v3, v5, vcc
.LBB27_7:                               ;   in Loop: Header=BB27_3 Depth=1
	s_or_b64 exec, exec, s[0:1]
	v_or_b32_e32 v3, s13, v7
	v_cmp_ne_u64_e32 vcc, 0, v[2:3]
                                        ; implicit-def: $vgpr10_vgpr11
	s_and_saveexec_b64 s[0:1], vcc
	s_xor_b64 s[42:43], exec, s[0:1]
	s_cbranch_execz .LBB27_9
; %bb.8:                                ;   in Loop: Header=BB27_3 Depth=1
	s_ashr_i32 s44, s13, 31
	s_add_u32 s0, s12, s44
	s_mov_b32 s45, s44
	s_addc_u32 s1, s13, s44
	s_xor_b64 s[46:47], s[0:1], s[44:45]
	v_cvt_f32_u32_e32 v3, s46
	v_cvt_f32_u32_e32 v4, s47
	s_sub_u32 s45, 0, s46
	s_subb_u32 s48, 0, s47
	v_ashrrev_i32_e32 v5, 31, v7
	v_mac_f32_e32 v3, 0x4f800000, v4
	v_rcp_f32_e32 v3, v3
	v_mul_f32_e32 v3, 0x5f7ffffc, v3
	v_mul_f32_e32 v4, 0x2f800000, v3
	v_trunc_f32_e32 v4, v4
	v_mac_f32_e32 v3, 0xcf800000, v4
	v_cvt_u32_f32_e32 v4, v4
	v_cvt_u32_f32_e32 v3, v3
	v_readfirstlane_b32 s49, v4
	v_readfirstlane_b32 s0, v3
	s_mul_i32 s1, s45, s49
	s_mul_hi_u32 s51, s45, s0
	s_mul_i32 s50, s48, s0
	s_add_i32 s1, s51, s1
	s_add_i32 s1, s1, s50
	s_mul_i32 s52, s45, s0
	s_mul_i32 s51, s0, s1
	s_mul_hi_u32 s53, s0, s52
	s_mul_hi_u32 s50, s0, s1
	s_add_u32 s51, s53, s51
	s_addc_u32 s50, 0, s50
	s_mul_hi_u32 s54, s49, s52
	s_mul_i32 s52, s49, s52
	s_add_u32 s51, s51, s52
	s_mul_hi_u32 s53, s49, s1
	s_addc_u32 s50, s50, s54
	s_addc_u32 s51, s53, 0
	s_mul_i32 s1, s49, s1
	s_add_u32 s1, s50, s1
	s_addc_u32 s50, 0, s51
	s_add_u32 s51, s0, s1
	s_cselect_b64 s[0:1], -1, 0
	s_cmp_lg_u64 s[0:1], 0
	s_addc_u32 s49, s49, s50
	s_mul_i32 s0, s45, s49
	s_mul_hi_u32 s1, s45, s51
	s_add_i32 s0, s1, s0
	s_mul_i32 s48, s48, s51
	s_add_i32 s0, s0, s48
	s_mul_i32 s45, s45, s51
	s_mul_hi_u32 s48, s49, s45
	s_mul_i32 s50, s49, s45
	s_mul_i32 s53, s51, s0
	s_mul_hi_u32 s45, s51, s45
	s_mul_hi_u32 s52, s51, s0
	s_add_u32 s45, s45, s53
	s_addc_u32 s52, 0, s52
	s_add_u32 s45, s45, s50
	s_mul_hi_u32 s1, s49, s0
	s_addc_u32 s45, s52, s48
	s_addc_u32 s1, s1, 0
	s_mul_i32 s0, s49, s0
	s_add_u32 s0, s45, s0
	s_addc_u32 s45, 0, s1
	s_add_u32 s48, s51, s0
	s_cselect_b64 s[0:1], -1, 0
	s_cmp_lg_u64 s[0:1], 0
	v_add_co_u32_e32 v3, vcc, v6, v5
	s_addc_u32 s45, s49, s45
	v_xor_b32_e32 v10, v3, v5
	v_mad_u64_u32 v[3:4], s[0:1], v10, s45, 0
	v_mul_hi_u32 v9, v10, s48
	v_addc_co_u32_e32 v8, vcc, v7, v5, vcc
	v_xor_b32_e32 v11, v8, v5
	v_add_co_u32_e32 v12, vcc, v9, v3
	v_addc_co_u32_e32 v13, vcc, 0, v4, vcc
	v_mad_u64_u32 v[3:4], s[0:1], v11, s48, 0
	v_mad_u64_u32 v[8:9], s[0:1], v11, s45, 0
	v_add_co_u32_e32 v3, vcc, v12, v3
	v_addc_co_u32_e32 v3, vcc, v13, v4, vcc
	v_addc_co_u32_e32 v4, vcc, 0, v9, vcc
	v_add_co_u32_e32 v8, vcc, v3, v8
	v_addc_co_u32_e32 v9, vcc, 0, v4, vcc
	v_mul_lo_u32 v12, s47, v8
	v_mul_lo_u32 v13, s46, v9
	v_mad_u64_u32 v[3:4], s[0:1], s46, v8, 0
	v_xor_b32_e32 v5, s44, v5
	v_add3_u32 v4, v4, v13, v12
	v_sub_u32_e32 v12, v11, v4
	v_mov_b32_e32 v13, s47
	v_sub_co_u32_e32 v3, vcc, v10, v3
	v_subb_co_u32_e64 v10, s[0:1], v12, v13, vcc
	v_subrev_co_u32_e64 v12, s[0:1], s46, v3
	v_subbrev_co_u32_e64 v10, s[0:1], 0, v10, s[0:1]
	v_cmp_le_u32_e64 s[0:1], s47, v10
	v_cndmask_b32_e64 v13, 0, -1, s[0:1]
	v_cmp_le_u32_e64 s[0:1], s46, v12
	v_cndmask_b32_e64 v12, 0, -1, s[0:1]
	v_cmp_eq_u32_e64 s[0:1], s47, v10
	v_cndmask_b32_e64 v10, v13, v12, s[0:1]
	v_add_co_u32_e64 v12, s[0:1], 2, v8
	v_subb_co_u32_e32 v4, vcc, v11, v4, vcc
	v_addc_co_u32_e64 v13, s[0:1], 0, v9, s[0:1]
	v_cmp_le_u32_e32 vcc, s47, v4
	v_add_co_u32_e64 v14, s[0:1], 1, v8
	v_cndmask_b32_e64 v11, 0, -1, vcc
	v_cmp_le_u32_e32 vcc, s46, v3
	v_addc_co_u32_e64 v15, s[0:1], 0, v9, s[0:1]
	v_cndmask_b32_e64 v3, 0, -1, vcc
	v_cmp_eq_u32_e32 vcc, s47, v4
	v_cmp_ne_u32_e64 s[0:1], 0, v10
	v_cndmask_b32_e32 v3, v11, v3, vcc
	v_cmp_ne_u32_e32 vcc, 0, v3
	v_cndmask_b32_e64 v4, v14, v12, s[0:1]
	v_cndmask_b32_e64 v10, v15, v13, s[0:1]
	v_cndmask_b32_e32 v4, v8, v4, vcc
	v_cndmask_b32_e32 v3, v9, v10, vcc
	v_xor_b32_e32 v4, v4, v5
	v_xor_b32_e32 v3, v3, v5
	v_sub_co_u32_e32 v10, vcc, v4, v5
	v_subb_co_u32_e32 v11, vcc, v3, v5, vcc
.LBB27_9:                               ;   in Loop: Header=BB27_3 Depth=1
	s_andn2_saveexec_b64 s[0:1], s[42:43]
	s_cbranch_execz .LBB27_11
; %bb.10:                               ;   in Loop: Header=BB27_3 Depth=1
	v_cvt_f32_u32_e32 v3, s12
	s_sub_i32 s42, 0, s12
	v_mov_b32_e32 v11, v2
	v_rcp_iflag_f32_e32 v3, v3
	v_mul_f32_e32 v3, 0x4f7ffffe, v3
	v_cvt_u32_f32_e32 v3, v3
	v_mul_lo_u32 v4, s42, v3
	v_mul_hi_u32 v4, v3, v4
	v_add_u32_e32 v3, v3, v4
	v_mul_hi_u32 v3, v6, v3
	v_mul_lo_u32 v4, v3, s12
	v_add_u32_e32 v5, 1, v3
	v_sub_u32_e32 v4, v6, v4
	v_subrev_u32_e32 v8, s12, v4
	v_cmp_le_u32_e32 vcc, s12, v4
	v_cndmask_b32_e32 v4, v4, v8, vcc
	v_cndmask_b32_e32 v3, v3, v5, vcc
	v_add_u32_e32 v5, 1, v3
	v_cmp_le_u32_e32 vcc, s12, v4
	v_cndmask_b32_e32 v10, v3, v5, vcc
.LBB27_11:                              ;   in Loop: Header=BB27_3 Depth=1
	s_or_b64 exec, exec, s[0:1]
	v_mul_lo_u32 v5, v7, s26
	v_mul_lo_u32 v8, v6, s27
	v_mad_u64_u32 v[3:4], s[0:1], v6, s26, 0
	v_mul_lo_u32 v12, v11, s12
	v_mul_lo_u32 v13, v10, s13
	v_add3_u32 v5, v4, v8, v5
	v_mad_u64_u32 v[8:9], s[0:1], v10, s12, 0
	v_sub_co_u32_e32 v4, vcc, v0, v3
	v_subb_co_u32_e32 v5, vcc, v1, v5, vcc
	v_add3_u32 v3, v9, v13, v12
	v_mul_lo_u32 v9, s19, v4
	v_mul_lo_u32 v14, s18, v5
	v_mad_u64_u32 v[12:13], s[0:1], s18, v4, 0
	v_sub_co_u32_e32 v16, vcc, v6, v8
	v_subb_co_u32_e32 v17, vcc, v7, v3, vcc
	v_add3_u32 v13, v13, v14, v9
	v_mul_lo_u32 v3, s23, v4
	v_mul_lo_u32 v14, s22, v5
	v_mad_u64_u32 v[6:7], s[0:1], s22, v4, 0
	v_mad_u64_u32 v[8:9], s[0:1], s16, v16, v[12:13]
	v_mul_lo_u32 v12, s16, v17
	v_mul_lo_u32 v13, s17, v16
	v_add3_u32 v7, v7, v14, v3
	v_mad_u64_u32 v[6:7], s[0:1], s20, v16, v[6:7]
	v_add3_u32 v9, v13, v9, v12
	v_mul_lo_u32 v3, s20, v17
	v_mul_lo_u32 v12, s21, v16
	s_andn2_b64 vcc, exec, s[6:7]
	v_add3_u32 v7, v12, v7, v3
	s_cbranch_vccnz .LBB27_29
; %bb.12:                               ;   in Loop: Header=BB27_3 Depth=1
	s_andn2_b64 vcc, exec, s[30:31]
	s_cbranch_vccnz .LBB27_18
; %bb.13:                               ;   in Loop: Header=BB27_3 Depth=1
	s_load_dwordx2 s[42:43], s[34:35], 0x8
                                        ; implicit-def: $vgpr12_vgpr13
	s_waitcnt lgkmcnt(0)
	v_or_b32_e32 v3, s43, v11
	v_cmp_ne_u64_e32 vcc, 0, v[2:3]
	s_and_saveexec_b64 s[0:1], vcc
	s_xor_b64 s[44:45], exec, s[0:1]
	s_cbranch_execz .LBB27_15
; %bb.14:                               ;   in Loop: Header=BB27_3 Depth=1
	s_ashr_i32 s46, s43, 31
	s_add_u32 s0, s42, s46
	s_mov_b32 s47, s46
	s_addc_u32 s1, s43, s46
	s_xor_b64 s[48:49], s[0:1], s[46:47]
	v_cvt_f32_u32_e32 v3, s48
	v_cvt_f32_u32_e32 v12, s49
	s_sub_u32 s47, 0, s48
	s_subb_u32 s50, 0, s49
	v_mac_f32_e32 v3, 0x4f800000, v12
	v_rcp_f32_e32 v3, v3
	v_mul_f32_e32 v3, 0x5f7ffffc, v3
	v_mul_f32_e32 v12, 0x2f800000, v3
	v_trunc_f32_e32 v12, v12
	v_mac_f32_e32 v3, 0xcf800000, v12
	v_cvt_u32_f32_e32 v12, v12
	v_cvt_u32_f32_e32 v3, v3
	v_readfirstlane_b32 s51, v12
	v_readfirstlane_b32 s0, v3
	s_mul_i32 s1, s47, s51
	s_mul_hi_u32 s53, s47, s0
	s_mul_i32 s52, s50, s0
	s_add_i32 s1, s53, s1
	s_add_i32 s1, s1, s52
	s_mul_i32 s54, s47, s0
	s_mul_i32 s53, s0, s1
	s_mul_hi_u32 s55, s0, s54
	s_mul_hi_u32 s52, s0, s1
	s_add_u32 s53, s55, s53
	s_addc_u32 s52, 0, s52
	s_mul_hi_u32 s56, s51, s54
	s_mul_i32 s54, s51, s54
	s_add_u32 s53, s53, s54
	s_mul_hi_u32 s55, s51, s1
	s_addc_u32 s52, s52, s56
	s_addc_u32 s53, s55, 0
	s_mul_i32 s1, s51, s1
	s_add_u32 s1, s52, s1
	s_addc_u32 s52, 0, s53
	s_add_u32 s53, s0, s1
	s_cselect_b64 s[0:1], -1, 0
	s_cmp_lg_u64 s[0:1], 0
	s_addc_u32 s51, s51, s52
	s_mul_i32 s0, s47, s51
	s_mul_hi_u32 s1, s47, s53
	s_add_i32 s0, s1, s0
	s_mul_i32 s50, s50, s53
	s_add_i32 s0, s0, s50
	s_mul_i32 s47, s47, s53
	s_mul_hi_u32 s50, s51, s47
	s_mul_i32 s52, s51, s47
	s_mul_i32 s55, s53, s0
	s_mul_hi_u32 s47, s53, s47
	s_mul_hi_u32 s54, s53, s0
	s_add_u32 s47, s47, s55
	s_addc_u32 s54, 0, s54
	s_add_u32 s47, s47, s52
	s_mul_hi_u32 s1, s51, s0
	s_addc_u32 s47, s54, s50
	s_addc_u32 s1, s1, 0
	s_mul_i32 s0, s51, s0
	s_add_u32 s0, s47, s0
	s_addc_u32 s47, 0, s1
	s_add_u32 s50, s53, s0
	s_cselect_b64 s[0:1], -1, 0
	v_ashrrev_i32_e32 v3, 31, v11
	s_cmp_lg_u64 s[0:1], 0
	v_add_co_u32_e32 v12, vcc, v10, v3
	s_addc_u32 s47, s51, s47
	v_xor_b32_e32 v18, v12, v3
	v_mad_u64_u32 v[12:13], s[0:1], v18, s47, 0
	v_mul_hi_u32 v15, v18, s50
	v_addc_co_u32_e32 v14, vcc, v11, v3, vcc
	v_xor_b32_e32 v19, v14, v3
	v_add_co_u32_e32 v20, vcc, v15, v12
	v_addc_co_u32_e32 v21, vcc, 0, v13, vcc
	v_mad_u64_u32 v[12:13], s[0:1], v19, s50, 0
	v_mad_u64_u32 v[14:15], s[0:1], v19, s47, 0
	v_add_co_u32_e32 v12, vcc, v20, v12
	v_addc_co_u32_e32 v12, vcc, v21, v13, vcc
	v_addc_co_u32_e32 v13, vcc, 0, v15, vcc
	v_add_co_u32_e32 v14, vcc, v12, v14
	v_addc_co_u32_e32 v15, vcc, 0, v13, vcc
	v_mul_lo_u32 v20, s49, v14
	v_mul_lo_u32 v21, s48, v15
	v_mad_u64_u32 v[12:13], s[0:1], s48, v14, 0
	v_xor_b32_e32 v3, s46, v3
	v_add3_u32 v13, v13, v21, v20
	v_sub_u32_e32 v20, v19, v13
	v_mov_b32_e32 v21, s49
	v_sub_co_u32_e32 v12, vcc, v18, v12
	v_subb_co_u32_e64 v18, s[0:1], v20, v21, vcc
	v_subrev_co_u32_e64 v20, s[0:1], s48, v12
	v_subbrev_co_u32_e64 v18, s[0:1], 0, v18, s[0:1]
	v_cmp_le_u32_e64 s[0:1], s49, v18
	v_cndmask_b32_e64 v21, 0, -1, s[0:1]
	v_cmp_le_u32_e64 s[0:1], s48, v20
	v_cndmask_b32_e64 v20, 0, -1, s[0:1]
	v_cmp_eq_u32_e64 s[0:1], s49, v18
	v_cndmask_b32_e64 v18, v21, v20, s[0:1]
	v_add_co_u32_e64 v20, s[0:1], 2, v14
	v_subb_co_u32_e32 v13, vcc, v19, v13, vcc
	v_addc_co_u32_e64 v21, s[0:1], 0, v15, s[0:1]
	v_cmp_le_u32_e32 vcc, s49, v13
	v_add_co_u32_e64 v22, s[0:1], 1, v14
	v_cndmask_b32_e64 v19, 0, -1, vcc
	v_cmp_le_u32_e32 vcc, s48, v12
	v_addc_co_u32_e64 v23, s[0:1], 0, v15, s[0:1]
	v_cndmask_b32_e64 v12, 0, -1, vcc
	v_cmp_eq_u32_e32 vcc, s49, v13
	v_cmp_ne_u32_e64 s[0:1], 0, v18
	v_cndmask_b32_e32 v12, v19, v12, vcc
	v_cndmask_b32_e64 v18, v23, v21, s[0:1]
	v_cmp_ne_u32_e32 vcc, 0, v12
	v_cndmask_b32_e64 v13, v22, v20, s[0:1]
	v_cndmask_b32_e32 v12, v15, v18, vcc
	v_cndmask_b32_e32 v13, v14, v13, vcc
	v_xor_b32_e32 v14, v12, v3
	v_xor_b32_e32 v12, v13, v3
	v_sub_co_u32_e32 v12, vcc, v12, v3
	v_subb_co_u32_e32 v13, vcc, v14, v3, vcc
.LBB27_15:                              ;   in Loop: Header=BB27_3 Depth=1
	s_andn2_saveexec_b64 s[0:1], s[44:45]
	s_cbranch_execz .LBB27_17
; %bb.16:                               ;   in Loop: Header=BB27_3 Depth=1
	v_cvt_f32_u32_e32 v3, s42
	s_sub_i32 s44, 0, s42
	v_rcp_iflag_f32_e32 v3, v3
	v_mul_f32_e32 v3, 0x4f7ffffe, v3
	v_cvt_u32_f32_e32 v3, v3
	v_mul_lo_u32 v12, s44, v3
	v_mul_hi_u32 v12, v3, v12
	v_add_u32_e32 v3, v3, v12
	v_mul_hi_u32 v3, v10, v3
	v_mul_lo_u32 v12, v3, s42
	v_add_u32_e32 v13, 1, v3
	v_sub_u32_e32 v12, v10, v12
	v_subrev_u32_e32 v14, s42, v12
	v_cmp_le_u32_e32 vcc, s42, v12
	v_cndmask_b32_e32 v12, v12, v14, vcc
	v_cndmask_b32_e32 v3, v3, v13, vcc
	v_add_u32_e32 v13, 1, v3
	v_cmp_le_u32_e32 vcc, s42, v12
	v_cndmask_b32_e32 v12, v3, v13, vcc
	v_mov_b32_e32 v13, v2
.LBB27_17:                              ;   in Loop: Header=BB27_3 Depth=1
	s_or_b64 exec, exec, s[0:1]
	v_mul_lo_u32 v3, v13, s42
	v_mul_lo_u32 v18, v12, s43
	v_mad_u64_u32 v[14:15], s[0:1], v12, s42, 0
	s_load_dwordx2 s[0:1], s[34:35], 0xd0
	s_load_dwordx2 s[42:43], s[36:37], 0xd0
	v_add3_u32 v3, v15, v18, v3
	v_sub_co_u32_e32 v10, vcc, v10, v14
	v_subb_co_u32_e32 v3, vcc, v11, v3, vcc
	s_waitcnt lgkmcnt(0)
	v_mul_lo_u32 v11, s0, v3
	v_mul_lo_u32 v14, s1, v10
	v_mad_u64_u32 v[8:9], s[0:1], s0, v10, v[8:9]
	v_mul_lo_u32 v3, s42, v3
	v_mul_lo_u32 v15, s43, v10
	v_mad_u64_u32 v[6:7], s[0:1], s42, v10, v[6:7]
	v_add3_u32 v9, v14, v9, v11
	v_mov_b32_e32 v10, v12
	v_add3_u32 v7, v15, v7, v3
	v_mov_b32_e32 v11, v13
	s_mov_b64 s[0:1], s[38:39]
	s_andn2_b64 vcc, exec, s[40:41]
	s_cbranch_vccz .LBB27_19
	s_branch .LBB27_29
.LBB27_18:                              ;   in Loop: Header=BB27_3 Depth=1
	s_mov_b64 s[0:1], s[24:25]
	s_andn2_b64 vcc, exec, s[40:41]
	s_cbranch_vccnz .LBB27_29
.LBB27_19:                              ;   in Loop: Header=BB27_3 Depth=1
	s_lshl_b64 s[44:45], s[0:1], 3
	s_add_u32 s42, s64, s44
	s_addc_u32 s43, s65, s45
	s_add_u32 s44, s33, s44
	s_addc_u32 s45, s62, s45
	;; [unrolled: 2-line block ×3, first 2 shown]
	s_branch .LBB27_21
.LBB27_20:                              ;   in Loop: Header=BB27_21 Depth=2
	s_or_b64 exec, exec, s[0:1]
	v_mul_lo_u32 v3, v13, s48
	v_mul_lo_u32 v20, v12, s49
	v_mad_u64_u32 v[18:19], s[0:1], v12, s48, 0
	v_mul_lo_u32 v21, v15, s50
	v_mul_lo_u32 v22, v14, s51
	v_add3_u32 v3, v19, v20, v3
	v_sub_co_u32_e32 v10, vcc, v10, v18
	v_subb_co_u32_e32 v3, vcc, v11, v3, vcc
	v_mul_lo_u32 v18, s54, v3
	v_mul_lo_u32 v19, s55, v10
	v_mad_u64_u32 v[8:9], s[0:1], s54, v10, v[8:9]
	v_mul_lo_u32 v3, s52, v3
	v_mul_lo_u32 v20, s53, v10
	v_mad_u64_u32 v[6:7], s[0:1], s52, v10, v[6:7]
	v_mad_u64_u32 v[10:11], s[0:1], v14, s50, 0
	s_load_dwordx2 s[0:1], s[44:45], 0xc8
	s_load_dwordx2 s[48:49], s[42:43], 0x0
	v_add3_u32 v7, v20, v7, v3
	v_add3_u32 v3, v11, v22, v21
	v_sub_co_u32_e32 v10, vcc, v12, v10
	v_add3_u32 v9, v19, v9, v18
	v_subb_co_u32_e32 v3, vcc, v13, v3, vcc
	s_add_u32 s42, s42, -16
	s_waitcnt lgkmcnt(0)
	v_mad_u64_u32 v[8:9], s[50:51], s0, v10, v[8:9]
	v_mul_lo_u32 v11, s0, v3
	v_mul_lo_u32 v12, s1, v10
	v_mad_u64_u32 v[6:7], s[0:1], s48, v10, v[6:7]
	v_mul_lo_u32 v3, s48, v3
	v_mul_lo_u32 v10, s49, v10
	s_addc_u32 s43, s43, -1
	s_add_u32 s44, s44, -16
	s_addc_u32 s45, s45, -1
	s_add_u32 s46, s46, -2
	v_add3_u32 v9, v12, v9, v11
	v_add3_u32 v7, v10, v7, v3
	s_addc_u32 s47, s47, -1
	v_mov_b32_e32 v10, v14
	s_cmp_eq_u64 s[46:47], 0
	v_mov_b32_e32 v11, v15
	s_cbranch_scc1 .LBB27_29
.LBB27_21:                              ;   Parent Loop BB27_3 Depth=1
                                        ; =>  This Inner Loop Header: Depth=2
	s_load_dwordx2 s[48:49], s[44:45], 0x8
                                        ; implicit-def: $vgpr12_vgpr13
	s_waitcnt lgkmcnt(0)
	v_or_b32_e32 v3, s49, v11
	v_cmp_ne_u64_e32 vcc, 0, v[2:3]
	s_and_saveexec_b64 s[0:1], vcc
	s_xor_b64 s[50:51], exec, s[0:1]
	s_cbranch_execz .LBB27_23
; %bb.22:                               ;   in Loop: Header=BB27_21 Depth=2
	s_ashr_i32 s52, s49, 31
	s_add_u32 s0, s48, s52
	s_mov_b32 s53, s52
	s_addc_u32 s1, s49, s52
	s_xor_b64 s[54:55], s[0:1], s[52:53]
	v_cvt_f32_u32_e32 v3, s54
	v_cvt_f32_u32_e32 v12, s55
	s_sub_u32 s53, 0, s54
	s_subb_u32 s56, 0, s55
	v_mac_f32_e32 v3, 0x4f800000, v12
	v_rcp_f32_e32 v3, v3
	v_mul_f32_e32 v3, 0x5f7ffffc, v3
	v_mul_f32_e32 v12, 0x2f800000, v3
	v_trunc_f32_e32 v12, v12
	v_mac_f32_e32 v3, 0xcf800000, v12
	v_cvt_u32_f32_e32 v12, v12
	v_cvt_u32_f32_e32 v3, v3
	v_readfirstlane_b32 s57, v12
	v_readfirstlane_b32 s0, v3
	s_mul_i32 s1, s53, s57
	s_mul_hi_u32 s59, s53, s0
	s_mul_i32 s58, s56, s0
	s_add_i32 s1, s59, s1
	s_add_i32 s1, s1, s58
	s_mul_i32 s60, s53, s0
	s_mul_i32 s59, s0, s1
	s_mul_hi_u32 s61, s0, s60
	s_mul_hi_u32 s58, s0, s1
	s_add_u32 s59, s61, s59
	s_addc_u32 s58, 0, s58
	s_mul_hi_u32 s66, s57, s60
	s_mul_i32 s60, s57, s60
	s_add_u32 s59, s59, s60
	s_mul_hi_u32 s61, s57, s1
	s_addc_u32 s58, s58, s66
	s_addc_u32 s59, s61, 0
	s_mul_i32 s1, s57, s1
	s_add_u32 s1, s58, s1
	s_addc_u32 s58, 0, s59
	s_add_u32 s59, s0, s1
	s_cselect_b64 s[0:1], -1, 0
	s_cmp_lg_u64 s[0:1], 0
	s_addc_u32 s57, s57, s58
	s_mul_i32 s0, s53, s57
	s_mul_hi_u32 s1, s53, s59
	s_add_i32 s0, s1, s0
	s_mul_i32 s56, s56, s59
	s_add_i32 s0, s0, s56
	s_mul_i32 s53, s53, s59
	s_mul_hi_u32 s56, s57, s53
	s_mul_i32 s58, s57, s53
	s_mul_i32 s61, s59, s0
	s_mul_hi_u32 s53, s59, s53
	s_mul_hi_u32 s60, s59, s0
	s_add_u32 s53, s53, s61
	s_addc_u32 s60, 0, s60
	s_add_u32 s53, s53, s58
	s_mul_hi_u32 s1, s57, s0
	s_addc_u32 s53, s60, s56
	s_addc_u32 s1, s1, 0
	s_mul_i32 s0, s57, s0
	s_add_u32 s0, s53, s0
	s_addc_u32 s53, 0, s1
	s_add_u32 s56, s59, s0
	s_cselect_b64 s[0:1], -1, 0
	v_ashrrev_i32_e32 v3, 31, v11
	s_cmp_lg_u64 s[0:1], 0
	v_add_co_u32_e32 v12, vcc, v10, v3
	s_addc_u32 s53, s57, s53
	v_xor_b32_e32 v18, v12, v3
	v_mad_u64_u32 v[12:13], s[0:1], v18, s53, 0
	v_mul_hi_u32 v15, v18, s56
	v_addc_co_u32_e32 v14, vcc, v11, v3, vcc
	v_xor_b32_e32 v19, v14, v3
	v_add_co_u32_e32 v20, vcc, v15, v12
	v_addc_co_u32_e32 v21, vcc, 0, v13, vcc
	v_mad_u64_u32 v[12:13], s[0:1], v19, s56, 0
	v_mad_u64_u32 v[14:15], s[0:1], v19, s53, 0
	v_add_co_u32_e32 v12, vcc, v20, v12
	v_addc_co_u32_e32 v12, vcc, v21, v13, vcc
	v_addc_co_u32_e32 v13, vcc, 0, v15, vcc
	v_add_co_u32_e32 v14, vcc, v12, v14
	v_addc_co_u32_e32 v15, vcc, 0, v13, vcc
	v_mul_lo_u32 v20, s55, v14
	v_mul_lo_u32 v21, s54, v15
	v_mad_u64_u32 v[12:13], s[0:1], s54, v14, 0
	v_xor_b32_e32 v3, s52, v3
	v_add3_u32 v13, v13, v21, v20
	v_sub_u32_e32 v20, v19, v13
	v_mov_b32_e32 v21, s55
	v_sub_co_u32_e32 v12, vcc, v18, v12
	v_subb_co_u32_e64 v18, s[0:1], v20, v21, vcc
	v_subrev_co_u32_e64 v20, s[0:1], s54, v12
	v_subbrev_co_u32_e64 v18, s[0:1], 0, v18, s[0:1]
	v_cmp_le_u32_e64 s[0:1], s55, v18
	v_cndmask_b32_e64 v21, 0, -1, s[0:1]
	v_cmp_le_u32_e64 s[0:1], s54, v20
	v_cndmask_b32_e64 v20, 0, -1, s[0:1]
	v_cmp_eq_u32_e64 s[0:1], s55, v18
	v_cndmask_b32_e64 v18, v21, v20, s[0:1]
	v_add_co_u32_e64 v20, s[0:1], 2, v14
	v_subb_co_u32_e32 v13, vcc, v19, v13, vcc
	v_addc_co_u32_e64 v21, s[0:1], 0, v15, s[0:1]
	v_cmp_le_u32_e32 vcc, s55, v13
	v_add_co_u32_e64 v22, s[0:1], 1, v14
	v_cndmask_b32_e64 v19, 0, -1, vcc
	v_cmp_le_u32_e32 vcc, s54, v12
	v_addc_co_u32_e64 v23, s[0:1], 0, v15, s[0:1]
	v_cndmask_b32_e64 v12, 0, -1, vcc
	v_cmp_eq_u32_e32 vcc, s55, v13
	v_cmp_ne_u32_e64 s[0:1], 0, v18
	v_cndmask_b32_e32 v12, v19, v12, vcc
	v_cndmask_b32_e64 v18, v23, v21, s[0:1]
	v_cmp_ne_u32_e32 vcc, 0, v12
	v_cndmask_b32_e64 v13, v22, v20, s[0:1]
	v_cndmask_b32_e32 v12, v15, v18, vcc
	v_cndmask_b32_e32 v13, v14, v13, vcc
	v_xor_b32_e32 v14, v12, v3
	v_xor_b32_e32 v12, v13, v3
	v_sub_co_u32_e32 v12, vcc, v12, v3
	v_subb_co_u32_e32 v13, vcc, v14, v3, vcc
.LBB27_23:                              ;   in Loop: Header=BB27_21 Depth=2
	s_andn2_saveexec_b64 s[0:1], s[50:51]
	s_cbranch_execz .LBB27_25
; %bb.24:                               ;   in Loop: Header=BB27_21 Depth=2
	v_cvt_f32_u32_e32 v3, s48
	s_sub_i32 s50, 0, s48
	v_rcp_iflag_f32_e32 v3, v3
	v_mul_f32_e32 v3, 0x4f7ffffe, v3
	v_cvt_u32_f32_e32 v3, v3
	v_mul_lo_u32 v12, s50, v3
	v_mul_hi_u32 v12, v3, v12
	v_add_u32_e32 v3, v3, v12
	v_mul_hi_u32 v3, v10, v3
	v_mul_lo_u32 v12, v3, s48
	v_add_u32_e32 v13, 1, v3
	v_sub_u32_e32 v12, v10, v12
	v_subrev_u32_e32 v14, s48, v12
	v_cmp_le_u32_e32 vcc, s48, v12
	v_cndmask_b32_e32 v12, v12, v14, vcc
	v_cndmask_b32_e32 v3, v3, v13, vcc
	v_add_u32_e32 v13, 1, v3
	v_cmp_le_u32_e32 vcc, s48, v12
	v_cndmask_b32_e32 v12, v3, v13, vcc
	v_mov_b32_e32 v13, v2
.LBB27_25:                              ;   in Loop: Header=BB27_21 Depth=2
	s_or_b64 exec, exec, s[0:1]
	s_load_dwordx2 s[50:51], s[44:45], 0x0
	s_load_dwordx2 s[54:55], s[44:45], 0xd0
	;; [unrolled: 1-line block ×3, first 2 shown]
                                        ; implicit-def: $vgpr14_vgpr15
	s_waitcnt lgkmcnt(0)
	v_or_b32_e32 v3, s51, v13
	v_cmp_ne_u64_e32 vcc, 0, v[2:3]
	s_and_saveexec_b64 s[0:1], vcc
	s_xor_b64 s[56:57], exec, s[0:1]
	s_cbranch_execz .LBB27_27
; %bb.26:                               ;   in Loop: Header=BB27_21 Depth=2
	s_ashr_i32 s58, s51, 31
	s_add_u32 s0, s50, s58
	s_mov_b32 s59, s58
	s_addc_u32 s1, s51, s58
	s_xor_b64 s[60:61], s[0:1], s[58:59]
	v_cvt_f32_u32_e32 v3, s60
	v_cvt_f32_u32_e32 v14, s61
	s_sub_u32 s59, 0, s60
	s_subb_u32 s66, 0, s61
	v_mac_f32_e32 v3, 0x4f800000, v14
	v_rcp_f32_e32 v3, v3
	v_mul_f32_e32 v3, 0x5f7ffffc, v3
	v_mul_f32_e32 v14, 0x2f800000, v3
	v_trunc_f32_e32 v14, v14
	v_mac_f32_e32 v3, 0xcf800000, v14
	v_cvt_u32_f32_e32 v14, v14
	v_cvt_u32_f32_e32 v3, v3
	v_readfirstlane_b32 s67, v14
	v_readfirstlane_b32 s0, v3
	s_mul_i32 s1, s59, s67
	s_mul_hi_u32 s69, s59, s0
	s_mul_i32 s68, s66, s0
	s_add_i32 s1, s69, s1
	s_add_i32 s1, s1, s68
	s_mul_i32 s70, s59, s0
	s_mul_i32 s69, s0, s1
	s_mul_hi_u32 s71, s0, s70
	s_mul_hi_u32 s68, s0, s1
	s_add_u32 s69, s71, s69
	s_addc_u32 s68, 0, s68
	s_mul_hi_u32 s72, s67, s70
	s_mul_i32 s70, s67, s70
	s_add_u32 s69, s69, s70
	s_mul_hi_u32 s71, s67, s1
	s_addc_u32 s68, s68, s72
	s_addc_u32 s69, s71, 0
	s_mul_i32 s1, s67, s1
	s_add_u32 s1, s68, s1
	s_addc_u32 s68, 0, s69
	s_add_u32 s69, s0, s1
	s_cselect_b64 s[0:1], -1, 0
	s_cmp_lg_u64 s[0:1], 0
	s_addc_u32 s67, s67, s68
	s_mul_i32 s0, s59, s67
	s_mul_hi_u32 s1, s59, s69
	s_add_i32 s0, s1, s0
	s_mul_i32 s66, s66, s69
	s_add_i32 s0, s0, s66
	s_mul_i32 s59, s59, s69
	s_mul_hi_u32 s66, s67, s59
	s_mul_i32 s68, s67, s59
	s_mul_i32 s71, s69, s0
	s_mul_hi_u32 s59, s69, s59
	s_mul_hi_u32 s70, s69, s0
	s_add_u32 s59, s59, s71
	s_addc_u32 s70, 0, s70
	s_add_u32 s59, s59, s68
	s_mul_hi_u32 s1, s67, s0
	s_addc_u32 s59, s70, s66
	s_addc_u32 s1, s1, 0
	s_mul_i32 s0, s67, s0
	s_add_u32 s0, s59, s0
	s_addc_u32 s59, 0, s1
	s_add_u32 s66, s69, s0
	s_cselect_b64 s[0:1], -1, 0
	v_ashrrev_i32_e32 v3, 31, v13
	s_cmp_lg_u64 s[0:1], 0
	v_add_co_u32_e32 v14, vcc, v12, v3
	s_addc_u32 s59, s67, s59
	v_xor_b32_e32 v20, v14, v3
	v_mad_u64_u32 v[14:15], s[0:1], v20, s59, 0
	v_mul_hi_u32 v19, v20, s66
	v_addc_co_u32_e32 v18, vcc, v13, v3, vcc
	v_xor_b32_e32 v21, v18, v3
	v_add_co_u32_e32 v22, vcc, v19, v14
	v_addc_co_u32_e32 v23, vcc, 0, v15, vcc
	v_mad_u64_u32 v[14:15], s[0:1], v21, s66, 0
	v_mad_u64_u32 v[18:19], s[0:1], v21, s59, 0
	v_add_co_u32_e32 v14, vcc, v22, v14
	v_addc_co_u32_e32 v14, vcc, v23, v15, vcc
	v_addc_co_u32_e32 v15, vcc, 0, v19, vcc
	v_add_co_u32_e32 v18, vcc, v14, v18
	v_addc_co_u32_e32 v19, vcc, 0, v15, vcc
	v_mul_lo_u32 v22, s61, v18
	v_mul_lo_u32 v23, s60, v19
	v_mad_u64_u32 v[14:15], s[0:1], s60, v18, 0
	v_xor_b32_e32 v3, s58, v3
	v_add3_u32 v15, v15, v23, v22
	v_sub_u32_e32 v22, v21, v15
	v_mov_b32_e32 v23, s61
	v_sub_co_u32_e32 v14, vcc, v20, v14
	v_subb_co_u32_e64 v20, s[0:1], v22, v23, vcc
	v_subrev_co_u32_e64 v22, s[0:1], s60, v14
	v_subbrev_co_u32_e64 v20, s[0:1], 0, v20, s[0:1]
	v_cmp_le_u32_e64 s[0:1], s61, v20
	v_cndmask_b32_e64 v23, 0, -1, s[0:1]
	v_cmp_le_u32_e64 s[0:1], s60, v22
	v_cndmask_b32_e64 v22, 0, -1, s[0:1]
	v_cmp_eq_u32_e64 s[0:1], s61, v20
	v_cndmask_b32_e64 v20, v23, v22, s[0:1]
	v_add_co_u32_e64 v22, s[0:1], 2, v18
	v_subb_co_u32_e32 v15, vcc, v21, v15, vcc
	v_addc_co_u32_e64 v23, s[0:1], 0, v19, s[0:1]
	v_cmp_le_u32_e32 vcc, s61, v15
	v_add_co_u32_e64 v24, s[0:1], 1, v18
	v_cndmask_b32_e64 v21, 0, -1, vcc
	v_cmp_le_u32_e32 vcc, s60, v14
	v_addc_co_u32_e64 v25, s[0:1], 0, v19, s[0:1]
	v_cndmask_b32_e64 v14, 0, -1, vcc
	v_cmp_eq_u32_e32 vcc, s61, v15
	v_cmp_ne_u32_e64 s[0:1], 0, v20
	v_cndmask_b32_e32 v14, v21, v14, vcc
	v_cndmask_b32_e64 v20, v25, v23, s[0:1]
	v_cmp_ne_u32_e32 vcc, 0, v14
	v_cndmask_b32_e64 v15, v24, v22, s[0:1]
	v_cndmask_b32_e32 v14, v19, v20, vcc
	v_cndmask_b32_e32 v15, v18, v15, vcc
	v_xor_b32_e32 v18, v14, v3
	v_xor_b32_e32 v14, v15, v3
	v_sub_co_u32_e32 v14, vcc, v14, v3
	v_subb_co_u32_e32 v15, vcc, v18, v3, vcc
.LBB27_27:                              ;   in Loop: Header=BB27_21 Depth=2
	s_andn2_saveexec_b64 s[0:1], s[56:57]
	s_cbranch_execz .LBB27_20
; %bb.28:                               ;   in Loop: Header=BB27_21 Depth=2
	v_cvt_f32_u32_e32 v3, s50
	s_sub_i32 s56, 0, s50
	v_rcp_iflag_f32_e32 v3, v3
	v_mul_f32_e32 v3, 0x4f7ffffe, v3
	v_cvt_u32_f32_e32 v3, v3
	v_mul_lo_u32 v14, s56, v3
	v_mul_hi_u32 v14, v3, v14
	v_add_u32_e32 v3, v3, v14
	v_mul_hi_u32 v3, v12, v3
	v_mul_lo_u32 v14, v3, s50
	v_add_u32_e32 v15, 1, v3
	v_sub_u32_e32 v14, v12, v14
	v_subrev_u32_e32 v18, s50, v14
	v_cmp_le_u32_e32 vcc, s50, v14
	v_cndmask_b32_e32 v14, v14, v18, vcc
	v_cndmask_b32_e32 v3, v3, v15, vcc
	v_add_u32_e32 v15, 1, v3
	v_cmp_le_u32_e32 vcc, s50, v14
	v_cndmask_b32_e32 v14, v3, v15, vcc
	v_mov_b32_e32 v15, v2
	s_branch .LBB27_20
.LBB27_29:                              ;   in Loop: Header=BB27_3 Depth=1
	v_sub_co_u32_e32 v10, vcc, v4, v16
	v_subb_co_u32_e32 v11, vcc, v5, v17, vcc
	v_cmp_ge_i64_e32 vcc, s[8:9], v[10:11]
	v_mov_b32_e32 v12, 0
	v_mov_b32_e32 v3, 0
	s_and_saveexec_b64 s[0:1], vcc
	s_cbranch_execz .LBB27_35
; %bb.30:                               ;   in Loop: Header=BB27_3 Depth=1
	v_cmp_gt_i64_e32 vcc, s[14:15], v[4:5]
	v_mov_b32_e32 v3, 0
	v_mov_b32_e32 v12, 0
	s_and_saveexec_b64 s[42:43], vcc
	s_cbranch_execz .LBB27_34
; %bb.31:                               ;   in Loop: Header=BB27_3 Depth=1
	v_lshlrev_b64 v[8:9], 2, v[8:9]
	v_mov_b32_e32 v3, s3
	v_add_co_u32_e32 v8, vcc, s2, v8
	v_addc_co_u32_e32 v9, vcc, v3, v9, vcc
	global_load_dword v3, v[8:9], off
	v_add_co_u32_e32 v12, vcc, 1, v4
	v_addc_co_u32_e32 v13, vcc, 0, v5, vcc
	v_cmp_gt_i64_e32 vcc, s[14:15], v[12:13]
	v_mov_b32_e32 v12, 0
	s_and_saveexec_b64 s[44:45], vcc
	s_xor_b64 s[44:45], exec, s[44:45]
	s_cbranch_execz .LBB27_33
; %bb.32:                               ;   in Loop: Header=BB27_3 Depth=1
	s_lshl_b64 s[46:47], s[18:19], 2
	v_mov_b32_e32 v12, s47
	v_add_co_u32_e32 v8, vcc, s46, v8
	v_addc_co_u32_e32 v9, vcc, v9, v12, vcc
	global_load_dword v12, v[8:9], off
.LBB27_33:                              ;   in Loop: Header=BB27_3 Depth=1
	s_or_b64 exec, exec, s[44:45]
.LBB27_34:                              ;   in Loop: Header=BB27_3 Depth=1
	s_or_b64 exec, exec, s[42:43]
	v_add_co_u32_e32 v8, vcc, 1, v10
	v_addc_co_u32_e32 v9, vcc, 0, v11, vcc
	v_cmp_ge_i64_e32 vcc, s[8:9], v[8:9]
	s_waitcnt vmcnt(0)
	v_cndmask_b32_e32 v12, 0, v12, vcc
.LBB27_35:                              ;   in Loop: Header=BB27_3 Depth=1
	s_or_b64 exec, exec, s[0:1]
	v_cmp_gt_i64_e32 vcc, s[14:15], v[4:5]
	s_and_saveexec_b64 s[0:1], vcc
	s_cbranch_execz .LBB27_2
; %bb.36:                               ;   in Loop: Header=BB27_3 Depth=1
	v_lshlrev_b64 v[6:7], 2, v[6:7]
	v_mov_b32_e32 v8, s29
	v_add_co_u32_e32 v6, vcc, s28, v6
	v_addc_co_u32_e32 v7, vcc, v8, v7, vcc
	v_add_co_u32_e32 v4, vcc, 1, v4
	v_addc_co_u32_e32 v5, vcc, 0, v5, vcc
	v_cmp_gt_i64_e32 vcc, s[14:15], v[4:5]
	global_store_dword v[6:7], v3, off
	s_and_saveexec_b64 s[42:43], vcc
	s_xor_b64 s[42:43], exec, s[42:43]
	s_cbranch_execz .LBB27_2
; %bb.37:                               ;   in Loop: Header=BB27_3 Depth=1
	s_lshl_b64 s[42:43], s[22:23], 2
	v_mov_b32_e32 v4, s43
	v_add_co_u32_e32 v3, vcc, s42, v6
	v_addc_co_u32_e32 v4, vcc, v7, v4, vcc
	global_store_dword v[3:4], v12, off
	s_branch .LBB27_2
.LBB27_38:
	s_endpgm
	.section	.rodata,"a",@progbits
	.p2align	6, 0x0
	.amdhsa_kernel _ZN2at6native16triu_tril_kernelIflLb0ELi2ELb0EEEvNS_4cuda6detail10TensorInfoIT_T0_EENS4_IKS5_S6_EEllS6_
		.amdhsa_group_segment_fixed_size 0
		.amdhsa_private_segment_fixed_size 0
		.amdhsa_kernarg_size 1112
		.amdhsa_user_sgpr_count 6
		.amdhsa_user_sgpr_private_segment_buffer 1
		.amdhsa_user_sgpr_dispatch_ptr 0
		.amdhsa_user_sgpr_queue_ptr 0
		.amdhsa_user_sgpr_kernarg_segment_ptr 1
		.amdhsa_user_sgpr_dispatch_id 0
		.amdhsa_user_sgpr_flat_scratch_init 0
		.amdhsa_user_sgpr_private_segment_size 0
		.amdhsa_uses_dynamic_stack 0
		.amdhsa_system_sgpr_private_segment_wavefront_offset 0
		.amdhsa_system_sgpr_workgroup_id_x 1
		.amdhsa_system_sgpr_workgroup_id_y 0
		.amdhsa_system_sgpr_workgroup_id_z 0
		.amdhsa_system_sgpr_workgroup_info 0
		.amdhsa_system_vgpr_workitem_id 0
		.amdhsa_next_free_vgpr 26
		.amdhsa_next_free_sgpr 73
		.amdhsa_reserve_vcc 1
		.amdhsa_reserve_flat_scratch 0
		.amdhsa_float_round_mode_32 0
		.amdhsa_float_round_mode_16_64 0
		.amdhsa_float_denorm_mode_32 3
		.amdhsa_float_denorm_mode_16_64 3
		.amdhsa_dx10_clamp 1
		.amdhsa_ieee_mode 1
		.amdhsa_fp16_overflow 0
		.amdhsa_exception_fp_ieee_invalid_op 0
		.amdhsa_exception_fp_denorm_src 0
		.amdhsa_exception_fp_ieee_div_zero 0
		.amdhsa_exception_fp_ieee_overflow 0
		.amdhsa_exception_fp_ieee_underflow 0
		.amdhsa_exception_fp_ieee_inexact 0
		.amdhsa_exception_int_div_zero 0
	.end_amdhsa_kernel
	.section	.text._ZN2at6native16triu_tril_kernelIflLb0ELi2ELb0EEEvNS_4cuda6detail10TensorInfoIT_T0_EENS4_IKS5_S6_EEllS6_,"axG",@progbits,_ZN2at6native16triu_tril_kernelIflLb0ELi2ELb0EEEvNS_4cuda6detail10TensorInfoIT_T0_EENS4_IKS5_S6_EEllS6_,comdat
.Lfunc_end27:
	.size	_ZN2at6native16triu_tril_kernelIflLb0ELi2ELb0EEEvNS_4cuda6detail10TensorInfoIT_T0_EENS4_IKS5_S6_EEllS6_, .Lfunc_end27-_ZN2at6native16triu_tril_kernelIflLb0ELi2ELb0EEEvNS_4cuda6detail10TensorInfoIT_T0_EENS4_IKS5_S6_EEllS6_
                                        ; -- End function
	.set _ZN2at6native16triu_tril_kernelIflLb0ELi2ELb0EEEvNS_4cuda6detail10TensorInfoIT_T0_EENS4_IKS5_S6_EEllS6_.num_vgpr, 26
	.set _ZN2at6native16triu_tril_kernelIflLb0ELi2ELb0EEEvNS_4cuda6detail10TensorInfoIT_T0_EENS4_IKS5_S6_EEllS6_.num_agpr, 0
	.set _ZN2at6native16triu_tril_kernelIflLb0ELi2ELb0EEEvNS_4cuda6detail10TensorInfoIT_T0_EENS4_IKS5_S6_EEllS6_.numbered_sgpr, 73
	.set _ZN2at6native16triu_tril_kernelIflLb0ELi2ELb0EEEvNS_4cuda6detail10TensorInfoIT_T0_EENS4_IKS5_S6_EEllS6_.num_named_barrier, 0
	.set _ZN2at6native16triu_tril_kernelIflLb0ELi2ELb0EEEvNS_4cuda6detail10TensorInfoIT_T0_EENS4_IKS5_S6_EEllS6_.private_seg_size, 0
	.set _ZN2at6native16triu_tril_kernelIflLb0ELi2ELb0EEEvNS_4cuda6detail10TensorInfoIT_T0_EENS4_IKS5_S6_EEllS6_.uses_vcc, 1
	.set _ZN2at6native16triu_tril_kernelIflLb0ELi2ELb0EEEvNS_4cuda6detail10TensorInfoIT_T0_EENS4_IKS5_S6_EEllS6_.uses_flat_scratch, 0
	.set _ZN2at6native16triu_tril_kernelIflLb0ELi2ELb0EEEvNS_4cuda6detail10TensorInfoIT_T0_EENS4_IKS5_S6_EEllS6_.has_dyn_sized_stack, 0
	.set _ZN2at6native16triu_tril_kernelIflLb0ELi2ELb0EEEvNS_4cuda6detail10TensorInfoIT_T0_EENS4_IKS5_S6_EEllS6_.has_recursion, 0
	.set _ZN2at6native16triu_tril_kernelIflLb0ELi2ELb0EEEvNS_4cuda6detail10TensorInfoIT_T0_EENS4_IKS5_S6_EEllS6_.has_indirect_call, 0
	.section	.AMDGPU.csdata,"",@progbits
; Kernel info:
; codeLenInByte = 4988
; TotalNumSgprs: 77
; NumVgprs: 26
; ScratchSize: 0
; MemoryBound: 0
; FloatMode: 240
; IeeeMode: 1
; LDSByteSize: 0 bytes/workgroup (compile time only)
; SGPRBlocks: 9
; VGPRBlocks: 6
; NumSGPRsForWavesPerEU: 77
; NumVGPRsForWavesPerEU: 26
; Occupancy: 9
; WaveLimiterHint : 0
; COMPUTE_PGM_RSRC2:SCRATCH_EN: 0
; COMPUTE_PGM_RSRC2:USER_SGPR: 6
; COMPUTE_PGM_RSRC2:TRAP_HANDLER: 0
; COMPUTE_PGM_RSRC2:TGID_X_EN: 1
; COMPUTE_PGM_RSRC2:TGID_Y_EN: 0
; COMPUTE_PGM_RSRC2:TGID_Z_EN: 0
; COMPUTE_PGM_RSRC2:TIDIG_COMP_CNT: 0
	.section	.text._ZN2at6native16triu_tril_kernelIN3c107complexIdEEiLb0ELi1ELb1EEEvNS_4cuda6detail10TensorInfoIT_T0_EENS7_IKS8_S9_EEllS9_,"axG",@progbits,_ZN2at6native16triu_tril_kernelIN3c107complexIdEEiLb0ELi1ELb1EEEvNS_4cuda6detail10TensorInfoIT_T0_EENS7_IKS8_S9_EEllS9_,comdat
	.protected	_ZN2at6native16triu_tril_kernelIN3c107complexIdEEiLb0ELi1ELb1EEEvNS_4cuda6detail10TensorInfoIT_T0_EENS7_IKS8_S9_EEllS9_ ; -- Begin function _ZN2at6native16triu_tril_kernelIN3c107complexIdEEiLb0ELi1ELb1EEEvNS_4cuda6detail10TensorInfoIT_T0_EENS7_IKS8_S9_EEllS9_
	.globl	_ZN2at6native16triu_tril_kernelIN3c107complexIdEEiLb0ELi1ELb1EEEvNS_4cuda6detail10TensorInfoIT_T0_EENS7_IKS8_S9_EEllS9_
	.p2align	8
	.type	_ZN2at6native16triu_tril_kernelIN3c107complexIdEEiLb0ELi1ELb1EEEvNS_4cuda6detail10TensorInfoIT_T0_EENS7_IKS8_S9_EEllS9_,@function
_ZN2at6native16triu_tril_kernelIN3c107complexIdEEiLb0ELi1ELb1EEEvNS_4cuda6detail10TensorInfoIT_T0_EENS7_IKS8_S9_EEllS9_: ; @_ZN2at6native16triu_tril_kernelIN3c107complexIdEEiLb0ELi1ELb1EEEvNS_4cuda6detail10TensorInfoIT_T0_EENS7_IKS8_S9_EEllS9_
; %bb.0:
	s_load_dword s2, s[4:5], 0x1d4
	s_load_dwordx4 s[8:11], s[4:5], 0x1b0
	s_add_u32 s0, s4, 0x1c8
	v_mov_b32_e32 v2, 0
	s_addc_u32 s1, s5, 0
	s_waitcnt lgkmcnt(0)
	s_and_b32 s16, s2, 0xffff
	v_mov_b32_e32 v1, v2
	v_mov_b32_e32 v3, s6
	v_mad_u64_u32 v[0:1], s[2:3], s16, v3, v[0:1]
	v_cmp_gt_i64_e32 vcc, s[10:11], v[0:1]
	s_and_saveexec_b64 s[2:3], vcc
	s_cbranch_execz .LBB28_59
; %bb.1:
	s_load_dword s33, s[4:5], 0x1c0
	s_load_dword s18, s[4:5], 0x1a8
	s_add_u32 s40, s4, 0xd8
	s_addc_u32 s41, s5, 0
	s_load_dwordx2 s[12:13], s[4:5], 0x0
	s_waitcnt lgkmcnt(0)
	s_ashr_i32 s42, s33, 31
	s_ashr_i32 s19, s18, 31
	s_lshl_b64 s[14:15], s[18:19], 2
	s_add_u32 s2, s40, s14
	s_addc_u32 s3, s41, s15
	s_load_dword s43, s[2:3], 0x0
	s_load_dword s17, s[0:1], 0x0
	v_cmp_gt_i64_e64 s[6:7], s[18:19], 2
	s_mov_b64 s[22:23], 0
	s_waitcnt lgkmcnt(0)
	s_ashr_i32 s44, s43, 31
	s_add_u32 s14, s4, s14
	s_addc_u32 s15, s5, s15
	s_add_i32 s0, s18, 6
	s_add_i32 s45, s18, -3
	s_and_b32 s47, s0, 7
	s_and_b32 s0, s18, 7
	s_cmp_lg_u32 s0, 2
	s_cselect_b64 s[18:19], -1, 0
	s_cmp_gt_u32 s45, 6
	s_mul_i32 s46, s17, s16
	s_mov_b32 s17, 0
	s_cselect_b64 s[20:21], -1, 0
	s_ashr_i32 s24, s42, 31
	s_branch .LBB28_3
.LBB28_2:                               ;   in Loop: Header=BB28_3 Depth=1
	s_or_b64 exec, exec, s[26:27]
	v_add_co_u32_e32 v0, vcc, s46, v0
	v_addc_co_u32_e32 v1, vcc, 0, v1, vcc
	v_cmp_le_i64_e32 vcc, s[10:11], v[0:1]
	s_or_b64 s[22:23], vcc, s[22:23]
	s_andn2_b64 exec, exec, s[22:23]
	s_cbranch_execz .LBB28_59
.LBB28_3:                               ; =>This Loop Header: Depth=1
                                        ;     Child Loop BB28_14 Depth 2
                                        ;     Child Loop BB28_23 Depth 2
	v_or_b32_e32 v3, s42, v1
	v_cmp_ne_u64_e32 vcc, 0, v[2:3]
                                        ; implicit-def: $vgpr4_vgpr5
	s_and_saveexec_b64 s[0:1], vcc
	s_xor_b64 s[26:27], exec, s[0:1]
	s_cbranch_execz .LBB28_5
; %bb.4:                                ;   in Loop: Header=BB28_3 Depth=1
	s_add_u32 s0, s33, s24
	s_mov_b32 s25, s24
	s_addc_u32 s1, s42, s24
	s_xor_b64 s[28:29], s[0:1], s[24:25]
	v_cvt_f32_u32_e32 v3, s28
	v_cvt_f32_u32_e32 v4, s29
	s_sub_u32 s16, 0, s28
	s_subb_u32 s25, 0, s29
	v_ashrrev_i32_e32 v7, 31, v1
	v_mac_f32_e32 v3, 0x4f800000, v4
	v_rcp_f32_e32 v3, v3
	v_mul_f32_e32 v3, 0x5f7ffffc, v3
	v_mul_f32_e32 v4, 0x2f800000, v3
	v_trunc_f32_e32 v4, v4
	v_mac_f32_e32 v3, 0xcf800000, v4
	v_cvt_u32_f32_e32 v4, v4
	v_cvt_u32_f32_e32 v3, v3
	v_readfirstlane_b32 s30, v4
	v_readfirstlane_b32 s0, v3
	s_mul_i32 s1, s16, s30
	s_mul_hi_u32 s34, s16, s0
	s_mul_i32 s31, s25, s0
	s_add_i32 s1, s34, s1
	s_add_i32 s1, s1, s31
	s_mul_i32 s35, s16, s0
	s_mul_i32 s34, s0, s1
	s_mul_hi_u32 s36, s0, s35
	s_mul_hi_u32 s31, s0, s1
	s_add_u32 s34, s36, s34
	s_addc_u32 s31, 0, s31
	s_mul_hi_u32 s37, s30, s35
	s_mul_i32 s35, s30, s35
	s_add_u32 s34, s34, s35
	s_mul_hi_u32 s36, s30, s1
	s_addc_u32 s31, s31, s37
	s_addc_u32 s34, s36, 0
	s_mul_i32 s1, s30, s1
	s_add_u32 s1, s31, s1
	s_addc_u32 s31, 0, s34
	s_add_u32 s34, s0, s1
	s_cselect_b64 s[0:1], -1, 0
	s_cmp_lg_u64 s[0:1], 0
	s_addc_u32 s30, s30, s31
	s_mul_i32 s0, s16, s30
	s_mul_hi_u32 s1, s16, s34
	s_add_i32 s0, s1, s0
	s_mul_i32 s25, s25, s34
	s_add_i32 s0, s0, s25
	s_mul_i32 s16, s16, s34
	s_mul_hi_u32 s25, s30, s16
	s_mul_i32 s31, s30, s16
	s_mul_i32 s36, s34, s0
	s_mul_hi_u32 s16, s34, s16
	s_mul_hi_u32 s35, s34, s0
	s_add_u32 s16, s16, s36
	s_addc_u32 s35, 0, s35
	s_add_u32 s16, s16, s31
	s_mul_hi_u32 s1, s30, s0
	s_addc_u32 s16, s35, s25
	s_addc_u32 s1, s1, 0
	s_mul_i32 s0, s30, s0
	s_add_u32 s0, s16, s0
	s_addc_u32 s16, 0, s1
	s_add_u32 s25, s34, s0
	s_cselect_b64 s[0:1], -1, 0
	s_cmp_lg_u64 s[0:1], 0
	v_add_co_u32_e32 v3, vcc, v0, v7
	s_addc_u32 s16, s30, s16
	v_xor_b32_e32 v8, v3, v7
	v_mad_u64_u32 v[3:4], s[0:1], v8, s16, 0
	v_mul_hi_u32 v6, v8, s25
	v_addc_co_u32_e32 v5, vcc, v1, v7, vcc
	v_xor_b32_e32 v9, v5, v7
	v_add_co_u32_e32 v10, vcc, v6, v3
	v_addc_co_u32_e32 v11, vcc, 0, v4, vcc
	v_mad_u64_u32 v[3:4], s[0:1], v9, s25, 0
	v_mad_u64_u32 v[5:6], s[0:1], v9, s16, 0
	v_add_co_u32_e32 v3, vcc, v10, v3
	v_addc_co_u32_e32 v3, vcc, v11, v4, vcc
	v_addc_co_u32_e32 v4, vcc, 0, v6, vcc
	v_add_co_u32_e32 v5, vcc, v3, v5
	v_addc_co_u32_e32 v6, vcc, 0, v4, vcc
	v_mul_lo_u32 v10, s29, v5
	v_mul_lo_u32 v11, s28, v6
	v_mad_u64_u32 v[3:4], s[0:1], s28, v5, 0
	v_add3_u32 v4, v4, v11, v10
	v_sub_u32_e32 v10, v9, v4
	v_mov_b32_e32 v11, s29
	v_sub_co_u32_e32 v3, vcc, v8, v3
	v_subb_co_u32_e64 v8, s[0:1], v10, v11, vcc
	v_subrev_co_u32_e64 v10, s[0:1], s28, v3
	v_subbrev_co_u32_e64 v8, s[0:1], 0, v8, s[0:1]
	v_cmp_le_u32_e64 s[0:1], s29, v8
	v_cndmask_b32_e64 v11, 0, -1, s[0:1]
	v_cmp_le_u32_e64 s[0:1], s28, v10
	v_cndmask_b32_e64 v10, 0, -1, s[0:1]
	v_cmp_eq_u32_e64 s[0:1], s29, v8
	v_cndmask_b32_e64 v8, v11, v10, s[0:1]
	v_add_co_u32_e64 v10, s[0:1], 2, v5
	v_subb_co_u32_e32 v4, vcc, v9, v4, vcc
	v_addc_co_u32_e64 v11, s[0:1], 0, v6, s[0:1]
	v_cmp_le_u32_e32 vcc, s29, v4
	v_add_co_u32_e64 v12, s[0:1], 1, v5
	v_cndmask_b32_e64 v9, 0, -1, vcc
	v_cmp_le_u32_e32 vcc, s28, v3
	v_addc_co_u32_e64 v13, s[0:1], 0, v6, s[0:1]
	v_cndmask_b32_e64 v3, 0, -1, vcc
	v_cmp_eq_u32_e32 vcc, s29, v4
	v_cmp_ne_u32_e64 s[0:1], 0, v8
	v_cndmask_b32_e32 v3, v9, v3, vcc
	v_cmp_ne_u32_e32 vcc, 0, v3
	v_cndmask_b32_e64 v4, v12, v10, s[0:1]
	v_cndmask_b32_e64 v8, v13, v11, s[0:1]
	v_cndmask_b32_e32 v4, v5, v4, vcc
	v_xor_b32_e32 v5, s24, v7
	v_cndmask_b32_e32 v3, v6, v8, vcc
	v_xor_b32_e32 v4, v4, v5
	v_xor_b32_e32 v3, v3, v5
	v_sub_co_u32_e32 v4, vcc, v4, v5
	v_subb_co_u32_e32 v5, vcc, v3, v5, vcc
.LBB28_5:                               ;   in Loop: Header=BB28_3 Depth=1
	s_andn2_saveexec_b64 s[0:1], s[26:27]
	s_cbranch_execz .LBB28_7
; %bb.6:                                ;   in Loop: Header=BB28_3 Depth=1
	v_cvt_f32_u32_e32 v3, s33
	s_sub_i32 s16, 0, s33
	v_rcp_iflag_f32_e32 v3, v3
	v_mul_f32_e32 v3, 0x4f7ffffe, v3
	v_cvt_u32_f32_e32 v3, v3
	v_mul_lo_u32 v4, s16, v3
	v_mul_hi_u32 v4, v3, v4
	v_add_u32_e32 v3, v3, v4
	v_mul_hi_u32 v3, v0, v3
	v_mul_lo_u32 v4, v3, s33
	v_add_u32_e32 v5, 1, v3
	v_sub_u32_e32 v4, v0, v4
	v_subrev_u32_e32 v6, s33, v4
	v_cmp_le_u32_e32 vcc, s33, v4
	v_cndmask_b32_e32 v4, v4, v6, vcc
	v_cndmask_b32_e32 v3, v3, v5, vcc
	v_add_u32_e32 v5, 1, v3
	v_cmp_le_u32_e32 vcc, s33, v4
	v_cndmask_b32_e32 v4, v3, v5, vcc
	v_mov_b32_e32 v5, v2
.LBB28_7:                               ;   in Loop: Header=BB28_3 Depth=1
	s_or_b64 exec, exec, s[0:1]
	v_or_b32_e32 v3, s44, v5
	v_cmp_ne_u64_e32 vcc, 0, v[2:3]
                                        ; implicit-def: $vgpr8_vgpr9
	s_and_saveexec_b64 s[0:1], vcc
	s_xor_b64 s[26:27], exec, s[0:1]
	s_cbranch_execz .LBB28_9
; %bb.8:                                ;   in Loop: Header=BB28_3 Depth=1
	s_ashr_i32 s28, s44, 31
	s_add_u32 s0, s43, s28
	s_mov_b32 s29, s28
	s_addc_u32 s1, s44, s28
	s_xor_b64 s[30:31], s[0:1], s[28:29]
	v_cvt_f32_u32_e32 v3, s30
	v_cvt_f32_u32_e32 v6, s31
	s_sub_u32 s16, 0, s30
	s_subb_u32 s25, 0, s31
	v_mac_f32_e32 v3, 0x4f800000, v6
	v_rcp_f32_e32 v3, v3
	v_mul_f32_e32 v3, 0x5f7ffffc, v3
	v_mul_f32_e32 v6, 0x2f800000, v3
	v_trunc_f32_e32 v6, v6
	v_mac_f32_e32 v3, 0xcf800000, v6
	v_cvt_u32_f32_e32 v6, v6
	v_cvt_u32_f32_e32 v3, v3
	v_readfirstlane_b32 s29, v6
	v_readfirstlane_b32 s0, v3
	s_mul_i32 s1, s16, s29
	s_mul_hi_u32 s35, s16, s0
	s_mul_i32 s34, s25, s0
	s_add_i32 s1, s35, s1
	s_add_i32 s1, s1, s34
	s_mul_i32 s36, s16, s0
	s_mul_i32 s35, s0, s1
	s_mul_hi_u32 s37, s0, s36
	s_mul_hi_u32 s34, s0, s1
	s_add_u32 s35, s37, s35
	s_addc_u32 s34, 0, s34
	s_mul_hi_u32 s38, s29, s36
	s_mul_i32 s36, s29, s36
	s_add_u32 s35, s35, s36
	s_mul_hi_u32 s37, s29, s1
	s_addc_u32 s34, s34, s38
	s_addc_u32 s35, s37, 0
	s_mul_i32 s1, s29, s1
	s_add_u32 s1, s34, s1
	s_addc_u32 s34, 0, s35
	s_add_u32 s35, s0, s1
	s_cselect_b64 s[0:1], -1, 0
	s_cmp_lg_u64 s[0:1], 0
	s_addc_u32 s29, s29, s34
	s_mul_i32 s0, s16, s29
	s_mul_hi_u32 s1, s16, s35
	s_add_i32 s0, s1, s0
	s_mul_i32 s25, s25, s35
	s_add_i32 s0, s0, s25
	s_mul_i32 s16, s16, s35
	s_mul_hi_u32 s25, s29, s16
	s_mul_i32 s34, s29, s16
	s_mul_i32 s37, s35, s0
	s_mul_hi_u32 s16, s35, s16
	s_mul_hi_u32 s36, s35, s0
	s_add_u32 s16, s16, s37
	s_addc_u32 s36, 0, s36
	s_add_u32 s16, s16, s34
	s_mul_hi_u32 s1, s29, s0
	s_addc_u32 s16, s36, s25
	s_addc_u32 s1, s1, 0
	s_mul_i32 s0, s29, s0
	s_add_u32 s0, s16, s0
	s_addc_u32 s16, 0, s1
	s_add_u32 s25, s35, s0
	s_cselect_b64 s[0:1], -1, 0
	v_ashrrev_i32_e32 v3, 31, v5
	s_cmp_lg_u64 s[0:1], 0
	v_add_co_u32_e32 v6, vcc, v4, v3
	s_addc_u32 s16, s29, s16
	v_xor_b32_e32 v9, v6, v3
	v_addc_co_u32_e32 v7, vcc, v5, v3, vcc
	v_mad_u64_u32 v[5:6], s[0:1], v9, s16, 0
	v_mul_hi_u32 v8, v9, s25
	v_xor_b32_e32 v10, v7, v3
	v_xor_b32_e32 v3, s28, v3
	v_add_co_u32_e32 v11, vcc, v8, v5
	v_addc_co_u32_e32 v12, vcc, 0, v6, vcc
	v_mad_u64_u32 v[5:6], s[0:1], v10, s25, 0
	v_mad_u64_u32 v[7:8], s[0:1], v10, s16, 0
	v_add_co_u32_e32 v5, vcc, v11, v5
	v_addc_co_u32_e32 v5, vcc, v12, v6, vcc
	v_addc_co_u32_e32 v6, vcc, 0, v8, vcc
	v_add_co_u32_e32 v7, vcc, v5, v7
	v_addc_co_u32_e32 v8, vcc, 0, v6, vcc
	v_mul_lo_u32 v11, s31, v7
	v_mul_lo_u32 v12, s30, v8
	v_mad_u64_u32 v[5:6], s[0:1], s30, v7, 0
	v_add3_u32 v6, v6, v12, v11
	v_sub_u32_e32 v11, v10, v6
	v_mov_b32_e32 v12, s31
	v_sub_co_u32_e32 v5, vcc, v9, v5
	v_subb_co_u32_e64 v9, s[0:1], v11, v12, vcc
	v_subrev_co_u32_e64 v11, s[0:1], s30, v5
	v_subbrev_co_u32_e64 v9, s[0:1], 0, v9, s[0:1]
	v_cmp_le_u32_e64 s[0:1], s31, v9
	v_cndmask_b32_e64 v12, 0, -1, s[0:1]
	v_cmp_le_u32_e64 s[0:1], s30, v11
	v_cndmask_b32_e64 v11, 0, -1, s[0:1]
	v_cmp_eq_u32_e64 s[0:1], s31, v9
	v_cndmask_b32_e64 v9, v12, v11, s[0:1]
	v_add_co_u32_e64 v11, s[0:1], 2, v7
	v_subb_co_u32_e32 v6, vcc, v10, v6, vcc
	v_addc_co_u32_e64 v12, s[0:1], 0, v8, s[0:1]
	v_cmp_le_u32_e32 vcc, s31, v6
	v_add_co_u32_e64 v13, s[0:1], 1, v7
	v_cndmask_b32_e64 v10, 0, -1, vcc
	v_cmp_le_u32_e32 vcc, s30, v5
	v_addc_co_u32_e64 v14, s[0:1], 0, v8, s[0:1]
	v_cndmask_b32_e64 v5, 0, -1, vcc
	v_cmp_eq_u32_e32 vcc, s31, v6
	v_cmp_ne_u32_e64 s[0:1], 0, v9
	v_cndmask_b32_e32 v5, v10, v5, vcc
	v_cmp_ne_u32_e32 vcc, 0, v5
	v_cndmask_b32_e64 v6, v13, v11, s[0:1]
	v_cndmask_b32_e64 v9, v14, v12, s[0:1]
	v_cndmask_b32_e32 v6, v7, v6, vcc
	v_cndmask_b32_e32 v5, v8, v9, vcc
	v_xor_b32_e32 v6, v6, v3
	v_xor_b32_e32 v5, v5, v3
	v_sub_co_u32_e32 v8, vcc, v6, v3
	v_subb_co_u32_e32 v9, vcc, v5, v3, vcc
.LBB28_9:                               ;   in Loop: Header=BB28_3 Depth=1
	s_andn2_saveexec_b64 s[0:1], s[26:27]
	s_cbranch_execz .LBB28_11
; %bb.10:                               ;   in Loop: Header=BB28_3 Depth=1
	v_cvt_f32_u32_e32 v3, s43
	s_sub_i32 s16, 0, s43
	v_mov_b32_e32 v9, v2
	v_rcp_iflag_f32_e32 v3, v3
	v_mul_f32_e32 v3, 0x4f7ffffe, v3
	v_cvt_u32_f32_e32 v3, v3
	v_mul_lo_u32 v5, s16, v3
	v_mul_hi_u32 v5, v3, v5
	v_add_u32_e32 v3, v3, v5
	v_mul_hi_u32 v3, v4, v3
	v_mul_lo_u32 v5, v3, s43
	v_add_u32_e32 v6, 1, v3
	v_sub_u32_e32 v5, v4, v5
	v_subrev_u32_e32 v7, s43, v5
	v_cmp_le_u32_e32 vcc, s43, v5
	v_cndmask_b32_e32 v5, v5, v7, vcc
	v_cndmask_b32_e32 v3, v3, v6, vcc
	v_add_u32_e32 v6, 1, v3
	v_cmp_le_u32_e32 vcc, s43, v5
	v_cndmask_b32_e32 v8, v3, v6, vcc
.LBB28_11:                              ;   in Loop: Header=BB28_3 Depth=1
	s_or_b64 exec, exec, s[0:1]
	v_mad_u64_u32 v[5:6], s[0:1], v4, s33, 0
	v_mad_u64_u32 v[6:7], s[0:1], v8, s43, 0
	v_sub_co_u32_e32 v26, vcc, v0, v5
	v_sub_co_u32_e32 v3, vcc, v4, v6
	v_sub_u32_e32 v4, v26, v3
	v_add_u32_e32 v5, 1, v4
	v_ashrrev_i32_e32 v6, 31, v5
	v_cmp_lt_i64_e32 vcc, s[8:9], v[5:6]
	s_and_saveexec_b64 s[26:27], vcc
	s_cbranch_execz .LBB28_2
; %bb.12:                               ;   in Loop: Header=BB28_3 Depth=1
	s_load_dwordx2 s[0:1], s[14:15], 0x64
	s_andn2_b64 vcc, exec, s[6:7]
	s_waitcnt lgkmcnt(0)
	v_mul_lo_u32 v5, s1, v26
	v_mad_u64_u32 v[6:7], s[0:1], s0, v3, v[5:6]
	s_cbranch_vccnz .LBB28_57
; %bb.13:                               ;   in Loop: Header=BB28_3 Depth=1
	s_andn2_b64 vcc, exec, s[18:19]
	s_mov_b32 s25, s47
	s_mov_b32 s16, s45
	;; [unrolled: 1-line block ×3, first 2 shown]
	s_cbranch_vccnz .LBB28_21
.LBB28_14:                              ;   Parent Loop BB28_3 Depth=1
                                        ; =>  This Inner Loop Header: Depth=2
	s_lshl_b64 s[28:29], s[16:17], 2
	s_add_u32 s0, s40, s28
	s_addc_u32 s1, s41, s29
	s_load_dword s38, s[0:1], 0x8
                                        ; implicit-def: $vgpr10_vgpr11
	s_waitcnt lgkmcnt(0)
	s_ashr_i32 s0, s38, 31
	v_or_b32_e32 v3, s0, v9
	v_cmp_ne_u64_e32 vcc, 0, v[2:3]
	s_and_saveexec_b64 s[30:31], vcc
	s_xor_b64 s[30:31], exec, s[30:31]
	s_cbranch_execz .LBB28_16
; %bb.15:                               ;   in Loop: Header=BB28_14 Depth=2
	s_ashr_i32 s34, s0, 31
	s_add_u32 s36, s38, s34
	s_mov_b32 s35, s34
	s_addc_u32 s37, s0, s34
	s_xor_b64 s[36:37], s[36:37], s[34:35]
	v_cvt_f32_u32_e32 v3, s36
	v_cvt_f32_u32_e32 v5, s37
	s_sub_u32 s35, 0, s36
	s_subb_u32 s39, 0, s37
	v_mac_f32_e32 v3, 0x4f800000, v5
	v_rcp_f32_e32 v3, v3
	v_mul_f32_e32 v3, 0x5f7ffffc, v3
	v_mul_f32_e32 v5, 0x2f800000, v3
	v_trunc_f32_e32 v5, v5
	v_mac_f32_e32 v3, 0xcf800000, v5
	v_cvt_u32_f32_e32 v5, v5
	v_cvt_u32_f32_e32 v3, v3
	v_readfirstlane_b32 s48, v5
	v_readfirstlane_b32 s0, v3
	s_mul_i32 s1, s35, s48
	s_mul_hi_u32 s50, s35, s0
	s_mul_i32 s49, s39, s0
	s_add_i32 s1, s50, s1
	s_add_i32 s1, s1, s49
	s_mul_i32 s51, s35, s0
	s_mul_i32 s50, s0, s1
	s_mul_hi_u32 s52, s0, s51
	s_mul_hi_u32 s49, s0, s1
	s_add_u32 s50, s52, s50
	s_addc_u32 s49, 0, s49
	s_mul_hi_u32 s53, s48, s51
	s_mul_i32 s51, s48, s51
	s_add_u32 s50, s50, s51
	s_mul_hi_u32 s52, s48, s1
	s_addc_u32 s49, s49, s53
	s_addc_u32 s50, s52, 0
	s_mul_i32 s1, s48, s1
	s_add_u32 s1, s49, s1
	s_addc_u32 s49, 0, s50
	s_add_u32 s50, s0, s1
	s_cselect_b64 s[0:1], -1, 0
	s_cmp_lg_u64 s[0:1], 0
	s_addc_u32 s48, s48, s49
	s_mul_i32 s0, s35, s48
	s_mul_hi_u32 s1, s35, s50
	s_add_i32 s0, s1, s0
	s_mul_i32 s39, s39, s50
	s_add_i32 s0, s0, s39
	s_mul_i32 s35, s35, s50
	s_mul_hi_u32 s39, s48, s35
	s_mul_i32 s49, s48, s35
	s_mul_i32 s52, s50, s0
	s_mul_hi_u32 s35, s50, s35
	s_mul_hi_u32 s51, s50, s0
	s_add_u32 s35, s35, s52
	s_addc_u32 s51, 0, s51
	s_add_u32 s35, s35, s49
	s_mul_hi_u32 s1, s48, s0
	s_addc_u32 s35, s51, s39
	s_addc_u32 s1, s1, 0
	s_mul_i32 s0, s48, s0
	s_add_u32 s0, s35, s0
	s_addc_u32 s35, 0, s1
	s_add_u32 s39, s50, s0
	s_cselect_b64 s[0:1], -1, 0
	v_ashrrev_i32_e32 v3, 31, v9
	s_cmp_lg_u64 s[0:1], 0
	v_add_co_u32_e32 v5, vcc, v8, v3
	s_addc_u32 s35, s48, s35
	v_xor_b32_e32 v5, v5, v3
	v_addc_co_u32_e32 v7, vcc, v9, v3, vcc
	v_mad_u64_u32 v[9:10], s[0:1], v5, s35, 0
	v_mul_hi_u32 v11, v5, s39
	v_xor_b32_e32 v7, v7, v3
	v_xor_b32_e32 v3, s34, v3
	v_add_co_u32_e32 v13, vcc, v11, v9
	v_addc_co_u32_e32 v14, vcc, 0, v10, vcc
	v_mad_u64_u32 v[9:10], s[0:1], v7, s39, 0
	v_mad_u64_u32 v[11:12], s[0:1], v7, s35, 0
	v_add_co_u32_e32 v9, vcc, v13, v9
	v_addc_co_u32_e32 v9, vcc, v14, v10, vcc
	v_addc_co_u32_e32 v10, vcc, 0, v12, vcc
	v_add_co_u32_e32 v11, vcc, v9, v11
	v_addc_co_u32_e32 v12, vcc, 0, v10, vcc
	v_mul_lo_u32 v13, s37, v11
	v_mul_lo_u32 v14, s36, v12
	v_mad_u64_u32 v[9:10], s[0:1], s36, v11, 0
	v_add3_u32 v10, v10, v14, v13
	v_sub_u32_e32 v13, v7, v10
	v_mov_b32_e32 v14, s37
	v_sub_co_u32_e32 v5, vcc, v5, v9
	v_subb_co_u32_e64 v9, s[0:1], v13, v14, vcc
	v_subrev_co_u32_e64 v13, s[0:1], s36, v5
	v_subbrev_co_u32_e64 v9, s[0:1], 0, v9, s[0:1]
	v_cmp_le_u32_e64 s[0:1], s37, v9
	v_cndmask_b32_e64 v14, 0, -1, s[0:1]
	v_cmp_le_u32_e64 s[0:1], s36, v13
	v_cndmask_b32_e64 v13, 0, -1, s[0:1]
	v_cmp_eq_u32_e64 s[0:1], s37, v9
	v_cndmask_b32_e64 v9, v14, v13, s[0:1]
	v_add_co_u32_e64 v13, s[0:1], 2, v11
	v_subb_co_u32_e32 v7, vcc, v7, v10, vcc
	v_addc_co_u32_e64 v14, s[0:1], 0, v12, s[0:1]
	v_cmp_le_u32_e32 vcc, s37, v7
	v_add_co_u32_e64 v15, s[0:1], 1, v11
	v_cndmask_b32_e64 v10, 0, -1, vcc
	v_cmp_le_u32_e32 vcc, s36, v5
	v_addc_co_u32_e64 v16, s[0:1], 0, v12, s[0:1]
	v_cndmask_b32_e64 v5, 0, -1, vcc
	v_cmp_eq_u32_e32 vcc, s37, v7
	v_cmp_ne_u32_e64 s[0:1], 0, v9
	v_cndmask_b32_e32 v5, v10, v5, vcc
	v_cmp_ne_u32_e32 vcc, 0, v5
	v_cndmask_b32_e64 v7, v15, v13, s[0:1]
	v_cndmask_b32_e64 v9, v16, v14, s[0:1]
	v_cndmask_b32_e32 v7, v11, v7, vcc
	v_cndmask_b32_e32 v5, v12, v9, vcc
	v_xor_b32_e32 v7, v7, v3
	v_xor_b32_e32 v5, v5, v3
	v_sub_co_u32_e32 v10, vcc, v7, v3
	v_subb_co_u32_e32 v11, vcc, v5, v3, vcc
.LBB28_16:                              ;   in Loop: Header=BB28_14 Depth=2
	s_andn2_saveexec_b64 s[0:1], s[30:31]
	s_cbranch_execz .LBB28_18
; %bb.17:                               ;   in Loop: Header=BB28_14 Depth=2
	v_cvt_f32_u32_e32 v3, s38
	s_sub_i32 s30, 0, s38
	v_mov_b32_e32 v11, v2
	v_rcp_iflag_f32_e32 v3, v3
	v_mul_f32_e32 v3, 0x4f7ffffe, v3
	v_cvt_u32_f32_e32 v3, v3
	v_mul_lo_u32 v5, s30, v3
	v_mul_hi_u32 v5, v3, v5
	v_add_u32_e32 v3, v3, v5
	v_mul_hi_u32 v3, v8, v3
	v_mul_lo_u32 v5, v3, s38
	v_add_u32_e32 v7, 1, v3
	v_sub_u32_e32 v5, v8, v5
	v_subrev_u32_e32 v9, s38, v5
	v_cmp_le_u32_e32 vcc, s38, v5
	v_cndmask_b32_e32 v5, v5, v9, vcc
	v_cndmask_b32_e32 v3, v3, v7, vcc
	v_add_u32_e32 v7, 1, v3
	v_cmp_le_u32_e32 vcc, s38, v5
	v_cndmask_b32_e32 v10, v3, v7, vcc
.LBB28_18:                              ;   in Loop: Header=BB28_14 Depth=2
	s_or_b64 exec, exec, s[0:1]
	s_add_u32 s0, s4, s28
	s_addc_u32 s1, s5, s29
	v_mul_lo_u32 v3, v10, s38
	s_load_dword s0, s[0:1], 0x6c
	s_add_i32 s16, s16, -1
	s_add_i32 s25, s25, -1
	v_sub_u32_e32 v3, v8, v3
	s_cmp_lg_u32 s25, 0
	s_waitcnt lgkmcnt(0)
	v_mad_u64_u32 v[6:7], s[0:1], s0, v3, v[6:7]
	s_cbranch_scc0 .LBB28_20
; %bb.19:                               ;   in Loop: Header=BB28_14 Depth=2
	v_mov_b32_e32 v8, v10
	v_mov_b32_e32 v9, v11
	s_branch .LBB28_14
.LBB28_20:                              ;   in Loop: Header=BB28_3 Depth=1
	v_mov_b32_e32 v8, v10
	s_mov_b32 s0, s16
	v_mov_b32_e32 v9, v11
.LBB28_21:                              ;   in Loop: Header=BB28_3 Depth=1
	s_andn2_b64 vcc, exec, s[20:21]
	s_cbranch_vccnz .LBB28_57
; %bb.22:                               ;   in Loop: Header=BB28_3 Depth=1
	s_add_i32 s28, s0, -7
.LBB28_23:                              ;   Parent Loop BB28_3 Depth=1
                                        ; =>  This Inner Loop Header: Depth=2
	s_add_i32 s16, s28, 7
	s_lshl_b64 s[30:31], s[16:17], 2
	s_add_u32 s0, s40, s30
	s_addc_u32 s1, s41, s31
	s_load_dword s25, s[0:1], 0x8
                                        ; implicit-def: $vgpr10_vgpr11
	s_waitcnt lgkmcnt(0)
	s_ashr_i32 s0, s25, 31
	v_or_b32_e32 v3, s0, v9
	v_cmp_ne_u64_e32 vcc, 0, v[2:3]
	s_and_saveexec_b64 s[34:35], vcc
	s_xor_b64 s[34:35], exec, s[34:35]
	s_cbranch_execz .LBB28_25
; %bb.24:                               ;   in Loop: Header=BB28_23 Depth=2
	s_ashr_i32 s36, s0, 31
	s_add_u32 s38, s25, s36
	s_mov_b32 s37, s36
	s_addc_u32 s39, s0, s36
	s_xor_b64 s[38:39], s[38:39], s[36:37]
	v_cvt_f32_u32_e32 v3, s38
	v_cvt_f32_u32_e32 v5, s39
	s_sub_u32 s16, 0, s38
	s_subb_u32 s29, 0, s39
	v_mac_f32_e32 v3, 0x4f800000, v5
	v_rcp_f32_e32 v3, v3
	v_mul_f32_e32 v3, 0x5f7ffffc, v3
	v_mul_f32_e32 v5, 0x2f800000, v3
	v_trunc_f32_e32 v5, v5
	v_mac_f32_e32 v3, 0xcf800000, v5
	v_cvt_u32_f32_e32 v5, v5
	v_cvt_u32_f32_e32 v3, v3
	v_readfirstlane_b32 s37, v5
	v_readfirstlane_b32 s0, v3
	s_mul_i32 s1, s16, s37
	s_mul_hi_u32 s49, s16, s0
	s_mul_i32 s48, s29, s0
	s_add_i32 s1, s49, s1
	s_add_i32 s1, s1, s48
	s_mul_i32 s50, s16, s0
	s_mul_i32 s49, s0, s1
	s_mul_hi_u32 s51, s0, s50
	s_mul_hi_u32 s48, s0, s1
	s_add_u32 s49, s51, s49
	s_addc_u32 s48, 0, s48
	s_mul_hi_u32 s52, s37, s50
	s_mul_i32 s50, s37, s50
	s_add_u32 s49, s49, s50
	s_mul_hi_u32 s51, s37, s1
	s_addc_u32 s48, s48, s52
	s_addc_u32 s49, s51, 0
	s_mul_i32 s1, s37, s1
	s_add_u32 s1, s48, s1
	s_addc_u32 s48, 0, s49
	s_add_u32 s49, s0, s1
	s_cselect_b64 s[0:1], -1, 0
	s_cmp_lg_u64 s[0:1], 0
	s_addc_u32 s37, s37, s48
	s_mul_i32 s0, s16, s37
	s_mul_hi_u32 s1, s16, s49
	s_add_i32 s0, s1, s0
	s_mul_i32 s29, s29, s49
	s_add_i32 s0, s0, s29
	s_mul_i32 s16, s16, s49
	s_mul_hi_u32 s29, s37, s16
	s_mul_i32 s48, s37, s16
	s_mul_i32 s51, s49, s0
	s_mul_hi_u32 s16, s49, s16
	s_mul_hi_u32 s50, s49, s0
	s_add_u32 s16, s16, s51
	s_addc_u32 s50, 0, s50
	s_add_u32 s16, s16, s48
	s_mul_hi_u32 s1, s37, s0
	s_addc_u32 s16, s50, s29
	s_addc_u32 s1, s1, 0
	s_mul_i32 s0, s37, s0
	s_add_u32 s0, s16, s0
	s_addc_u32 s16, 0, s1
	s_add_u32 s29, s49, s0
	s_cselect_b64 s[0:1], -1, 0
	v_ashrrev_i32_e32 v3, 31, v9
	s_cmp_lg_u64 s[0:1], 0
	v_add_co_u32_e32 v5, vcc, v8, v3
	s_addc_u32 s16, s37, s16
	v_xor_b32_e32 v5, v5, v3
	v_addc_co_u32_e32 v7, vcc, v9, v3, vcc
	v_mad_u64_u32 v[9:10], s[0:1], v5, s16, 0
	v_mul_hi_u32 v11, v5, s29
	v_xor_b32_e32 v7, v7, v3
	v_xor_b32_e32 v3, s36, v3
	v_add_co_u32_e32 v13, vcc, v11, v9
	v_addc_co_u32_e32 v14, vcc, 0, v10, vcc
	v_mad_u64_u32 v[9:10], s[0:1], v7, s29, 0
	v_mad_u64_u32 v[11:12], s[0:1], v7, s16, 0
	v_add_co_u32_e32 v9, vcc, v13, v9
	v_addc_co_u32_e32 v9, vcc, v14, v10, vcc
	v_addc_co_u32_e32 v10, vcc, 0, v12, vcc
	v_add_co_u32_e32 v11, vcc, v9, v11
	v_addc_co_u32_e32 v12, vcc, 0, v10, vcc
	v_mul_lo_u32 v13, s39, v11
	v_mul_lo_u32 v14, s38, v12
	v_mad_u64_u32 v[9:10], s[0:1], s38, v11, 0
	v_add3_u32 v10, v10, v14, v13
	v_sub_u32_e32 v13, v7, v10
	v_mov_b32_e32 v14, s39
	v_sub_co_u32_e32 v5, vcc, v5, v9
	v_subb_co_u32_e64 v9, s[0:1], v13, v14, vcc
	v_subrev_co_u32_e64 v13, s[0:1], s38, v5
	v_subbrev_co_u32_e64 v9, s[0:1], 0, v9, s[0:1]
	v_cmp_le_u32_e64 s[0:1], s39, v9
	v_cndmask_b32_e64 v14, 0, -1, s[0:1]
	v_cmp_le_u32_e64 s[0:1], s38, v13
	v_cndmask_b32_e64 v13, 0, -1, s[0:1]
	v_cmp_eq_u32_e64 s[0:1], s39, v9
	v_cndmask_b32_e64 v9, v14, v13, s[0:1]
	v_add_co_u32_e64 v13, s[0:1], 2, v11
	v_subb_co_u32_e32 v7, vcc, v7, v10, vcc
	v_addc_co_u32_e64 v14, s[0:1], 0, v12, s[0:1]
	v_cmp_le_u32_e32 vcc, s39, v7
	v_add_co_u32_e64 v15, s[0:1], 1, v11
	v_cndmask_b32_e64 v10, 0, -1, vcc
	v_cmp_le_u32_e32 vcc, s38, v5
	v_addc_co_u32_e64 v16, s[0:1], 0, v12, s[0:1]
	v_cndmask_b32_e64 v5, 0, -1, vcc
	v_cmp_eq_u32_e32 vcc, s39, v7
	v_cmp_ne_u32_e64 s[0:1], 0, v9
	v_cndmask_b32_e32 v5, v10, v5, vcc
	v_cmp_ne_u32_e32 vcc, 0, v5
	v_cndmask_b32_e64 v7, v15, v13, s[0:1]
	v_cndmask_b32_e64 v9, v16, v14, s[0:1]
	v_cndmask_b32_e32 v7, v11, v7, vcc
	v_cndmask_b32_e32 v5, v12, v9, vcc
	v_xor_b32_e32 v7, v7, v3
	v_xor_b32_e32 v5, v5, v3
	v_sub_co_u32_e32 v10, vcc, v7, v3
	v_subb_co_u32_e32 v11, vcc, v5, v3, vcc
.LBB28_25:                              ;   in Loop: Header=BB28_23 Depth=2
	s_andn2_saveexec_b64 s[0:1], s[34:35]
	s_cbranch_execz .LBB28_27
; %bb.26:                               ;   in Loop: Header=BB28_23 Depth=2
	v_cvt_f32_u32_e32 v3, s25
	s_sub_i32 s16, 0, s25
	v_mov_b32_e32 v11, v2
	v_rcp_iflag_f32_e32 v3, v3
	v_mul_f32_e32 v3, 0x4f7ffffe, v3
	v_cvt_u32_f32_e32 v3, v3
	v_mul_lo_u32 v5, s16, v3
	v_mul_hi_u32 v5, v3, v5
	v_add_u32_e32 v3, v3, v5
	v_mul_hi_u32 v3, v8, v3
	v_mul_lo_u32 v5, v3, s25
	v_add_u32_e32 v7, 1, v3
	v_sub_u32_e32 v5, v8, v5
	v_subrev_u32_e32 v9, s25, v5
	v_cmp_le_u32_e32 vcc, s25, v5
	v_cndmask_b32_e32 v5, v5, v9, vcc
	v_cndmask_b32_e32 v3, v3, v7, vcc
	v_add_u32_e32 v7, 1, v3
	v_cmp_le_u32_e32 vcc, s25, v5
	v_cndmask_b32_e32 v10, v3, v7, vcc
.LBB28_27:                              ;   in Loop: Header=BB28_23 Depth=2
	s_or_b64 exec, exec, s[0:1]
	s_add_u32 s0, s4, s30
	s_addc_u32 s1, s5, s31
	s_add_i32 s16, s28, 6
	s_lshl_b64 s[30:31], s[16:17], 2
	s_add_u32 s34, s40, s30
	s_addc_u32 s35, s41, s31
	s_load_dword s49, s[34:35], 0x8
	s_load_dword s48, s[0:1], 0x6c
                                        ; implicit-def: $vgpr12_vgpr13
	s_waitcnt lgkmcnt(0)
	s_ashr_i32 s0, s49, 31
	v_or_b32_e32 v3, s0, v11
	v_cmp_ne_u64_e32 vcc, 0, v[2:3]
	s_and_saveexec_b64 s[34:35], vcc
	s_xor_b64 s[34:35], exec, s[34:35]
	s_cbranch_execz .LBB28_29
; %bb.28:                               ;   in Loop: Header=BB28_23 Depth=2
	s_ashr_i32 s36, s0, 31
	s_add_u32 s38, s49, s36
	s_mov_b32 s37, s36
	s_addc_u32 s39, s0, s36
	s_xor_b64 s[38:39], s[38:39], s[36:37]
	v_cvt_f32_u32_e32 v3, s38
	v_cvt_f32_u32_e32 v5, s39
	s_sub_u32 s16, 0, s38
	s_subb_u32 s29, 0, s39
	v_mac_f32_e32 v3, 0x4f800000, v5
	v_rcp_f32_e32 v3, v3
	v_mul_f32_e32 v3, 0x5f7ffffc, v3
	v_mul_f32_e32 v5, 0x2f800000, v3
	v_trunc_f32_e32 v5, v5
	v_mac_f32_e32 v3, 0xcf800000, v5
	v_cvt_u32_f32_e32 v5, v5
	v_cvt_u32_f32_e32 v3, v3
	v_readfirstlane_b32 s37, v5
	v_readfirstlane_b32 s0, v3
	s_mul_i32 s1, s16, s37
	s_mul_hi_u32 s51, s16, s0
	s_mul_i32 s50, s29, s0
	s_add_i32 s1, s51, s1
	s_add_i32 s1, s1, s50
	s_mul_i32 s52, s16, s0
	s_mul_i32 s51, s0, s1
	s_mul_hi_u32 s53, s0, s52
	s_mul_hi_u32 s50, s0, s1
	s_add_u32 s51, s53, s51
	s_addc_u32 s50, 0, s50
	s_mul_hi_u32 s54, s37, s52
	s_mul_i32 s52, s37, s52
	s_add_u32 s51, s51, s52
	s_mul_hi_u32 s53, s37, s1
	s_addc_u32 s50, s50, s54
	s_addc_u32 s51, s53, 0
	s_mul_i32 s1, s37, s1
	s_add_u32 s1, s50, s1
	s_addc_u32 s50, 0, s51
	s_add_u32 s51, s0, s1
	s_cselect_b64 s[0:1], -1, 0
	s_cmp_lg_u64 s[0:1], 0
	s_addc_u32 s37, s37, s50
	s_mul_i32 s0, s16, s37
	s_mul_hi_u32 s1, s16, s51
	s_add_i32 s0, s1, s0
	s_mul_i32 s29, s29, s51
	s_add_i32 s0, s0, s29
	s_mul_i32 s16, s16, s51
	s_mul_hi_u32 s29, s37, s16
	s_mul_i32 s50, s37, s16
	s_mul_i32 s53, s51, s0
	s_mul_hi_u32 s16, s51, s16
	s_mul_hi_u32 s52, s51, s0
	s_add_u32 s16, s16, s53
	s_addc_u32 s52, 0, s52
	s_add_u32 s16, s16, s50
	s_mul_hi_u32 s1, s37, s0
	s_addc_u32 s16, s52, s29
	s_addc_u32 s1, s1, 0
	s_mul_i32 s0, s37, s0
	s_add_u32 s0, s16, s0
	s_addc_u32 s16, 0, s1
	s_add_u32 s29, s51, s0
	s_cselect_b64 s[0:1], -1, 0
	v_ashrrev_i32_e32 v3, 31, v11
	s_cmp_lg_u64 s[0:1], 0
	v_add_co_u32_e32 v5, vcc, v10, v3
	s_addc_u32 s16, s37, s16
	v_xor_b32_e32 v5, v5, v3
	v_addc_co_u32_e32 v7, vcc, v11, v3, vcc
	v_mad_u64_u32 v[11:12], s[0:1], v5, s16, 0
	v_mul_hi_u32 v9, v5, s29
	v_xor_b32_e32 v7, v7, v3
	v_mad_u64_u32 v[13:14], s[0:1], v7, s16, 0
	v_add_co_u32_e32 v9, vcc, v9, v11
	v_addc_co_u32_e32 v15, vcc, 0, v12, vcc
	v_mad_u64_u32 v[11:12], s[0:1], v7, s29, 0
	v_xor_b32_e32 v3, s36, v3
	v_add_co_u32_e32 v9, vcc, v9, v11
	v_addc_co_u32_e32 v9, vcc, v15, v12, vcc
	v_addc_co_u32_e32 v11, vcc, 0, v14, vcc
	v_add_co_u32_e32 v9, vcc, v9, v13
	v_addc_co_u32_e32 v13, vcc, 0, v11, vcc
	v_mul_lo_u32 v14, s39, v9
	v_mul_lo_u32 v15, s38, v13
	v_mad_u64_u32 v[11:12], s[0:1], s38, v9, 0
	v_add3_u32 v12, v12, v15, v14
	v_sub_u32_e32 v14, v7, v12
	v_mov_b32_e32 v15, s39
	v_sub_co_u32_e32 v5, vcc, v5, v11
	v_subb_co_u32_e64 v11, s[0:1], v14, v15, vcc
	v_subrev_co_u32_e64 v14, s[0:1], s38, v5
	v_subbrev_co_u32_e64 v11, s[0:1], 0, v11, s[0:1]
	v_cmp_le_u32_e64 s[0:1], s39, v11
	v_cndmask_b32_e64 v15, 0, -1, s[0:1]
	v_cmp_le_u32_e64 s[0:1], s38, v14
	v_cndmask_b32_e64 v14, 0, -1, s[0:1]
	v_cmp_eq_u32_e64 s[0:1], s39, v11
	v_cndmask_b32_e64 v11, v15, v14, s[0:1]
	v_add_co_u32_e64 v14, s[0:1], 2, v9
	v_subb_co_u32_e32 v7, vcc, v7, v12, vcc
	v_addc_co_u32_e64 v15, s[0:1], 0, v13, s[0:1]
	v_cmp_le_u32_e32 vcc, s39, v7
	v_add_co_u32_e64 v16, s[0:1], 1, v9
	v_cndmask_b32_e64 v12, 0, -1, vcc
	v_cmp_le_u32_e32 vcc, s38, v5
	v_addc_co_u32_e64 v17, s[0:1], 0, v13, s[0:1]
	v_cndmask_b32_e64 v5, 0, -1, vcc
	v_cmp_eq_u32_e32 vcc, s39, v7
	v_cmp_ne_u32_e64 s[0:1], 0, v11
	v_cndmask_b32_e32 v5, v12, v5, vcc
	v_cmp_ne_u32_e32 vcc, 0, v5
	v_cndmask_b32_e64 v7, v16, v14, s[0:1]
	v_cndmask_b32_e64 v11, v17, v15, s[0:1]
	v_cndmask_b32_e32 v7, v9, v7, vcc
	v_cndmask_b32_e32 v5, v13, v11, vcc
	v_xor_b32_e32 v7, v7, v3
	v_xor_b32_e32 v5, v5, v3
	v_sub_co_u32_e32 v12, vcc, v7, v3
	v_subb_co_u32_e32 v13, vcc, v5, v3, vcc
.LBB28_29:                              ;   in Loop: Header=BB28_23 Depth=2
	s_andn2_saveexec_b64 s[0:1], s[34:35]
	s_cbranch_execz .LBB28_31
; %bb.30:                               ;   in Loop: Header=BB28_23 Depth=2
	v_cvt_f32_u32_e32 v3, s49
	s_sub_i32 s16, 0, s49
	v_mov_b32_e32 v13, v2
	v_rcp_iflag_f32_e32 v3, v3
	v_mul_f32_e32 v3, 0x4f7ffffe, v3
	v_cvt_u32_f32_e32 v3, v3
	v_mul_lo_u32 v5, s16, v3
	v_mul_hi_u32 v5, v3, v5
	v_add_u32_e32 v3, v3, v5
	v_mul_hi_u32 v3, v10, v3
	v_mul_lo_u32 v5, v3, s49
	v_add_u32_e32 v7, 1, v3
	v_sub_u32_e32 v5, v10, v5
	v_subrev_u32_e32 v9, s49, v5
	v_cmp_le_u32_e32 vcc, s49, v5
	v_cndmask_b32_e32 v5, v5, v9, vcc
	v_cndmask_b32_e32 v3, v3, v7, vcc
	v_add_u32_e32 v7, 1, v3
	v_cmp_le_u32_e32 vcc, s49, v5
	v_cndmask_b32_e32 v12, v3, v7, vcc
.LBB28_31:                              ;   in Loop: Header=BB28_23 Depth=2
	s_or_b64 exec, exec, s[0:1]
	s_add_u32 s0, s4, s30
	s_addc_u32 s1, s5, s31
	s_add_i32 s16, s28, 5
	s_lshl_b64 s[30:31], s[16:17], 2
	s_add_u32 s34, s40, s30
	s_addc_u32 s35, s41, s31
	s_load_dword s51, s[34:35], 0x8
	s_load_dword s50, s[0:1], 0x6c
                                        ; implicit-def: $vgpr14_vgpr15
	s_waitcnt lgkmcnt(0)
	s_ashr_i32 s0, s51, 31
	v_or_b32_e32 v3, s0, v13
	v_cmp_ne_u64_e32 vcc, 0, v[2:3]
	s_and_saveexec_b64 s[34:35], vcc
	s_xor_b64 s[34:35], exec, s[34:35]
	s_cbranch_execz .LBB28_33
; %bb.32:                               ;   in Loop: Header=BB28_23 Depth=2
	s_ashr_i32 s36, s0, 31
	s_add_u32 s38, s51, s36
	s_mov_b32 s37, s36
	s_addc_u32 s39, s0, s36
	s_xor_b64 s[38:39], s[38:39], s[36:37]
	v_cvt_f32_u32_e32 v3, s38
	v_cvt_f32_u32_e32 v5, s39
	s_sub_u32 s16, 0, s38
	s_subb_u32 s29, 0, s39
	v_mac_f32_e32 v3, 0x4f800000, v5
	v_rcp_f32_e32 v3, v3
	v_mul_f32_e32 v3, 0x5f7ffffc, v3
	v_mul_f32_e32 v5, 0x2f800000, v3
	v_trunc_f32_e32 v5, v5
	v_mac_f32_e32 v3, 0xcf800000, v5
	v_cvt_u32_f32_e32 v5, v5
	v_cvt_u32_f32_e32 v3, v3
	v_readfirstlane_b32 s37, v5
	v_readfirstlane_b32 s0, v3
	s_mul_i32 s1, s16, s37
	s_mul_hi_u32 s53, s16, s0
	s_mul_i32 s52, s29, s0
	s_add_i32 s1, s53, s1
	s_add_i32 s1, s1, s52
	s_mul_i32 s54, s16, s0
	s_mul_i32 s53, s0, s1
	s_mul_hi_u32 s55, s0, s54
	s_mul_hi_u32 s52, s0, s1
	s_add_u32 s53, s55, s53
	s_addc_u32 s52, 0, s52
	s_mul_hi_u32 s56, s37, s54
	s_mul_i32 s54, s37, s54
	s_add_u32 s53, s53, s54
	s_mul_hi_u32 s55, s37, s1
	s_addc_u32 s52, s52, s56
	s_addc_u32 s53, s55, 0
	s_mul_i32 s1, s37, s1
	s_add_u32 s1, s52, s1
	s_addc_u32 s52, 0, s53
	s_add_u32 s53, s0, s1
	s_cselect_b64 s[0:1], -1, 0
	s_cmp_lg_u64 s[0:1], 0
	s_addc_u32 s37, s37, s52
	s_mul_i32 s0, s16, s37
	s_mul_hi_u32 s1, s16, s53
	s_add_i32 s0, s1, s0
	s_mul_i32 s29, s29, s53
	s_add_i32 s0, s0, s29
	s_mul_i32 s16, s16, s53
	s_mul_hi_u32 s29, s37, s16
	s_mul_i32 s52, s37, s16
	s_mul_i32 s55, s53, s0
	s_mul_hi_u32 s16, s53, s16
	s_mul_hi_u32 s54, s53, s0
	s_add_u32 s16, s16, s55
	s_addc_u32 s54, 0, s54
	s_add_u32 s16, s16, s52
	s_mul_hi_u32 s1, s37, s0
	s_addc_u32 s16, s54, s29
	s_addc_u32 s1, s1, 0
	s_mul_i32 s0, s37, s0
	s_add_u32 s0, s16, s0
	s_addc_u32 s16, 0, s1
	s_add_u32 s29, s53, s0
	s_cselect_b64 s[0:1], -1, 0
	v_ashrrev_i32_e32 v3, 31, v13
	s_cmp_lg_u64 s[0:1], 0
	v_add_co_u32_e32 v5, vcc, v12, v3
	s_addc_u32 s16, s37, s16
	v_xor_b32_e32 v5, v5, v3
	v_addc_co_u32_e32 v7, vcc, v13, v3, vcc
	v_mad_u64_u32 v[13:14], s[0:1], v5, s16, 0
	v_mul_hi_u32 v9, v5, s29
	v_xor_b32_e32 v7, v7, v3
	v_mad_u64_u32 v[15:16], s[0:1], v7, s16, 0
	v_add_co_u32_e32 v9, vcc, v9, v13
	v_addc_co_u32_e32 v11, vcc, 0, v14, vcc
	v_mad_u64_u32 v[13:14], s[0:1], v7, s29, 0
	v_xor_b32_e32 v3, s36, v3
	v_add_co_u32_e32 v9, vcc, v9, v13
	v_addc_co_u32_e32 v9, vcc, v11, v14, vcc
	v_addc_co_u32_e32 v11, vcc, 0, v16, vcc
	v_add_co_u32_e32 v9, vcc, v9, v15
	v_addc_co_u32_e32 v11, vcc, 0, v11, vcc
	v_mul_lo_u32 v15, s39, v9
	v_mul_lo_u32 v16, s38, v11
	v_mad_u64_u32 v[13:14], s[0:1], s38, v9, 0
	v_add3_u32 v14, v14, v16, v15
	v_sub_u32_e32 v15, v7, v14
	v_mov_b32_e32 v16, s39
	v_sub_co_u32_e32 v5, vcc, v5, v13
	v_subb_co_u32_e64 v13, s[0:1], v15, v16, vcc
	v_subrev_co_u32_e64 v15, s[0:1], s38, v5
	v_subbrev_co_u32_e64 v13, s[0:1], 0, v13, s[0:1]
	v_cmp_le_u32_e64 s[0:1], s39, v13
	v_cndmask_b32_e64 v16, 0, -1, s[0:1]
	v_cmp_le_u32_e64 s[0:1], s38, v15
	v_cndmask_b32_e64 v15, 0, -1, s[0:1]
	v_cmp_eq_u32_e64 s[0:1], s39, v13
	v_cndmask_b32_e64 v13, v16, v15, s[0:1]
	v_add_co_u32_e64 v15, s[0:1], 2, v9
	v_subb_co_u32_e32 v7, vcc, v7, v14, vcc
	v_addc_co_u32_e64 v16, s[0:1], 0, v11, s[0:1]
	v_cmp_le_u32_e32 vcc, s39, v7
	v_add_co_u32_e64 v17, s[0:1], 1, v9
	v_cndmask_b32_e64 v14, 0, -1, vcc
	v_cmp_le_u32_e32 vcc, s38, v5
	v_addc_co_u32_e64 v18, s[0:1], 0, v11, s[0:1]
	v_cndmask_b32_e64 v5, 0, -1, vcc
	v_cmp_eq_u32_e32 vcc, s39, v7
	v_cmp_ne_u32_e64 s[0:1], 0, v13
	v_cndmask_b32_e32 v5, v14, v5, vcc
	v_cmp_ne_u32_e32 vcc, 0, v5
	v_cndmask_b32_e64 v7, v17, v15, s[0:1]
	v_cndmask_b32_e64 v13, v18, v16, s[0:1]
	v_cndmask_b32_e32 v7, v9, v7, vcc
	v_cndmask_b32_e32 v5, v11, v13, vcc
	v_xor_b32_e32 v7, v7, v3
	v_xor_b32_e32 v5, v5, v3
	v_sub_co_u32_e32 v14, vcc, v7, v3
	v_subb_co_u32_e32 v15, vcc, v5, v3, vcc
.LBB28_33:                              ;   in Loop: Header=BB28_23 Depth=2
	s_andn2_saveexec_b64 s[0:1], s[34:35]
	s_cbranch_execz .LBB28_35
; %bb.34:                               ;   in Loop: Header=BB28_23 Depth=2
	v_cvt_f32_u32_e32 v3, s51
	s_sub_i32 s16, 0, s51
	v_mov_b32_e32 v15, v2
	v_rcp_iflag_f32_e32 v3, v3
	v_mul_f32_e32 v3, 0x4f7ffffe, v3
	v_cvt_u32_f32_e32 v3, v3
	v_mul_lo_u32 v5, s16, v3
	v_mul_hi_u32 v5, v3, v5
	v_add_u32_e32 v3, v3, v5
	v_mul_hi_u32 v3, v12, v3
	v_mul_lo_u32 v5, v3, s51
	v_add_u32_e32 v7, 1, v3
	v_sub_u32_e32 v5, v12, v5
	v_subrev_u32_e32 v9, s51, v5
	v_cmp_le_u32_e32 vcc, s51, v5
	v_cndmask_b32_e32 v5, v5, v9, vcc
	v_cndmask_b32_e32 v3, v3, v7, vcc
	v_add_u32_e32 v7, 1, v3
	v_cmp_le_u32_e32 vcc, s51, v5
	v_cndmask_b32_e32 v14, v3, v7, vcc
.LBB28_35:                              ;   in Loop: Header=BB28_23 Depth=2
	s_or_b64 exec, exec, s[0:1]
	s_add_u32 s0, s4, s30
	s_addc_u32 s1, s5, s31
	s_add_i32 s16, s28, 4
	s_lshl_b64 s[30:31], s[16:17], 2
	s_add_u32 s34, s40, s30
	s_addc_u32 s35, s41, s31
	s_load_dword s53, s[34:35], 0x8
	s_load_dword s52, s[0:1], 0x6c
                                        ; implicit-def: $vgpr16_vgpr17
	s_waitcnt lgkmcnt(0)
	s_ashr_i32 s0, s53, 31
	v_or_b32_e32 v3, s0, v15
	v_cmp_ne_u64_e32 vcc, 0, v[2:3]
	s_and_saveexec_b64 s[34:35], vcc
	s_xor_b64 s[34:35], exec, s[34:35]
	s_cbranch_execz .LBB28_37
; %bb.36:                               ;   in Loop: Header=BB28_23 Depth=2
	s_ashr_i32 s36, s0, 31
	s_add_u32 s38, s53, s36
	s_mov_b32 s37, s36
	s_addc_u32 s39, s0, s36
	s_xor_b64 s[38:39], s[38:39], s[36:37]
	v_cvt_f32_u32_e32 v3, s38
	v_cvt_f32_u32_e32 v5, s39
	s_sub_u32 s16, 0, s38
	s_subb_u32 s29, 0, s39
	v_mac_f32_e32 v3, 0x4f800000, v5
	v_rcp_f32_e32 v3, v3
	v_mul_f32_e32 v3, 0x5f7ffffc, v3
	v_mul_f32_e32 v5, 0x2f800000, v3
	v_trunc_f32_e32 v5, v5
	v_mac_f32_e32 v3, 0xcf800000, v5
	v_cvt_u32_f32_e32 v5, v5
	v_cvt_u32_f32_e32 v3, v3
	v_readfirstlane_b32 s37, v5
	v_readfirstlane_b32 s0, v3
	s_mul_i32 s1, s16, s37
	s_mul_hi_u32 s55, s16, s0
	s_mul_i32 s54, s29, s0
	s_add_i32 s1, s55, s1
	s_add_i32 s1, s1, s54
	s_mul_i32 s56, s16, s0
	s_mul_i32 s55, s0, s1
	s_mul_hi_u32 s57, s0, s56
	s_mul_hi_u32 s54, s0, s1
	s_add_u32 s55, s57, s55
	s_addc_u32 s54, 0, s54
	s_mul_hi_u32 s58, s37, s56
	s_mul_i32 s56, s37, s56
	s_add_u32 s55, s55, s56
	s_mul_hi_u32 s57, s37, s1
	s_addc_u32 s54, s54, s58
	s_addc_u32 s55, s57, 0
	s_mul_i32 s1, s37, s1
	s_add_u32 s1, s54, s1
	s_addc_u32 s54, 0, s55
	s_add_u32 s55, s0, s1
	s_cselect_b64 s[0:1], -1, 0
	s_cmp_lg_u64 s[0:1], 0
	s_addc_u32 s37, s37, s54
	s_mul_i32 s0, s16, s37
	s_mul_hi_u32 s1, s16, s55
	s_add_i32 s0, s1, s0
	s_mul_i32 s29, s29, s55
	s_add_i32 s0, s0, s29
	s_mul_i32 s16, s16, s55
	s_mul_hi_u32 s29, s37, s16
	s_mul_i32 s54, s37, s16
	s_mul_i32 s57, s55, s0
	s_mul_hi_u32 s16, s55, s16
	s_mul_hi_u32 s56, s55, s0
	s_add_u32 s16, s16, s57
	s_addc_u32 s56, 0, s56
	s_add_u32 s16, s16, s54
	s_mul_hi_u32 s1, s37, s0
	s_addc_u32 s16, s56, s29
	s_addc_u32 s1, s1, 0
	s_mul_i32 s0, s37, s0
	s_add_u32 s0, s16, s0
	s_addc_u32 s16, 0, s1
	s_add_u32 s29, s55, s0
	s_cselect_b64 s[0:1], -1, 0
	v_ashrrev_i32_e32 v3, 31, v15
	s_cmp_lg_u64 s[0:1], 0
	v_add_co_u32_e32 v5, vcc, v14, v3
	s_addc_u32 s16, s37, s16
	v_xor_b32_e32 v5, v5, v3
	v_addc_co_u32_e32 v7, vcc, v15, v3, vcc
	v_mad_u64_u32 v[15:16], s[0:1], v5, s16, 0
	v_mul_hi_u32 v9, v5, s29
	v_xor_b32_e32 v7, v7, v3
	v_mad_u64_u32 v[17:18], s[0:1], v7, s16, 0
	v_add_co_u32_e32 v9, vcc, v9, v15
	v_addc_co_u32_e32 v11, vcc, 0, v16, vcc
	v_mad_u64_u32 v[15:16], s[0:1], v7, s29, 0
	v_xor_b32_e32 v3, s36, v3
	v_add_co_u32_e32 v9, vcc, v9, v15
	v_addc_co_u32_e32 v9, vcc, v11, v16, vcc
	v_addc_co_u32_e32 v11, vcc, 0, v18, vcc
	v_add_co_u32_e32 v9, vcc, v9, v17
	v_addc_co_u32_e32 v11, vcc, 0, v11, vcc
	v_mul_lo_u32 v13, s39, v9
	v_mul_lo_u32 v17, s38, v11
	v_mad_u64_u32 v[15:16], s[0:1], s38, v9, 0
	v_add3_u32 v13, v16, v17, v13
	v_sub_u32_e32 v16, v7, v13
	v_mov_b32_e32 v17, s39
	v_sub_co_u32_e32 v5, vcc, v5, v15
	v_subb_co_u32_e64 v15, s[0:1], v16, v17, vcc
	v_subrev_co_u32_e64 v16, s[0:1], s38, v5
	v_subbrev_co_u32_e64 v15, s[0:1], 0, v15, s[0:1]
	v_cmp_le_u32_e64 s[0:1], s39, v15
	v_cndmask_b32_e64 v17, 0, -1, s[0:1]
	v_cmp_le_u32_e64 s[0:1], s38, v16
	v_cndmask_b32_e64 v16, 0, -1, s[0:1]
	v_cmp_eq_u32_e64 s[0:1], s39, v15
	v_cndmask_b32_e64 v15, v17, v16, s[0:1]
	v_add_co_u32_e64 v16, s[0:1], 2, v9
	v_subb_co_u32_e32 v7, vcc, v7, v13, vcc
	v_addc_co_u32_e64 v17, s[0:1], 0, v11, s[0:1]
	v_cmp_le_u32_e32 vcc, s39, v7
	v_add_co_u32_e64 v18, s[0:1], 1, v9
	v_cndmask_b32_e64 v13, 0, -1, vcc
	v_cmp_le_u32_e32 vcc, s38, v5
	v_addc_co_u32_e64 v19, s[0:1], 0, v11, s[0:1]
	v_cndmask_b32_e64 v5, 0, -1, vcc
	v_cmp_eq_u32_e32 vcc, s39, v7
	v_cmp_ne_u32_e64 s[0:1], 0, v15
	v_cndmask_b32_e32 v5, v13, v5, vcc
	v_cmp_ne_u32_e32 vcc, 0, v5
	v_cndmask_b32_e64 v7, v18, v16, s[0:1]
	v_cndmask_b32_e64 v15, v19, v17, s[0:1]
	v_cndmask_b32_e32 v7, v9, v7, vcc
	v_cndmask_b32_e32 v5, v11, v15, vcc
	v_xor_b32_e32 v7, v7, v3
	v_xor_b32_e32 v5, v5, v3
	v_sub_co_u32_e32 v16, vcc, v7, v3
	v_subb_co_u32_e32 v17, vcc, v5, v3, vcc
.LBB28_37:                              ;   in Loop: Header=BB28_23 Depth=2
	s_andn2_saveexec_b64 s[0:1], s[34:35]
	s_cbranch_execz .LBB28_39
; %bb.38:                               ;   in Loop: Header=BB28_23 Depth=2
	v_cvt_f32_u32_e32 v3, s53
	s_sub_i32 s16, 0, s53
	v_mov_b32_e32 v17, v2
	v_rcp_iflag_f32_e32 v3, v3
	v_mul_f32_e32 v3, 0x4f7ffffe, v3
	v_cvt_u32_f32_e32 v3, v3
	v_mul_lo_u32 v5, s16, v3
	v_mul_hi_u32 v5, v3, v5
	v_add_u32_e32 v3, v3, v5
	v_mul_hi_u32 v3, v14, v3
	v_mul_lo_u32 v5, v3, s53
	v_add_u32_e32 v7, 1, v3
	v_sub_u32_e32 v5, v14, v5
	v_subrev_u32_e32 v9, s53, v5
	v_cmp_le_u32_e32 vcc, s53, v5
	v_cndmask_b32_e32 v5, v5, v9, vcc
	v_cndmask_b32_e32 v3, v3, v7, vcc
	v_add_u32_e32 v7, 1, v3
	v_cmp_le_u32_e32 vcc, s53, v5
	v_cndmask_b32_e32 v16, v3, v7, vcc
.LBB28_39:                              ;   in Loop: Header=BB28_23 Depth=2
	s_or_b64 exec, exec, s[0:1]
	s_add_u32 s0, s4, s30
	s_addc_u32 s1, s5, s31
	s_add_i32 s16, s28, 3
	s_lshl_b64 s[30:31], s[16:17], 2
	s_add_u32 s34, s40, s30
	s_addc_u32 s35, s41, s31
	s_load_dword s54, s[34:35], 0x8
	s_load_dword s55, s[0:1], 0x6c
                                        ; implicit-def: $vgpr18_vgpr19
	s_waitcnt lgkmcnt(0)
	s_ashr_i32 s0, s54, 31
	v_or_b32_e32 v3, s0, v17
	v_cmp_ne_u64_e32 vcc, 0, v[2:3]
	s_and_saveexec_b64 s[34:35], vcc
	s_xor_b64 s[34:35], exec, s[34:35]
	s_cbranch_execz .LBB28_41
; %bb.40:                               ;   in Loop: Header=BB28_23 Depth=2
	s_ashr_i32 s36, s0, 31
	s_add_u32 s38, s54, s36
	s_mov_b32 s37, s36
	s_addc_u32 s39, s0, s36
	s_xor_b64 s[38:39], s[38:39], s[36:37]
	v_cvt_f32_u32_e32 v3, s38
	v_cvt_f32_u32_e32 v5, s39
	s_sub_u32 s16, 0, s38
	s_subb_u32 s29, 0, s39
	v_mac_f32_e32 v3, 0x4f800000, v5
	v_rcp_f32_e32 v3, v3
	v_mul_f32_e32 v3, 0x5f7ffffc, v3
	v_mul_f32_e32 v5, 0x2f800000, v3
	v_trunc_f32_e32 v5, v5
	v_mac_f32_e32 v3, 0xcf800000, v5
	v_cvt_u32_f32_e32 v5, v5
	v_cvt_u32_f32_e32 v3, v3
	v_readfirstlane_b32 s37, v5
	v_readfirstlane_b32 s0, v3
	s_mul_i32 s1, s16, s37
	s_mul_hi_u32 s57, s16, s0
	s_mul_i32 s56, s29, s0
	s_add_i32 s1, s57, s1
	s_add_i32 s1, s1, s56
	s_mul_i32 s58, s16, s0
	s_mul_i32 s57, s0, s1
	s_mul_hi_u32 s59, s0, s58
	s_mul_hi_u32 s56, s0, s1
	s_add_u32 s57, s59, s57
	s_addc_u32 s56, 0, s56
	s_mul_hi_u32 s60, s37, s58
	s_mul_i32 s58, s37, s58
	s_add_u32 s57, s57, s58
	s_mul_hi_u32 s59, s37, s1
	s_addc_u32 s56, s56, s60
	s_addc_u32 s57, s59, 0
	s_mul_i32 s1, s37, s1
	s_add_u32 s1, s56, s1
	s_addc_u32 s56, 0, s57
	s_add_u32 s57, s0, s1
	s_cselect_b64 s[0:1], -1, 0
	s_cmp_lg_u64 s[0:1], 0
	s_addc_u32 s37, s37, s56
	s_mul_i32 s0, s16, s37
	s_mul_hi_u32 s1, s16, s57
	s_add_i32 s0, s1, s0
	s_mul_i32 s29, s29, s57
	s_add_i32 s0, s0, s29
	s_mul_i32 s16, s16, s57
	s_mul_hi_u32 s29, s37, s16
	s_mul_i32 s56, s37, s16
	s_mul_i32 s59, s57, s0
	s_mul_hi_u32 s16, s57, s16
	s_mul_hi_u32 s58, s57, s0
	s_add_u32 s16, s16, s59
	s_addc_u32 s58, 0, s58
	s_add_u32 s16, s16, s56
	s_mul_hi_u32 s1, s37, s0
	s_addc_u32 s16, s58, s29
	s_addc_u32 s1, s1, 0
	s_mul_i32 s0, s37, s0
	s_add_u32 s0, s16, s0
	s_addc_u32 s16, 0, s1
	s_add_u32 s29, s57, s0
	s_cselect_b64 s[0:1], -1, 0
	v_ashrrev_i32_e32 v3, 31, v17
	s_cmp_lg_u64 s[0:1], 0
	v_add_co_u32_e32 v5, vcc, v16, v3
	s_addc_u32 s16, s37, s16
	v_xor_b32_e32 v5, v5, v3
	v_addc_co_u32_e32 v7, vcc, v17, v3, vcc
	v_mad_u64_u32 v[17:18], s[0:1], v5, s16, 0
	v_mul_hi_u32 v9, v5, s29
	v_xor_b32_e32 v7, v7, v3
	v_mad_u64_u32 v[19:20], s[0:1], v7, s16, 0
	v_add_co_u32_e32 v9, vcc, v9, v17
	v_addc_co_u32_e32 v11, vcc, 0, v18, vcc
	v_mad_u64_u32 v[17:18], s[0:1], v7, s29, 0
	v_xor_b32_e32 v3, s36, v3
	v_add_co_u32_e32 v9, vcc, v9, v17
	v_addc_co_u32_e32 v9, vcc, v11, v18, vcc
	v_addc_co_u32_e32 v11, vcc, 0, v20, vcc
	v_add_co_u32_e32 v9, vcc, v9, v19
	v_addc_co_u32_e32 v11, vcc, 0, v11, vcc
	v_mul_lo_u32 v13, s39, v9
	v_mul_lo_u32 v15, s38, v11
	v_mad_u64_u32 v[17:18], s[0:1], s38, v9, 0
	v_add3_u32 v13, v18, v15, v13
	v_sub_u32_e32 v15, v7, v13
	v_mov_b32_e32 v18, s39
	v_sub_co_u32_e32 v5, vcc, v5, v17
	v_subb_co_u32_e64 v15, s[0:1], v15, v18, vcc
	v_subrev_co_u32_e64 v17, s[0:1], s38, v5
	v_subbrev_co_u32_e64 v15, s[0:1], 0, v15, s[0:1]
	v_cmp_le_u32_e64 s[0:1], s39, v15
	v_cndmask_b32_e64 v18, 0, -1, s[0:1]
	v_cmp_le_u32_e64 s[0:1], s38, v17
	v_cndmask_b32_e64 v17, 0, -1, s[0:1]
	v_cmp_eq_u32_e64 s[0:1], s39, v15
	v_cndmask_b32_e64 v15, v18, v17, s[0:1]
	v_add_co_u32_e64 v17, s[0:1], 2, v9
	v_subb_co_u32_e32 v7, vcc, v7, v13, vcc
	v_addc_co_u32_e64 v18, s[0:1], 0, v11, s[0:1]
	v_cmp_le_u32_e32 vcc, s39, v7
	v_add_co_u32_e64 v19, s[0:1], 1, v9
	v_cndmask_b32_e64 v13, 0, -1, vcc
	v_cmp_le_u32_e32 vcc, s38, v5
	v_addc_co_u32_e64 v20, s[0:1], 0, v11, s[0:1]
	v_cndmask_b32_e64 v5, 0, -1, vcc
	v_cmp_eq_u32_e32 vcc, s39, v7
	v_cmp_ne_u32_e64 s[0:1], 0, v15
	v_cndmask_b32_e32 v5, v13, v5, vcc
	v_cmp_ne_u32_e32 vcc, 0, v5
	v_cndmask_b32_e64 v7, v19, v17, s[0:1]
	v_cndmask_b32_e64 v15, v20, v18, s[0:1]
	v_cndmask_b32_e32 v7, v9, v7, vcc
	v_cndmask_b32_e32 v5, v11, v15, vcc
	v_xor_b32_e32 v7, v7, v3
	v_xor_b32_e32 v5, v5, v3
	v_sub_co_u32_e32 v18, vcc, v7, v3
	v_subb_co_u32_e32 v19, vcc, v5, v3, vcc
.LBB28_41:                              ;   in Loop: Header=BB28_23 Depth=2
	s_andn2_saveexec_b64 s[0:1], s[34:35]
	s_cbranch_execz .LBB28_43
; %bb.42:                               ;   in Loop: Header=BB28_23 Depth=2
	v_cvt_f32_u32_e32 v3, s54
	s_sub_i32 s16, 0, s54
	v_mov_b32_e32 v19, v2
	v_rcp_iflag_f32_e32 v3, v3
	v_mul_f32_e32 v3, 0x4f7ffffe, v3
	v_cvt_u32_f32_e32 v3, v3
	v_mul_lo_u32 v5, s16, v3
	v_mul_hi_u32 v5, v3, v5
	v_add_u32_e32 v3, v3, v5
	v_mul_hi_u32 v3, v16, v3
	v_mul_lo_u32 v5, v3, s54
	v_add_u32_e32 v7, 1, v3
	v_sub_u32_e32 v5, v16, v5
	v_subrev_u32_e32 v9, s54, v5
	v_cmp_le_u32_e32 vcc, s54, v5
	v_cndmask_b32_e32 v5, v5, v9, vcc
	v_cndmask_b32_e32 v3, v3, v7, vcc
	v_add_u32_e32 v7, 1, v3
	v_cmp_le_u32_e32 vcc, s54, v5
	v_cndmask_b32_e32 v18, v3, v7, vcc
.LBB28_43:                              ;   in Loop: Header=BB28_23 Depth=2
	s_or_b64 exec, exec, s[0:1]
	s_add_u32 s0, s4, s30
	s_addc_u32 s1, s5, s31
	s_add_i32 s16, s28, 2
	s_lshl_b64 s[30:31], s[16:17], 2
	s_add_u32 s34, s40, s30
	s_addc_u32 s35, s41, s31
	s_load_dword s57, s[34:35], 0x8
	s_load_dword s56, s[0:1], 0x6c
                                        ; implicit-def: $vgpr20_vgpr21
	s_waitcnt lgkmcnt(0)
	s_ashr_i32 s0, s57, 31
	v_or_b32_e32 v3, s0, v19
	v_cmp_ne_u64_e32 vcc, 0, v[2:3]
	s_and_saveexec_b64 s[34:35], vcc
	s_xor_b64 s[34:35], exec, s[34:35]
	s_cbranch_execz .LBB28_45
; %bb.44:                               ;   in Loop: Header=BB28_23 Depth=2
	s_ashr_i32 s36, s0, 31
	s_add_u32 s38, s57, s36
	s_mov_b32 s37, s36
	s_addc_u32 s39, s0, s36
	s_xor_b64 s[38:39], s[38:39], s[36:37]
	v_cvt_f32_u32_e32 v3, s38
	v_cvt_f32_u32_e32 v5, s39
	s_sub_u32 s16, 0, s38
	s_subb_u32 s29, 0, s39
	v_mov_b32_e32 v17, s39
	v_mac_f32_e32 v3, 0x4f800000, v5
	v_rcp_f32_e32 v3, v3
	v_mul_f32_e32 v3, 0x5f7ffffc, v3
	v_mul_f32_e32 v5, 0x2f800000, v3
	v_trunc_f32_e32 v5, v5
	v_mac_f32_e32 v3, 0xcf800000, v5
	v_cvt_u32_f32_e32 v5, v5
	v_cvt_u32_f32_e32 v3, v3
	v_readfirstlane_b32 s37, v5
	v_readfirstlane_b32 s0, v3
	s_mul_i32 s1, s16, s37
	s_mul_hi_u32 s59, s16, s0
	s_mul_i32 s58, s29, s0
	s_add_i32 s1, s59, s1
	s_add_i32 s1, s1, s58
	s_mul_i32 s60, s16, s0
	s_mul_i32 s59, s0, s1
	s_mul_hi_u32 s61, s0, s60
	s_mul_hi_u32 s58, s0, s1
	s_add_u32 s59, s61, s59
	s_addc_u32 s58, 0, s58
	s_mul_hi_u32 s62, s37, s60
	s_mul_i32 s60, s37, s60
	s_add_u32 s59, s59, s60
	s_mul_hi_u32 s61, s37, s1
	s_addc_u32 s58, s58, s62
	s_addc_u32 s59, s61, 0
	s_mul_i32 s1, s37, s1
	s_add_u32 s1, s58, s1
	s_addc_u32 s58, 0, s59
	s_add_u32 s59, s0, s1
	s_cselect_b64 s[0:1], -1, 0
	s_cmp_lg_u64 s[0:1], 0
	s_addc_u32 s37, s37, s58
	s_mul_i32 s0, s16, s37
	s_mul_hi_u32 s1, s16, s59
	s_add_i32 s0, s1, s0
	s_mul_i32 s29, s29, s59
	s_add_i32 s0, s0, s29
	s_mul_i32 s16, s16, s59
	s_mul_hi_u32 s29, s37, s16
	s_mul_i32 s58, s37, s16
	s_mul_i32 s61, s59, s0
	s_mul_hi_u32 s16, s59, s16
	s_mul_hi_u32 s60, s59, s0
	s_add_u32 s16, s16, s61
	s_addc_u32 s60, 0, s60
	s_add_u32 s16, s16, s58
	s_mul_hi_u32 s1, s37, s0
	s_addc_u32 s16, s60, s29
	s_addc_u32 s1, s1, 0
	s_mul_i32 s0, s37, s0
	s_add_u32 s0, s16, s0
	s_addc_u32 s16, 0, s1
	s_add_u32 s29, s59, s0
	s_cselect_b64 s[0:1], -1, 0
	v_ashrrev_i32_e32 v3, 31, v19
	s_cmp_lg_u64 s[0:1], 0
	v_add_co_u32_e32 v5, vcc, v18, v3
	s_addc_u32 s16, s37, s16
	v_xor_b32_e32 v5, v5, v3
	v_addc_co_u32_e32 v7, vcc, v19, v3, vcc
	v_mad_u64_u32 v[19:20], s[0:1], v5, s16, 0
	v_mul_hi_u32 v9, v5, s29
	v_xor_b32_e32 v7, v7, v3
	v_mad_u64_u32 v[21:22], s[0:1], v7, s16, 0
	v_add_co_u32_e32 v9, vcc, v9, v19
	v_addc_co_u32_e32 v11, vcc, 0, v20, vcc
	v_mad_u64_u32 v[19:20], s[0:1], v7, s29, 0
	v_xor_b32_e32 v3, s36, v3
	v_add_co_u32_e32 v9, vcc, v9, v19
	v_addc_co_u32_e32 v9, vcc, v11, v20, vcc
	v_addc_co_u32_e32 v11, vcc, 0, v22, vcc
	v_add_co_u32_e32 v9, vcc, v9, v21
	v_addc_co_u32_e32 v11, vcc, 0, v11, vcc
	v_mul_lo_u32 v13, s39, v9
	v_mul_lo_u32 v15, s38, v11
	v_mad_u64_u32 v[19:20], s[0:1], s38, v9, 0
	v_add3_u32 v13, v20, v15, v13
	v_sub_u32_e32 v15, v7, v13
	v_sub_co_u32_e32 v5, vcc, v5, v19
	v_subb_co_u32_e64 v15, s[0:1], v15, v17, vcc
	v_subrev_co_u32_e64 v17, s[0:1], s38, v5
	v_subbrev_co_u32_e64 v15, s[0:1], 0, v15, s[0:1]
	v_cmp_le_u32_e64 s[0:1], s39, v15
	v_cndmask_b32_e64 v19, 0, -1, s[0:1]
	v_cmp_le_u32_e64 s[0:1], s38, v17
	v_cndmask_b32_e64 v17, 0, -1, s[0:1]
	v_cmp_eq_u32_e64 s[0:1], s39, v15
	v_cndmask_b32_e64 v15, v19, v17, s[0:1]
	v_add_co_u32_e64 v17, s[0:1], 2, v9
	v_subb_co_u32_e32 v7, vcc, v7, v13, vcc
	v_addc_co_u32_e64 v19, s[0:1], 0, v11, s[0:1]
	v_cmp_le_u32_e32 vcc, s39, v7
	v_add_co_u32_e64 v20, s[0:1], 1, v9
	v_cndmask_b32_e64 v13, 0, -1, vcc
	v_cmp_le_u32_e32 vcc, s38, v5
	v_addc_co_u32_e64 v21, s[0:1], 0, v11, s[0:1]
	v_cndmask_b32_e64 v5, 0, -1, vcc
	v_cmp_eq_u32_e32 vcc, s39, v7
	v_cmp_ne_u32_e64 s[0:1], 0, v15
	v_cndmask_b32_e32 v5, v13, v5, vcc
	v_cmp_ne_u32_e32 vcc, 0, v5
	v_cndmask_b32_e64 v7, v20, v17, s[0:1]
	v_cndmask_b32_e64 v15, v21, v19, s[0:1]
	v_cndmask_b32_e32 v7, v9, v7, vcc
	v_cndmask_b32_e32 v5, v11, v15, vcc
	v_xor_b32_e32 v7, v7, v3
	v_xor_b32_e32 v5, v5, v3
	v_sub_co_u32_e32 v20, vcc, v7, v3
	v_subb_co_u32_e32 v21, vcc, v5, v3, vcc
.LBB28_45:                              ;   in Loop: Header=BB28_23 Depth=2
	s_andn2_saveexec_b64 s[0:1], s[34:35]
	s_cbranch_execz .LBB28_47
; %bb.46:                               ;   in Loop: Header=BB28_23 Depth=2
	v_cvt_f32_u32_e32 v3, s57
	s_sub_i32 s16, 0, s57
	v_mov_b32_e32 v21, v2
	v_rcp_iflag_f32_e32 v3, v3
	v_mul_f32_e32 v3, 0x4f7ffffe, v3
	v_cvt_u32_f32_e32 v3, v3
	v_mul_lo_u32 v5, s16, v3
	v_mul_hi_u32 v5, v3, v5
	v_add_u32_e32 v3, v3, v5
	v_mul_hi_u32 v3, v18, v3
	v_mul_lo_u32 v5, v3, s57
	v_add_u32_e32 v7, 1, v3
	v_sub_u32_e32 v5, v18, v5
	v_subrev_u32_e32 v9, s57, v5
	v_cmp_le_u32_e32 vcc, s57, v5
	v_cndmask_b32_e32 v5, v5, v9, vcc
	v_cndmask_b32_e32 v3, v3, v7, vcc
	v_add_u32_e32 v7, 1, v3
	v_cmp_le_u32_e32 vcc, s57, v5
	v_cndmask_b32_e32 v20, v3, v7, vcc
.LBB28_47:                              ;   in Loop: Header=BB28_23 Depth=2
	s_or_b64 exec, exec, s[0:1]
	s_add_u32 s0, s4, s30
	s_addc_u32 s1, s5, s31
	s_add_i32 s16, s28, 1
	s_lshl_b64 s[30:31], s[16:17], 2
	s_add_u32 s34, s40, s30
	s_addc_u32 s35, s41, s31
	s_load_dword s58, s[34:35], 0x8
	s_load_dword s16, s[0:1], 0x6c
                                        ; implicit-def: $vgpr22_vgpr23
	s_waitcnt lgkmcnt(0)
	s_ashr_i32 s0, s58, 31
	v_or_b32_e32 v3, s0, v21
	v_cmp_ne_u64_e32 vcc, 0, v[2:3]
	s_and_saveexec_b64 s[34:35], vcc
	s_xor_b64 s[34:35], exec, s[34:35]
	s_cbranch_execz .LBB28_49
; %bb.48:                               ;   in Loop: Header=BB28_23 Depth=2
	s_ashr_i32 s36, s0, 31
	s_add_u32 s38, s58, s36
	s_mov_b32 s37, s36
	s_addc_u32 s39, s0, s36
	s_xor_b64 s[38:39], s[38:39], s[36:37]
	v_cvt_f32_u32_e32 v3, s38
	v_cvt_f32_u32_e32 v5, s39
	s_sub_u32 s29, 0, s38
	s_subb_u32 s37, 0, s39
	v_mov_b32_e32 v17, s39
	v_mac_f32_e32 v3, 0x4f800000, v5
	v_rcp_f32_e32 v3, v3
	v_mul_f32_e32 v3, 0x5f7ffffc, v3
	v_mul_f32_e32 v5, 0x2f800000, v3
	v_trunc_f32_e32 v5, v5
	v_mac_f32_e32 v3, 0xcf800000, v5
	v_cvt_u32_f32_e32 v5, v5
	v_cvt_u32_f32_e32 v3, v3
	v_readfirstlane_b32 s59, v5
	v_readfirstlane_b32 s0, v3
	s_mul_i32 s1, s29, s59
	s_mul_hi_u32 s61, s29, s0
	s_mul_i32 s60, s37, s0
	s_add_i32 s1, s61, s1
	s_add_i32 s1, s1, s60
	s_mul_i32 s62, s29, s0
	s_mul_i32 s61, s0, s1
	s_mul_hi_u32 s63, s0, s62
	s_mul_hi_u32 s60, s0, s1
	s_add_u32 s61, s63, s61
	s_addc_u32 s60, 0, s60
	s_mul_hi_u32 s64, s59, s62
	s_mul_i32 s62, s59, s62
	s_add_u32 s61, s61, s62
	s_mul_hi_u32 s63, s59, s1
	s_addc_u32 s60, s60, s64
	s_addc_u32 s61, s63, 0
	s_mul_i32 s1, s59, s1
	s_add_u32 s1, s60, s1
	s_addc_u32 s60, 0, s61
	s_add_u32 s61, s0, s1
	s_cselect_b64 s[0:1], -1, 0
	s_cmp_lg_u64 s[0:1], 0
	s_addc_u32 s59, s59, s60
	s_mul_i32 s0, s29, s59
	s_mul_hi_u32 s1, s29, s61
	s_add_i32 s0, s1, s0
	s_mul_i32 s37, s37, s61
	s_add_i32 s0, s0, s37
	s_mul_i32 s29, s29, s61
	s_mul_hi_u32 s37, s59, s29
	s_mul_i32 s60, s59, s29
	s_mul_i32 s63, s61, s0
	s_mul_hi_u32 s29, s61, s29
	s_mul_hi_u32 s62, s61, s0
	s_add_u32 s29, s29, s63
	s_addc_u32 s62, 0, s62
	s_add_u32 s29, s29, s60
	s_mul_hi_u32 s1, s59, s0
	s_addc_u32 s29, s62, s37
	s_addc_u32 s1, s1, 0
	s_mul_i32 s0, s59, s0
	s_add_u32 s0, s29, s0
	s_addc_u32 s29, 0, s1
	s_add_u32 s37, s61, s0
	s_cselect_b64 s[0:1], -1, 0
	v_ashrrev_i32_e32 v3, 31, v21
	s_cmp_lg_u64 s[0:1], 0
	v_add_co_u32_e32 v5, vcc, v20, v3
	s_addc_u32 s29, s59, s29
	v_xor_b32_e32 v5, v5, v3
	v_addc_co_u32_e32 v7, vcc, v21, v3, vcc
	v_mad_u64_u32 v[21:22], s[0:1], v5, s29, 0
	v_mul_hi_u32 v9, v5, s37
	v_xor_b32_e32 v7, v7, v3
	v_mad_u64_u32 v[23:24], s[0:1], v7, s29, 0
	v_add_co_u32_e32 v9, vcc, v9, v21
	v_addc_co_u32_e32 v11, vcc, 0, v22, vcc
	v_mad_u64_u32 v[21:22], s[0:1], v7, s37, 0
	v_xor_b32_e32 v3, s36, v3
	v_add_co_u32_e32 v9, vcc, v9, v21
	v_addc_co_u32_e32 v9, vcc, v11, v22, vcc
	v_addc_co_u32_e32 v11, vcc, 0, v24, vcc
	v_add_co_u32_e32 v9, vcc, v9, v23
	v_addc_co_u32_e32 v11, vcc, 0, v11, vcc
	v_mul_lo_u32 v13, s39, v9
	v_mul_lo_u32 v15, s38, v11
	v_mad_u64_u32 v[21:22], s[0:1], s38, v9, 0
	v_add3_u32 v13, v22, v15, v13
	v_sub_u32_e32 v15, v7, v13
	v_sub_co_u32_e32 v5, vcc, v5, v21
	v_subb_co_u32_e64 v15, s[0:1], v15, v17, vcc
	v_subrev_co_u32_e64 v17, s[0:1], s38, v5
	v_subbrev_co_u32_e64 v15, s[0:1], 0, v15, s[0:1]
	v_cmp_le_u32_e64 s[0:1], s39, v15
	v_cndmask_b32_e64 v19, 0, -1, s[0:1]
	v_cmp_le_u32_e64 s[0:1], s38, v17
	v_cndmask_b32_e64 v17, 0, -1, s[0:1]
	v_cmp_eq_u32_e64 s[0:1], s39, v15
	v_cndmask_b32_e64 v15, v19, v17, s[0:1]
	v_add_co_u32_e64 v17, s[0:1], 2, v9
	v_subb_co_u32_e32 v7, vcc, v7, v13, vcc
	v_addc_co_u32_e64 v19, s[0:1], 0, v11, s[0:1]
	v_cmp_le_u32_e32 vcc, s39, v7
	v_add_co_u32_e64 v21, s[0:1], 1, v9
	v_cndmask_b32_e64 v13, 0, -1, vcc
	v_cmp_le_u32_e32 vcc, s38, v5
	v_addc_co_u32_e64 v22, s[0:1], 0, v11, s[0:1]
	v_cndmask_b32_e64 v5, 0, -1, vcc
	v_cmp_eq_u32_e32 vcc, s39, v7
	v_cmp_ne_u32_e64 s[0:1], 0, v15
	v_cndmask_b32_e32 v5, v13, v5, vcc
	v_cmp_ne_u32_e32 vcc, 0, v5
	v_cndmask_b32_e64 v7, v21, v17, s[0:1]
	v_cndmask_b32_e64 v15, v22, v19, s[0:1]
	v_cndmask_b32_e32 v7, v9, v7, vcc
	v_cndmask_b32_e32 v5, v11, v15, vcc
	v_xor_b32_e32 v7, v7, v3
	v_xor_b32_e32 v5, v5, v3
	v_sub_co_u32_e32 v22, vcc, v7, v3
	v_subb_co_u32_e32 v23, vcc, v5, v3, vcc
.LBB28_49:                              ;   in Loop: Header=BB28_23 Depth=2
	s_andn2_saveexec_b64 s[0:1], s[34:35]
	s_cbranch_execz .LBB28_51
; %bb.50:                               ;   in Loop: Header=BB28_23 Depth=2
	v_cvt_f32_u32_e32 v3, s58
	s_sub_i32 s29, 0, s58
	v_mov_b32_e32 v23, v2
	v_rcp_iflag_f32_e32 v3, v3
	v_mul_f32_e32 v3, 0x4f7ffffe, v3
	v_cvt_u32_f32_e32 v3, v3
	v_mul_lo_u32 v5, s29, v3
	v_mul_hi_u32 v5, v3, v5
	v_add_u32_e32 v3, v3, v5
	v_mul_hi_u32 v3, v20, v3
	v_mul_lo_u32 v5, v3, s58
	v_add_u32_e32 v7, 1, v3
	v_sub_u32_e32 v5, v20, v5
	v_subrev_u32_e32 v9, s58, v5
	v_cmp_le_u32_e32 vcc, s58, v5
	v_cndmask_b32_e32 v5, v5, v9, vcc
	v_cndmask_b32_e32 v3, v3, v7, vcc
	v_add_u32_e32 v7, 1, v3
	v_cmp_le_u32_e32 vcc, s58, v5
	v_cndmask_b32_e32 v22, v3, v7, vcc
.LBB28_51:                              ;   in Loop: Header=BB28_23 Depth=2
	s_or_b64 exec, exec, s[0:1]
	s_add_u32 s0, s4, s30
	s_mov_b32 s29, s17
	s_addc_u32 s1, s5, s31
	s_lshl_b64 s[30:31], s[28:29], 2
	s_add_u32 s34, s40, s30
	s_addc_u32 s35, s41, s31
	s_load_dword s59, s[34:35], 0x8
	s_load_dword s29, s[0:1], 0x6c
                                        ; implicit-def: $vgpr24_vgpr25
	s_waitcnt lgkmcnt(0)
	s_ashr_i32 s0, s59, 31
	v_or_b32_e32 v3, s0, v23
	v_cmp_ne_u64_e32 vcc, 0, v[2:3]
	s_and_saveexec_b64 s[34:35], vcc
	s_xor_b64 s[34:35], exec, s[34:35]
	s_cbranch_execz .LBB28_53
; %bb.52:                               ;   in Loop: Header=BB28_23 Depth=2
	s_ashr_i32 s36, s0, 31
	s_add_u32 s38, s59, s36
	s_mov_b32 s37, s36
	s_addc_u32 s39, s0, s36
	s_xor_b64 s[38:39], s[38:39], s[36:37]
	v_cvt_f32_u32_e32 v3, s38
	v_cvt_f32_u32_e32 v5, s39
	s_sub_u32 s37, 0, s38
	s_subb_u32 s60, 0, s39
	v_mov_b32_e32 v17, s39
	v_mac_f32_e32 v3, 0x4f800000, v5
	v_rcp_f32_e32 v3, v3
	v_mul_f32_e32 v3, 0x5f7ffffc, v3
	v_mul_f32_e32 v5, 0x2f800000, v3
	v_trunc_f32_e32 v5, v5
	v_mac_f32_e32 v3, 0xcf800000, v5
	v_cvt_u32_f32_e32 v5, v5
	v_cvt_u32_f32_e32 v3, v3
	v_readfirstlane_b32 s61, v5
	v_readfirstlane_b32 s0, v3
	s_mul_i32 s1, s37, s61
	s_mul_hi_u32 s63, s37, s0
	s_mul_i32 s62, s60, s0
	s_add_i32 s1, s63, s1
	s_add_i32 s1, s1, s62
	s_mul_i32 s64, s37, s0
	s_mul_i32 s63, s0, s1
	s_mul_hi_u32 s65, s0, s64
	s_mul_hi_u32 s62, s0, s1
	s_add_u32 s63, s65, s63
	s_addc_u32 s62, 0, s62
	s_mul_hi_u32 s66, s61, s64
	s_mul_i32 s64, s61, s64
	s_add_u32 s63, s63, s64
	s_mul_hi_u32 s65, s61, s1
	s_addc_u32 s62, s62, s66
	s_addc_u32 s63, s65, 0
	s_mul_i32 s1, s61, s1
	s_add_u32 s1, s62, s1
	s_addc_u32 s62, 0, s63
	s_add_u32 s63, s0, s1
	s_cselect_b64 s[0:1], -1, 0
	s_cmp_lg_u64 s[0:1], 0
	s_addc_u32 s61, s61, s62
	s_mul_i32 s0, s37, s61
	s_mul_hi_u32 s1, s37, s63
	s_add_i32 s0, s1, s0
	s_mul_i32 s60, s60, s63
	s_add_i32 s0, s0, s60
	s_mul_i32 s37, s37, s63
	s_mul_hi_u32 s60, s61, s37
	s_mul_i32 s62, s61, s37
	s_mul_i32 s65, s63, s0
	s_mul_hi_u32 s37, s63, s37
	s_mul_hi_u32 s64, s63, s0
	s_add_u32 s37, s37, s65
	s_addc_u32 s64, 0, s64
	s_add_u32 s37, s37, s62
	s_mul_hi_u32 s1, s61, s0
	s_addc_u32 s37, s64, s60
	s_addc_u32 s1, s1, 0
	s_mul_i32 s0, s61, s0
	s_add_u32 s0, s37, s0
	s_addc_u32 s37, 0, s1
	s_add_u32 s60, s63, s0
	s_cselect_b64 s[0:1], -1, 0
	v_ashrrev_i32_e32 v3, 31, v23
	s_cmp_lg_u64 s[0:1], 0
	v_add_co_u32_e32 v5, vcc, v22, v3
	s_addc_u32 s37, s61, s37
	v_xor_b32_e32 v5, v5, v3
	v_addc_co_u32_e32 v7, vcc, v23, v3, vcc
	v_mad_u64_u32 v[23:24], s[0:1], v5, s37, 0
	v_mul_hi_u32 v9, v5, s60
	v_xor_b32_e32 v7, v7, v3
	v_mad_u64_u32 v[27:28], s[0:1], v7, s37, 0
	v_add_co_u32_e32 v9, vcc, v9, v23
	v_addc_co_u32_e32 v11, vcc, 0, v24, vcc
	v_mad_u64_u32 v[23:24], s[0:1], v7, s60, 0
	v_xor_b32_e32 v3, s36, v3
	v_add_co_u32_e32 v9, vcc, v9, v23
	v_addc_co_u32_e32 v9, vcc, v11, v24, vcc
	v_addc_co_u32_e32 v11, vcc, 0, v28, vcc
	v_add_co_u32_e32 v9, vcc, v9, v27
	v_addc_co_u32_e32 v11, vcc, 0, v11, vcc
	v_mul_lo_u32 v13, s39, v9
	v_mul_lo_u32 v15, s38, v11
	v_mad_u64_u32 v[23:24], s[0:1], s38, v9, 0
	v_add3_u32 v13, v24, v15, v13
	v_sub_u32_e32 v15, v7, v13
	v_sub_co_u32_e32 v5, vcc, v5, v23
	v_subb_co_u32_e64 v15, s[0:1], v15, v17, vcc
	v_subrev_co_u32_e64 v17, s[0:1], s38, v5
	v_subbrev_co_u32_e64 v15, s[0:1], 0, v15, s[0:1]
	v_cmp_le_u32_e64 s[0:1], s39, v15
	v_cndmask_b32_e64 v19, 0, -1, s[0:1]
	v_cmp_le_u32_e64 s[0:1], s38, v17
	v_cndmask_b32_e64 v17, 0, -1, s[0:1]
	v_cmp_eq_u32_e64 s[0:1], s39, v15
	v_cndmask_b32_e64 v15, v19, v17, s[0:1]
	v_add_co_u32_e64 v17, s[0:1], 2, v9
	v_subb_co_u32_e32 v7, vcc, v7, v13, vcc
	v_addc_co_u32_e64 v19, s[0:1], 0, v11, s[0:1]
	v_cmp_le_u32_e32 vcc, s39, v7
	v_add_co_u32_e64 v21, s[0:1], 1, v9
	v_cndmask_b32_e64 v13, 0, -1, vcc
	v_cmp_le_u32_e32 vcc, s38, v5
	v_addc_co_u32_e64 v23, s[0:1], 0, v11, s[0:1]
	v_cndmask_b32_e64 v5, 0, -1, vcc
	v_cmp_eq_u32_e32 vcc, s39, v7
	v_cmp_ne_u32_e64 s[0:1], 0, v15
	v_cndmask_b32_e32 v5, v13, v5, vcc
	v_cmp_ne_u32_e32 vcc, 0, v5
	v_cndmask_b32_e64 v7, v21, v17, s[0:1]
	v_cndmask_b32_e64 v15, v23, v19, s[0:1]
	v_cndmask_b32_e32 v7, v9, v7, vcc
	v_cndmask_b32_e32 v5, v11, v15, vcc
	v_xor_b32_e32 v7, v7, v3
	v_xor_b32_e32 v5, v5, v3
	v_sub_co_u32_e32 v24, vcc, v7, v3
	v_subb_co_u32_e32 v25, vcc, v5, v3, vcc
.LBB28_53:                              ;   in Loop: Header=BB28_23 Depth=2
	s_andn2_saveexec_b64 s[0:1], s[34:35]
	s_cbranch_execz .LBB28_55
; %bb.54:                               ;   in Loop: Header=BB28_23 Depth=2
	v_cvt_f32_u32_e32 v3, s59
	s_sub_i32 s34, 0, s59
	v_mov_b32_e32 v25, v2
	v_rcp_iflag_f32_e32 v3, v3
	v_mul_f32_e32 v3, 0x4f7ffffe, v3
	v_cvt_u32_f32_e32 v3, v3
	v_mul_lo_u32 v5, s34, v3
	v_mul_hi_u32 v5, v3, v5
	v_add_u32_e32 v3, v3, v5
	v_mul_hi_u32 v3, v22, v3
	v_mul_lo_u32 v5, v3, s59
	v_add_u32_e32 v7, 1, v3
	v_sub_u32_e32 v5, v22, v5
	v_subrev_u32_e32 v9, s59, v5
	v_cmp_le_u32_e32 vcc, s59, v5
	v_cndmask_b32_e32 v5, v5, v9, vcc
	v_cndmask_b32_e32 v3, v3, v7, vcc
	v_add_u32_e32 v7, 1, v3
	v_cmp_le_u32_e32 vcc, s59, v5
	v_cndmask_b32_e32 v24, v3, v7, vcc
.LBB28_55:                              ;   in Loop: Header=BB28_23 Depth=2
	s_or_b64 exec, exec, s[0:1]
	v_mul_lo_u32 v3, v10, s25
	v_mul_lo_u32 v5, v12, s49
	v_mul_lo_u32 v7, v14, s51
	s_add_u32 s0, s4, s30
	v_sub_u32_e32 v3, v8, v3
	v_mul_lo_u32 v8, v16, s53
	v_sub_u32_e32 v5, v10, v5
	v_mul_lo_u32 v3, s48, v3
	v_mul_lo_u32 v5, s50, v5
	v_sub_u32_e32 v7, v12, v7
	v_sub_u32_e32 v8, v14, v8
	v_mul_lo_u32 v7, s52, v7
	v_mul_lo_u32 v8, s55, v8
	v_mul_lo_u32 v9, v18, s54
	v_add3_u32 v3, v3, v6, v5
	v_mul_lo_u32 v5, v20, s57
	s_addc_u32 s1, s5, s31
	v_add3_u32 v3, v7, v3, v8
	v_mul_lo_u32 v7, v22, s58
	v_mul_lo_u32 v8, v24, s59
	s_load_dword s0, s[0:1], 0x6c
	v_sub_u32_e32 v6, v16, v9
	v_sub_u32_e32 v5, v18, v5
	v_mul_lo_u32 v6, s56, v6
	v_mul_lo_u32 v5, s16, v5
	v_sub_u32_e32 v7, v20, v7
	v_sub_u32_e32 v8, v22, v8
	v_mul_lo_u32 v7, s29, v7
	s_waitcnt lgkmcnt(0)
	v_mul_lo_u32 v8, s0, v8
	v_add3_u32 v3, v6, v3, v5
	s_add_i32 s28, s28, -8
	s_cmp_eq_u32 s28, -8
	v_add3_u32 v6, v7, v3, v8
	s_cbranch_scc1 .LBB28_57
; %bb.56:                               ;   in Loop: Header=BB28_23 Depth=2
	v_mov_b32_e32 v8, v24
	v_mov_b32_e32 v9, v25
	s_branch .LBB28_23
.LBB28_57:                              ;   in Loop: Header=BB28_3 Depth=1
	s_load_dword s0, s[2:3], 0x4
	v_ashrrev_i32_e32 v5, 31, v4
	v_cmp_lt_i64_e32 vcc, s[8:9], v[4:5]
	s_waitcnt lgkmcnt(0)
	v_cmp_gt_i32_e64 s[0:1], s0, v26
	s_and_b64 s[0:1], s[0:1], vcc
	s_and_b64 exec, exec, s[0:1]
	s_cbranch_execz .LBB28_2
; %bb.58:                               ;   in Loop: Header=BB28_3 Depth=1
	v_ashrrev_i32_e32 v7, 31, v6
	v_lshlrev_b64 v[3:4], 4, v[6:7]
	v_mov_b32_e32 v5, s13
	v_add_co_u32_e32 v6, vcc, s12, v3
	v_addc_co_u32_e32 v7, vcc, v5, v4, vcc
	v_mov_b32_e32 v3, v2
	v_mov_b32_e32 v4, v2
	;; [unrolled: 1-line block ×3, first 2 shown]
	global_store_dwordx4 v[6:7], v[2:5], off
	s_branch .LBB28_2
.LBB28_59:
	s_endpgm
	.section	.rodata,"a",@progbits
	.p2align	6, 0x0
	.amdhsa_kernel _ZN2at6native16triu_tril_kernelIN3c107complexIdEEiLb0ELi1ELb1EEEvNS_4cuda6detail10TensorInfoIT_T0_EENS7_IKS8_S9_EEllS9_
		.amdhsa_group_segment_fixed_size 0
		.amdhsa_private_segment_fixed_size 0
		.amdhsa_kernarg_size 712
		.amdhsa_user_sgpr_count 6
		.amdhsa_user_sgpr_private_segment_buffer 1
		.amdhsa_user_sgpr_dispatch_ptr 0
		.amdhsa_user_sgpr_queue_ptr 0
		.amdhsa_user_sgpr_kernarg_segment_ptr 1
		.amdhsa_user_sgpr_dispatch_id 0
		.amdhsa_user_sgpr_flat_scratch_init 0
		.amdhsa_user_sgpr_private_segment_size 0
		.amdhsa_uses_dynamic_stack 0
		.amdhsa_system_sgpr_private_segment_wavefront_offset 0
		.amdhsa_system_sgpr_workgroup_id_x 1
		.amdhsa_system_sgpr_workgroup_id_y 0
		.amdhsa_system_sgpr_workgroup_id_z 0
		.amdhsa_system_sgpr_workgroup_info 0
		.amdhsa_system_vgpr_workitem_id 0
		.amdhsa_next_free_vgpr 29
		.amdhsa_next_free_sgpr 67
		.amdhsa_reserve_vcc 1
		.amdhsa_reserve_flat_scratch 0
		.amdhsa_float_round_mode_32 0
		.amdhsa_float_round_mode_16_64 0
		.amdhsa_float_denorm_mode_32 3
		.amdhsa_float_denorm_mode_16_64 3
		.amdhsa_dx10_clamp 1
		.amdhsa_ieee_mode 1
		.amdhsa_fp16_overflow 0
		.amdhsa_exception_fp_ieee_invalid_op 0
		.amdhsa_exception_fp_denorm_src 0
		.amdhsa_exception_fp_ieee_div_zero 0
		.amdhsa_exception_fp_ieee_overflow 0
		.amdhsa_exception_fp_ieee_underflow 0
		.amdhsa_exception_fp_ieee_inexact 0
		.amdhsa_exception_int_div_zero 0
	.end_amdhsa_kernel
	.section	.text._ZN2at6native16triu_tril_kernelIN3c107complexIdEEiLb0ELi1ELb1EEEvNS_4cuda6detail10TensorInfoIT_T0_EENS7_IKS8_S9_EEllS9_,"axG",@progbits,_ZN2at6native16triu_tril_kernelIN3c107complexIdEEiLb0ELi1ELb1EEEvNS_4cuda6detail10TensorInfoIT_T0_EENS7_IKS8_S9_EEllS9_,comdat
.Lfunc_end28:
	.size	_ZN2at6native16triu_tril_kernelIN3c107complexIdEEiLb0ELi1ELb1EEEvNS_4cuda6detail10TensorInfoIT_T0_EENS7_IKS8_S9_EEllS9_, .Lfunc_end28-_ZN2at6native16triu_tril_kernelIN3c107complexIdEEiLb0ELi1ELb1EEEvNS_4cuda6detail10TensorInfoIT_T0_EENS7_IKS8_S9_EEllS9_
                                        ; -- End function
	.set _ZN2at6native16triu_tril_kernelIN3c107complexIdEEiLb0ELi1ELb1EEEvNS_4cuda6detail10TensorInfoIT_T0_EENS7_IKS8_S9_EEllS9_.num_vgpr, 29
	.set _ZN2at6native16triu_tril_kernelIN3c107complexIdEEiLb0ELi1ELb1EEEvNS_4cuda6detail10TensorInfoIT_T0_EENS7_IKS8_S9_EEllS9_.num_agpr, 0
	.set _ZN2at6native16triu_tril_kernelIN3c107complexIdEEiLb0ELi1ELb1EEEvNS_4cuda6detail10TensorInfoIT_T0_EENS7_IKS8_S9_EEllS9_.numbered_sgpr, 67
	.set _ZN2at6native16triu_tril_kernelIN3c107complexIdEEiLb0ELi1ELb1EEEvNS_4cuda6detail10TensorInfoIT_T0_EENS7_IKS8_S9_EEllS9_.num_named_barrier, 0
	.set _ZN2at6native16triu_tril_kernelIN3c107complexIdEEiLb0ELi1ELb1EEEvNS_4cuda6detail10TensorInfoIT_T0_EENS7_IKS8_S9_EEllS9_.private_seg_size, 0
	.set _ZN2at6native16triu_tril_kernelIN3c107complexIdEEiLb0ELi1ELb1EEEvNS_4cuda6detail10TensorInfoIT_T0_EENS7_IKS8_S9_EEllS9_.uses_vcc, 1
	.set _ZN2at6native16triu_tril_kernelIN3c107complexIdEEiLb0ELi1ELb1EEEvNS_4cuda6detail10TensorInfoIT_T0_EENS7_IKS8_S9_EEllS9_.uses_flat_scratch, 0
	.set _ZN2at6native16triu_tril_kernelIN3c107complexIdEEiLb0ELi1ELb1EEEvNS_4cuda6detail10TensorInfoIT_T0_EENS7_IKS8_S9_EEllS9_.has_dyn_sized_stack, 0
	.set _ZN2at6native16triu_tril_kernelIN3c107complexIdEEiLb0ELi1ELb1EEEvNS_4cuda6detail10TensorInfoIT_T0_EENS7_IKS8_S9_EEllS9_.has_recursion, 0
	.set _ZN2at6native16triu_tril_kernelIN3c107complexIdEEiLb0ELi1ELb1EEEvNS_4cuda6detail10TensorInfoIT_T0_EENS7_IKS8_S9_EEllS9_.has_indirect_call, 0
	.section	.AMDGPU.csdata,"",@progbits
; Kernel info:
; codeLenInByte = 9264
; TotalNumSgprs: 71
; NumVgprs: 29
; ScratchSize: 0
; MemoryBound: 0
; FloatMode: 240
; IeeeMode: 1
; LDSByteSize: 0 bytes/workgroup (compile time only)
; SGPRBlocks: 8
; VGPRBlocks: 7
; NumSGPRsForWavesPerEU: 71
; NumVGPRsForWavesPerEU: 29
; Occupancy: 8
; WaveLimiterHint : 0
; COMPUTE_PGM_RSRC2:SCRATCH_EN: 0
; COMPUTE_PGM_RSRC2:USER_SGPR: 6
; COMPUTE_PGM_RSRC2:TRAP_HANDLER: 0
; COMPUTE_PGM_RSRC2:TGID_X_EN: 1
; COMPUTE_PGM_RSRC2:TGID_Y_EN: 0
; COMPUTE_PGM_RSRC2:TGID_Z_EN: 0
; COMPUTE_PGM_RSRC2:TIDIG_COMP_CNT: 0
	.section	.text._ZN2at6native16triu_tril_kernelIN3c107complexIdEEiLb0ELi1ELb0EEEvNS_4cuda6detail10TensorInfoIT_T0_EENS7_IKS8_S9_EEllS9_,"axG",@progbits,_ZN2at6native16triu_tril_kernelIN3c107complexIdEEiLb0ELi1ELb0EEEvNS_4cuda6detail10TensorInfoIT_T0_EENS7_IKS8_S9_EEllS9_,comdat
	.protected	_ZN2at6native16triu_tril_kernelIN3c107complexIdEEiLb0ELi1ELb0EEEvNS_4cuda6detail10TensorInfoIT_T0_EENS7_IKS8_S9_EEllS9_ ; -- Begin function _ZN2at6native16triu_tril_kernelIN3c107complexIdEEiLb0ELi1ELb0EEEvNS_4cuda6detail10TensorInfoIT_T0_EENS7_IKS8_S9_EEllS9_
	.globl	_ZN2at6native16triu_tril_kernelIN3c107complexIdEEiLb0ELi1ELb0EEEvNS_4cuda6detail10TensorInfoIT_T0_EENS7_IKS8_S9_EEllS9_
	.p2align	8
	.type	_ZN2at6native16triu_tril_kernelIN3c107complexIdEEiLb0ELi1ELb0EEEvNS_4cuda6detail10TensorInfoIT_T0_EENS7_IKS8_S9_EEllS9_,@function
_ZN2at6native16triu_tril_kernelIN3c107complexIdEEiLb0ELi1ELb0EEEvNS_4cuda6detail10TensorInfoIT_T0_EENS7_IKS8_S9_EEllS9_: ; @_ZN2at6native16triu_tril_kernelIN3c107complexIdEEiLb0ELi1ELb0EEEvNS_4cuda6detail10TensorInfoIT_T0_EENS7_IKS8_S9_EEllS9_
; %bb.0:
	s_load_dword s2, s[4:5], 0x1d4
	s_load_dwordx4 s[8:11], s[4:5], 0x1b0
	s_add_u32 s0, s4, 0x1c8
	v_mov_b32_e32 v4, 0
	s_addc_u32 s1, s5, 0
	s_waitcnt lgkmcnt(0)
	s_and_b32 s20, s2, 0xffff
	v_mov_b32_e32 v1, v4
	v_mov_b32_e32 v2, s6
	v_mad_u64_u32 v[6:7], s[2:3], s20, v2, v[0:1]
	v_cmp_gt_i64_e32 vcc, s[10:11], v[6:7]
	s_and_saveexec_b64 s[2:3], vcc
	s_cbranch_execz .LBB29_43
; %bb.1:
	s_load_dword s33, s[4:5], 0x1c0
	s_load_dword s22, s[4:5], 0x1a8
	s_add_u32 s42, s4, 0xd8
	s_addc_u32 s43, s5, 0
	s_load_dwordx2 s[2:3], s[4:5], 0xd8
	s_waitcnt lgkmcnt(0)
	s_ashr_i32 s44, s33, 31
	s_ashr_i32 s23, s22, 31
	s_lshl_b64 s[16:17], s[22:23], 2
	s_add_u32 s18, s42, s16
	s_addc_u32 s19, s43, s17
	s_load_dwordx2 s[6:7], s[18:19], 0x0
	s_load_dword s21, s[0:1], 0x0
	s_load_dwordx2 s[14:15], s[18:19], 0x64
	v_cmp_gt_i64_e64 s[12:13], s[22:23], 2
	s_mov_b64 s[26:27], 0
	s_waitcnt lgkmcnt(0)
	s_ashr_i32 s45, s6, 31
	s_add_u32 s0, s4, s16
	s_addc_u32 s1, s5, s17
	s_load_dwordx2 s[16:17], s[0:1], 0x64
	s_load_dwordx2 s[18:19], s[4:5], 0x0
	s_add_i32 s46, s22, -3
	s_and_b32 s48, s22, 3
	s_cmp_lg_u32 s48, 2
	s_cselect_b64 s[22:23], -1, 0
	s_cmp_gt_u32 s46, 2
	s_mul_i32 s47, s21, s20
	s_mov_b32 s21, 0
	s_cselect_b64 s[24:25], -1, 0
	s_ashr_i32 s28, s44, 31
	s_branch .LBB29_3
.LBB29_2:                               ;   in Loop: Header=BB29_3 Depth=1
	s_or_b64 exec, exec, s[0:1]
	v_add_co_u32_e32 v6, vcc, s47, v6
	v_addc_co_u32_e32 v7, vcc, 0, v7, vcc
	v_cmp_le_i64_e32 vcc, s[10:11], v[6:7]
	s_or_b64 s[26:27], vcc, s[26:27]
	s_andn2_b64 exec, exec, s[26:27]
	s_cbranch_execz .LBB29_43
.LBB29_3:                               ; =>This Loop Header: Depth=1
                                        ;     Child Loop BB29_13 Depth 2
                                        ;     Child Loop BB29_21 Depth 2
	v_or_b32_e32 v5, s44, v7
	v_cmp_ne_u64_e32 vcc, 0, v[4:5]
                                        ; implicit-def: $vgpr2_vgpr3
	s_and_saveexec_b64 s[0:1], vcc
	s_xor_b64 s[30:31], exec, s[0:1]
	s_cbranch_execz .LBB29_5
; %bb.4:                                ;   in Loop: Header=BB29_3 Depth=1
	s_add_u32 s0, s33, s28
	s_mov_b32 s29, s28
	s_addc_u32 s1, s44, s28
	s_xor_b64 s[34:35], s[0:1], s[28:29]
	s_waitcnt vmcnt(0)
	v_cvt_f32_u32_e32 v0, s34
	v_cvt_f32_u32_e32 v1, s35
	s_sub_u32 s20, 0, s34
	s_subb_u32 s29, 0, s35
	v_ashrrev_i32_e32 v5, 31, v7
	v_mac_f32_e32 v0, 0x4f800000, v1
	v_rcp_f32_e32 v0, v0
	v_mul_f32_e32 v0, 0x5f7ffffc, v0
	v_mul_f32_e32 v1, 0x2f800000, v0
	v_trunc_f32_e32 v1, v1
	v_mac_f32_e32 v0, 0xcf800000, v1
	v_cvt_u32_f32_e32 v1, v1
	v_cvt_u32_f32_e32 v0, v0
	v_readfirstlane_b32 s36, v1
	v_readfirstlane_b32 s0, v0
	s_mul_i32 s1, s20, s36
	s_mul_hi_u32 s38, s20, s0
	s_mul_i32 s37, s29, s0
	s_add_i32 s1, s38, s1
	s_add_i32 s1, s1, s37
	s_mul_i32 s39, s20, s0
	s_mul_i32 s38, s0, s1
	s_mul_hi_u32 s40, s0, s39
	s_mul_hi_u32 s37, s0, s1
	s_add_u32 s38, s40, s38
	s_addc_u32 s37, 0, s37
	s_mul_hi_u32 s41, s36, s39
	s_mul_i32 s39, s36, s39
	s_add_u32 s38, s38, s39
	s_mul_hi_u32 s40, s36, s1
	s_addc_u32 s37, s37, s41
	s_addc_u32 s38, s40, 0
	s_mul_i32 s1, s36, s1
	s_add_u32 s1, s37, s1
	s_addc_u32 s37, 0, s38
	s_add_u32 s38, s0, s1
	s_cselect_b64 s[0:1], -1, 0
	s_cmp_lg_u64 s[0:1], 0
	s_addc_u32 s36, s36, s37
	s_mul_i32 s0, s20, s36
	s_mul_hi_u32 s1, s20, s38
	s_add_i32 s0, s1, s0
	s_mul_i32 s29, s29, s38
	s_add_i32 s0, s0, s29
	s_mul_i32 s20, s20, s38
	s_mul_hi_u32 s29, s36, s20
	s_mul_i32 s37, s36, s20
	s_mul_i32 s40, s38, s0
	s_mul_hi_u32 s20, s38, s20
	s_mul_hi_u32 s39, s38, s0
	s_add_u32 s20, s20, s40
	s_addc_u32 s39, 0, s39
	s_add_u32 s20, s20, s37
	s_mul_hi_u32 s1, s36, s0
	s_addc_u32 s20, s39, s29
	s_addc_u32 s1, s1, 0
	s_mul_i32 s0, s36, s0
	s_add_u32 s0, s20, s0
	s_addc_u32 s20, 0, s1
	s_add_u32 s29, s38, s0
	s_cselect_b64 s[0:1], -1, 0
	s_cmp_lg_u64 s[0:1], 0
	v_add_co_u32_e32 v0, vcc, v6, v5
	s_addc_u32 s20, s36, s20
	v_xor_b32_e32 v8, v0, v5
	v_mad_u64_u32 v[0:1], s[0:1], v8, s20, 0
	v_mul_hi_u32 v3, v8, s29
	v_addc_co_u32_e32 v2, vcc, v7, v5, vcc
	v_xor_b32_e32 v9, v2, v5
	v_add_co_u32_e32 v10, vcc, v3, v0
	v_addc_co_u32_e32 v11, vcc, 0, v1, vcc
	v_mad_u64_u32 v[0:1], s[0:1], v9, s29, 0
	v_mad_u64_u32 v[2:3], s[0:1], v9, s20, 0
	v_add_co_u32_e32 v0, vcc, v10, v0
	v_addc_co_u32_e32 v0, vcc, v11, v1, vcc
	v_addc_co_u32_e32 v1, vcc, 0, v3, vcc
	v_add_co_u32_e32 v2, vcc, v0, v2
	v_addc_co_u32_e32 v3, vcc, 0, v1, vcc
	v_mul_lo_u32 v10, s35, v2
	v_mul_lo_u32 v11, s34, v3
	v_mad_u64_u32 v[0:1], s[0:1], s34, v2, 0
	v_add3_u32 v1, v1, v11, v10
	v_sub_u32_e32 v10, v9, v1
	v_mov_b32_e32 v11, s35
	v_sub_co_u32_e32 v0, vcc, v8, v0
	v_subb_co_u32_e64 v8, s[0:1], v10, v11, vcc
	v_subrev_co_u32_e64 v10, s[0:1], s34, v0
	v_subbrev_co_u32_e64 v8, s[0:1], 0, v8, s[0:1]
	v_cmp_le_u32_e64 s[0:1], s35, v8
	v_cndmask_b32_e64 v11, 0, -1, s[0:1]
	v_cmp_le_u32_e64 s[0:1], s34, v10
	v_cndmask_b32_e64 v10, 0, -1, s[0:1]
	v_cmp_eq_u32_e64 s[0:1], s35, v8
	v_cndmask_b32_e64 v8, v11, v10, s[0:1]
	v_add_co_u32_e64 v10, s[0:1], 2, v2
	v_subb_co_u32_e32 v1, vcc, v9, v1, vcc
	v_addc_co_u32_e64 v11, s[0:1], 0, v3, s[0:1]
	v_cmp_le_u32_e32 vcc, s35, v1
	v_add_co_u32_e64 v12, s[0:1], 1, v2
	v_cndmask_b32_e64 v9, 0, -1, vcc
	v_cmp_le_u32_e32 vcc, s34, v0
	v_addc_co_u32_e64 v13, s[0:1], 0, v3, s[0:1]
	v_cndmask_b32_e64 v0, 0, -1, vcc
	v_cmp_eq_u32_e32 vcc, s35, v1
	v_cmp_ne_u32_e64 s[0:1], 0, v8
	v_cndmask_b32_e32 v0, v9, v0, vcc
	v_cndmask_b32_e64 v8, v13, v11, s[0:1]
	v_cmp_ne_u32_e32 vcc, 0, v0
	v_cndmask_b32_e64 v1, v12, v10, s[0:1]
	v_cndmask_b32_e32 v0, v3, v8, vcc
	v_cndmask_b32_e32 v1, v2, v1, vcc
	v_xor_b32_e32 v3, s28, v5
	v_xor_b32_e32 v1, v1, v3
	;; [unrolled: 1-line block ×3, first 2 shown]
	v_sub_co_u32_e32 v2, vcc, v1, v3
	v_subb_co_u32_e32 v3, vcc, v0, v3, vcc
.LBB29_5:                               ;   in Loop: Header=BB29_3 Depth=1
	s_andn2_saveexec_b64 s[0:1], s[30:31]
	s_cbranch_execz .LBB29_7
; %bb.6:                                ;   in Loop: Header=BB29_3 Depth=1
	s_waitcnt vmcnt(0)
	v_cvt_f32_u32_e32 v0, s33
	s_sub_i32 s20, 0, s33
	v_rcp_iflag_f32_e32 v0, v0
	v_mul_f32_e32 v0, 0x4f7ffffe, v0
	v_cvt_u32_f32_e32 v0, v0
	v_mul_lo_u32 v1, s20, v0
	v_mul_hi_u32 v1, v0, v1
	v_add_u32_e32 v0, v0, v1
	v_mul_hi_u32 v0, v6, v0
	v_mul_lo_u32 v1, v0, s33
	v_add_u32_e32 v2, 1, v0
	v_sub_u32_e32 v1, v6, v1
	v_subrev_u32_e32 v3, s33, v1
	v_cmp_le_u32_e32 vcc, s33, v1
	v_cndmask_b32_e32 v1, v1, v3, vcc
	v_cndmask_b32_e32 v0, v0, v2, vcc
	v_add_u32_e32 v2, 1, v0
	v_cmp_le_u32_e32 vcc, s33, v1
	v_cndmask_b32_e32 v2, v0, v2, vcc
	v_mov_b32_e32 v3, v4
.LBB29_7:                               ;   in Loop: Header=BB29_3 Depth=1
	s_or_b64 exec, exec, s[0:1]
	s_waitcnt vmcnt(0)
	v_or_b32_e32 v5, s45, v3
	v_cmp_ne_u64_e32 vcc, 0, v[4:5]
                                        ; implicit-def: $vgpr0_vgpr1
	s_and_saveexec_b64 s[0:1], vcc
	s_xor_b64 s[30:31], exec, s[0:1]
	s_cbranch_execz .LBB29_9
; %bb.8:                                ;   in Loop: Header=BB29_3 Depth=1
	s_ashr_i32 s34, s45, 31
	s_add_u32 s0, s6, s34
	s_mov_b32 s35, s34
	s_addc_u32 s1, s45, s34
	s_xor_b64 s[36:37], s[0:1], s[34:35]
	v_cvt_f32_u32_e32 v0, s36
	v_cvt_f32_u32_e32 v1, s37
	s_sub_u32 s20, 0, s36
	s_subb_u32 s29, 0, s37
	v_ashrrev_i32_e32 v5, 31, v3
	v_mac_f32_e32 v0, 0x4f800000, v1
	v_rcp_f32_e32 v0, v0
	v_mul_f32_e32 v0, 0x5f7ffffc, v0
	v_mul_f32_e32 v1, 0x2f800000, v0
	v_trunc_f32_e32 v1, v1
	v_mac_f32_e32 v0, 0xcf800000, v1
	v_cvt_u32_f32_e32 v1, v1
	v_cvt_u32_f32_e32 v0, v0
	v_readfirstlane_b32 s35, v1
	v_readfirstlane_b32 s0, v0
	s_mul_i32 s1, s20, s35
	s_mul_hi_u32 s39, s20, s0
	s_mul_i32 s38, s29, s0
	s_add_i32 s1, s39, s1
	s_add_i32 s1, s1, s38
	s_mul_i32 s40, s20, s0
	s_mul_i32 s39, s0, s1
	s_mul_hi_u32 s41, s0, s40
	s_mul_hi_u32 s38, s0, s1
	s_add_u32 s39, s41, s39
	s_addc_u32 s38, 0, s38
	s_mul_hi_u32 s49, s35, s40
	s_mul_i32 s40, s35, s40
	s_add_u32 s39, s39, s40
	s_mul_hi_u32 s41, s35, s1
	s_addc_u32 s38, s38, s49
	s_addc_u32 s39, s41, 0
	s_mul_i32 s1, s35, s1
	s_add_u32 s1, s38, s1
	s_addc_u32 s38, 0, s39
	s_add_u32 s39, s0, s1
	s_cselect_b64 s[0:1], -1, 0
	s_cmp_lg_u64 s[0:1], 0
	s_addc_u32 s35, s35, s38
	s_mul_i32 s0, s20, s35
	s_mul_hi_u32 s1, s20, s39
	s_add_i32 s0, s1, s0
	s_mul_i32 s29, s29, s39
	s_add_i32 s0, s0, s29
	s_mul_i32 s20, s20, s39
	s_mul_hi_u32 s29, s35, s20
	s_mul_i32 s38, s35, s20
	s_mul_i32 s41, s39, s0
	s_mul_hi_u32 s20, s39, s20
	s_mul_hi_u32 s40, s39, s0
	s_add_u32 s20, s20, s41
	s_addc_u32 s40, 0, s40
	s_add_u32 s20, s20, s38
	s_mul_hi_u32 s1, s35, s0
	s_addc_u32 s20, s40, s29
	s_addc_u32 s1, s1, 0
	s_mul_i32 s0, s35, s0
	s_add_u32 s0, s20, s0
	s_addc_u32 s20, 0, s1
	s_add_u32 s29, s39, s0
	s_cselect_b64 s[0:1], -1, 0
	s_cmp_lg_u64 s[0:1], 0
	v_add_co_u32_e32 v0, vcc, v2, v5
	s_addc_u32 s20, s35, s20
	v_xor_b32_e32 v10, v0, v5
	v_mad_u64_u32 v[0:1], s[0:1], v10, s20, 0
	v_mul_hi_u32 v8, v10, s29
	v_addc_co_u32_e32 v3, vcc, v3, v5, vcc
	v_xor_b32_e32 v3, v3, v5
	v_add_co_u32_e32 v11, vcc, v8, v0
	v_addc_co_u32_e32 v12, vcc, 0, v1, vcc
	v_mad_u64_u32 v[0:1], s[0:1], v3, s29, 0
	v_mad_u64_u32 v[8:9], s[0:1], v3, s20, 0
	v_add_co_u32_e32 v0, vcc, v11, v0
	v_addc_co_u32_e32 v0, vcc, v12, v1, vcc
	v_addc_co_u32_e32 v1, vcc, 0, v9, vcc
	v_add_co_u32_e32 v8, vcc, v0, v8
	v_addc_co_u32_e32 v9, vcc, 0, v1, vcc
	v_mul_lo_u32 v11, s37, v8
	v_mul_lo_u32 v12, s36, v9
	v_mad_u64_u32 v[0:1], s[0:1], s36, v8, 0
	v_add3_u32 v1, v1, v12, v11
	v_sub_u32_e32 v11, v3, v1
	v_mov_b32_e32 v12, s37
	v_sub_co_u32_e32 v0, vcc, v10, v0
	v_subb_co_u32_e64 v10, s[0:1], v11, v12, vcc
	v_subrev_co_u32_e64 v11, s[0:1], s36, v0
	v_subbrev_co_u32_e64 v10, s[0:1], 0, v10, s[0:1]
	v_cmp_le_u32_e64 s[0:1], s37, v10
	v_cndmask_b32_e64 v12, 0, -1, s[0:1]
	v_cmp_le_u32_e64 s[0:1], s36, v11
	v_cndmask_b32_e64 v11, 0, -1, s[0:1]
	v_cmp_eq_u32_e64 s[0:1], s37, v10
	v_cndmask_b32_e64 v10, v12, v11, s[0:1]
	v_add_co_u32_e64 v11, s[0:1], 2, v8
	v_subb_co_u32_e32 v1, vcc, v3, v1, vcc
	v_addc_co_u32_e64 v12, s[0:1], 0, v9, s[0:1]
	v_cmp_le_u32_e32 vcc, s37, v1
	v_add_co_u32_e64 v13, s[0:1], 1, v8
	v_cndmask_b32_e64 v3, 0, -1, vcc
	v_cmp_le_u32_e32 vcc, s36, v0
	v_addc_co_u32_e64 v14, s[0:1], 0, v9, s[0:1]
	v_cndmask_b32_e64 v0, 0, -1, vcc
	v_cmp_eq_u32_e32 vcc, s37, v1
	v_cmp_ne_u32_e64 s[0:1], 0, v10
	v_cndmask_b32_e32 v0, v3, v0, vcc
	v_cndmask_b32_e64 v10, v14, v12, s[0:1]
	v_cmp_ne_u32_e32 vcc, 0, v0
	v_cndmask_b32_e64 v1, v13, v11, s[0:1]
	v_cndmask_b32_e32 v0, v9, v10, vcc
	v_cndmask_b32_e32 v1, v8, v1, vcc
	v_xor_b32_e32 v3, s34, v5
	v_xor_b32_e32 v5, v0, v3
	v_xor_b32_e32 v0, v1, v3
	v_sub_co_u32_e32 v0, vcc, v0, v3
	v_subb_co_u32_e32 v1, vcc, v5, v3, vcc
.LBB29_9:                               ;   in Loop: Header=BB29_3 Depth=1
	s_andn2_saveexec_b64 s[0:1], s[30:31]
	s_cbranch_execz .LBB29_11
; %bb.10:                               ;   in Loop: Header=BB29_3 Depth=1
	v_cvt_f32_u32_e32 v0, s6
	s_sub_i32 s20, 0, s6
	v_rcp_iflag_f32_e32 v0, v0
	v_mul_f32_e32 v0, 0x4f7ffffe, v0
	v_cvt_u32_f32_e32 v0, v0
	v_mul_lo_u32 v1, s20, v0
	v_mul_hi_u32 v1, v0, v1
	v_add_u32_e32 v0, v0, v1
	v_mul_hi_u32 v0, v2, v0
	v_mul_lo_u32 v1, v0, s6
	v_add_u32_e32 v3, 1, v0
	v_sub_u32_e32 v1, v2, v1
	v_subrev_u32_e32 v5, s6, v1
	v_cmp_le_u32_e32 vcc, s6, v1
	v_cndmask_b32_e32 v1, v1, v5, vcc
	v_cndmask_b32_e32 v0, v0, v3, vcc
	v_add_u32_e32 v3, 1, v0
	v_cmp_le_u32_e32 vcc, s6, v1
	v_cndmask_b32_e32 v0, v0, v3, vcc
	v_mov_b32_e32 v1, v4
.LBB29_11:                              ;   in Loop: Header=BB29_3 Depth=1
	s_or_b64 exec, exec, s[0:1]
	v_mad_u64_u32 v[8:9], s[0:1], v2, s33, 0
	v_mad_u64_u32 v[9:10], s[0:1], v0, s6, 0
	v_sub_co_u32_e32 v17, vcc, v6, v8
	v_mul_lo_u32 v3, s15, v17
	v_sub_co_u32_e32 v18, vcc, v2, v9
	s_waitcnt lgkmcnt(0)
	v_mul_lo_u32 v2, s17, v17
	v_mad_u64_u32 v[10:11], s[0:1], s14, v18, v[3:4]
	s_andn2_b64 vcc, exec, s[12:13]
	v_mad_u64_u32 v[8:9], s[0:1], s16, v18, v[2:3]
	s_cbranch_vccnz .LBB29_39
; %bb.12:                               ;   in Loop: Header=BB29_3 Depth=1
	s_mov_b32 s29, 1
	s_andn2_b64 vcc, exec, s[22:23]
	s_mov_b32 s20, s46
	s_mov_b32 s0, s46
	s_cbranch_vccnz .LBB29_20
.LBB29_13:                              ;   Parent Loop BB29_3 Depth=1
                                        ; =>  This Inner Loop Header: Depth=2
	s_lshl_b64 s[30:31], s[20:21], 2
	s_add_u32 s34, s42, s30
	s_addc_u32 s35, s43, s31
	s_load_dword s49, s[34:35], 0x8
                                        ; implicit-def: $vgpr2_vgpr3
	s_waitcnt lgkmcnt(0)
	s_ashr_i32 s0, s49, 31
	v_or_b32_e32 v5, s0, v1
	v_cmp_ne_u64_e32 vcc, 0, v[4:5]
	s_and_saveexec_b64 s[36:37], vcc
	s_xor_b64 s[36:37], exec, s[36:37]
	s_cbranch_execz .LBB29_15
; %bb.14:                               ;   in Loop: Header=BB29_13 Depth=2
	s_ashr_i32 s38, s0, 31
	s_add_u32 s40, s49, s38
	s_mov_b32 s39, s38
	s_addc_u32 s41, s0, s38
	s_xor_b64 s[40:41], s[40:41], s[38:39]
	v_cvt_f32_u32_e32 v2, s40
	v_cvt_f32_u32_e32 v3, s41
	s_sub_u32 s39, 0, s40
	s_subb_u32 s50, 0, s41
	v_mac_f32_e32 v2, 0x4f800000, v3
	v_rcp_f32_e32 v2, v2
	v_mul_f32_e32 v2, 0x5f7ffffc, v2
	v_mul_f32_e32 v3, 0x2f800000, v2
	v_trunc_f32_e32 v3, v3
	v_mac_f32_e32 v2, 0xcf800000, v3
	v_cvt_u32_f32_e32 v3, v3
	v_cvt_u32_f32_e32 v2, v2
	v_readfirstlane_b32 s51, v3
	v_readfirstlane_b32 s0, v2
	s_mul_i32 s1, s39, s51
	s_mul_hi_u32 s53, s39, s0
	s_mul_i32 s52, s50, s0
	s_add_i32 s1, s53, s1
	s_add_i32 s1, s1, s52
	s_mul_i32 s54, s39, s0
	s_mul_i32 s53, s0, s1
	s_mul_hi_u32 s55, s0, s54
	s_mul_hi_u32 s52, s0, s1
	s_add_u32 s53, s55, s53
	s_addc_u32 s52, 0, s52
	s_mul_hi_u32 s56, s51, s54
	s_mul_i32 s54, s51, s54
	s_add_u32 s53, s53, s54
	s_mul_hi_u32 s55, s51, s1
	s_addc_u32 s52, s52, s56
	s_addc_u32 s53, s55, 0
	s_mul_i32 s1, s51, s1
	s_add_u32 s1, s52, s1
	s_addc_u32 s52, 0, s53
	s_add_u32 s53, s0, s1
	s_cselect_b64 s[0:1], -1, 0
	s_cmp_lg_u64 s[0:1], 0
	s_addc_u32 s51, s51, s52
	s_mul_i32 s0, s39, s51
	s_mul_hi_u32 s1, s39, s53
	s_add_i32 s0, s1, s0
	s_mul_i32 s50, s50, s53
	s_add_i32 s0, s0, s50
	s_mul_i32 s39, s39, s53
	s_mul_hi_u32 s50, s51, s39
	s_mul_i32 s52, s51, s39
	s_mul_i32 s55, s53, s0
	s_mul_hi_u32 s39, s53, s39
	s_mul_hi_u32 s54, s53, s0
	s_add_u32 s39, s39, s55
	s_addc_u32 s54, 0, s54
	s_add_u32 s39, s39, s52
	s_mul_hi_u32 s1, s51, s0
	s_addc_u32 s39, s54, s50
	s_addc_u32 s1, s1, 0
	s_mul_i32 s0, s51, s0
	s_add_u32 s0, s39, s0
	s_addc_u32 s39, 0, s1
	s_add_u32 s50, s53, s0
	s_cselect_b64 s[0:1], -1, 0
	v_ashrrev_i32_e32 v3, 31, v1
	s_cmp_lg_u64 s[0:1], 0
	v_add_co_u32_e32 v2, vcc, v0, v3
	s_addc_u32 s39, s51, s39
	v_xor_b32_e32 v9, v2, v3
	v_addc_co_u32_e32 v5, vcc, v1, v3, vcc
	v_mad_u64_u32 v[1:2], s[0:1], v9, s39, 0
	v_mul_hi_u32 v11, v9, s50
	v_xor_b32_e32 v5, v5, v3
	v_xor_b32_e32 v3, s38, v3
	v_add_co_u32_e32 v13, vcc, v11, v1
	v_addc_co_u32_e32 v14, vcc, 0, v2, vcc
	v_mad_u64_u32 v[1:2], s[0:1], v5, s50, 0
	v_mad_u64_u32 v[11:12], s[0:1], v5, s39, 0
	v_add_co_u32_e32 v1, vcc, v13, v1
	v_addc_co_u32_e32 v1, vcc, v14, v2, vcc
	v_addc_co_u32_e32 v2, vcc, 0, v12, vcc
	v_add_co_u32_e32 v11, vcc, v1, v11
	v_addc_co_u32_e32 v12, vcc, 0, v2, vcc
	v_mul_lo_u32 v13, s41, v11
	v_mul_lo_u32 v14, s40, v12
	v_mad_u64_u32 v[1:2], s[0:1], s40, v11, 0
	v_add3_u32 v2, v2, v14, v13
	v_sub_u32_e32 v13, v5, v2
	v_mov_b32_e32 v14, s41
	v_sub_co_u32_e32 v1, vcc, v9, v1
	v_subb_co_u32_e64 v9, s[0:1], v13, v14, vcc
	v_subrev_co_u32_e64 v13, s[0:1], s40, v1
	v_subbrev_co_u32_e64 v9, s[0:1], 0, v9, s[0:1]
	v_cmp_le_u32_e64 s[0:1], s41, v9
	v_cndmask_b32_e64 v14, 0, -1, s[0:1]
	v_cmp_le_u32_e64 s[0:1], s40, v13
	v_cndmask_b32_e64 v13, 0, -1, s[0:1]
	v_cmp_eq_u32_e64 s[0:1], s41, v9
	v_cndmask_b32_e64 v9, v14, v13, s[0:1]
	v_add_co_u32_e64 v13, s[0:1], 2, v11
	v_subb_co_u32_e32 v2, vcc, v5, v2, vcc
	v_addc_co_u32_e64 v14, s[0:1], 0, v12, s[0:1]
	v_cmp_le_u32_e32 vcc, s41, v2
	v_add_co_u32_e64 v15, s[0:1], 1, v11
	v_cndmask_b32_e64 v5, 0, -1, vcc
	v_cmp_le_u32_e32 vcc, s40, v1
	v_addc_co_u32_e64 v16, s[0:1], 0, v12, s[0:1]
	v_cndmask_b32_e64 v1, 0, -1, vcc
	v_cmp_eq_u32_e32 vcc, s41, v2
	v_cmp_ne_u32_e64 s[0:1], 0, v9
	v_cndmask_b32_e32 v1, v5, v1, vcc
	v_cmp_ne_u32_e32 vcc, 0, v1
	v_cndmask_b32_e64 v2, v15, v13, s[0:1]
	v_cndmask_b32_e64 v9, v16, v14, s[0:1]
	v_cndmask_b32_e32 v2, v11, v2, vcc
	v_cndmask_b32_e32 v1, v12, v9, vcc
	v_xor_b32_e32 v2, v2, v3
	v_xor_b32_e32 v1, v1, v3
	v_sub_co_u32_e32 v2, vcc, v2, v3
	v_subb_co_u32_e32 v3, vcc, v1, v3, vcc
.LBB29_15:                              ;   in Loop: Header=BB29_13 Depth=2
	s_andn2_saveexec_b64 s[0:1], s[36:37]
	s_cbranch_execz .LBB29_17
; %bb.16:                               ;   in Loop: Header=BB29_13 Depth=2
	v_cvt_f32_u32_e32 v1, s49
	s_sub_i32 s36, 0, s49
	v_rcp_iflag_f32_e32 v1, v1
	v_mul_f32_e32 v1, 0x4f7ffffe, v1
	v_cvt_u32_f32_e32 v1, v1
	v_mul_lo_u32 v2, s36, v1
	v_mul_hi_u32 v2, v1, v2
	v_add_u32_e32 v1, v1, v2
	v_mul_hi_u32 v1, v0, v1
	v_mul_lo_u32 v2, v1, s49
	v_add_u32_e32 v3, 1, v1
	v_sub_u32_e32 v2, v0, v2
	v_subrev_u32_e32 v5, s49, v2
	v_cmp_le_u32_e32 vcc, s49, v2
	v_cndmask_b32_e32 v2, v2, v5, vcc
	v_cndmask_b32_e32 v1, v1, v3, vcc
	v_add_u32_e32 v3, 1, v1
	v_cmp_le_u32_e32 vcc, s49, v2
	v_cndmask_b32_e32 v2, v1, v3, vcc
	v_mov_b32_e32 v3, v4
.LBB29_17:                              ;   in Loop: Header=BB29_13 Depth=2
	s_or_b64 exec, exec, s[0:1]
	s_add_u32 s0, s4, s30
	s_addc_u32 s1, s5, s31
	v_mul_lo_u32 v1, v2, s49
	s_load_dword s34, s[34:35], 0x6c
	s_add_i32 s20, s20, -1
	s_load_dword s30, s[0:1], 0x6c
	v_sub_u32_e32 v0, v0, v1
	s_waitcnt lgkmcnt(0)
	v_mad_u64_u32 v[10:11], s[0:1], s34, v0, v[10:11]
	v_mad_u64_u32 v[8:9], s[0:1], s30, v0, v[8:9]
	s_xor_b32 s0, s48, s29
	s_add_i32 s29, s29, 1
	s_cmp_lg_u32 s0, 2
	s_cbranch_scc0 .LBB29_19
; %bb.18:                               ;   in Loop: Header=BB29_13 Depth=2
	v_mov_b32_e32 v0, v2
	v_mov_b32_e32 v1, v3
	s_branch .LBB29_13
.LBB29_19:                              ;   in Loop: Header=BB29_3 Depth=1
	v_mov_b32_e32 v0, v2
	s_mov_b32 s0, s20
	v_mov_b32_e32 v1, v3
.LBB29_20:                              ;   in Loop: Header=BB29_3 Depth=1
	s_and_b64 vcc, exec, s[24:25]
	s_mov_b32 s20, s0
	s_cbranch_vccz .LBB29_39
.LBB29_21:                              ;   Parent Loop BB29_3 Depth=1
                                        ; =>  This Inner Loop Header: Depth=2
	s_lshl_b64 s[30:31], s[20:21], 2
	s_add_u32 s34, s42, s30
	s_addc_u32 s35, s43, s31
	s_load_dword s29, s[34:35], 0x8
                                        ; implicit-def: $vgpr2_vgpr3
	s_waitcnt lgkmcnt(0)
	s_ashr_i32 s0, s29, 31
	v_or_b32_e32 v5, s0, v1
	v_cmp_ne_u64_e32 vcc, 0, v[4:5]
	s_and_saveexec_b64 s[36:37], vcc
	s_xor_b64 s[36:37], exec, s[36:37]
	s_cbranch_execz .LBB29_23
; %bb.22:                               ;   in Loop: Header=BB29_21 Depth=2
	s_ashr_i32 s38, s0, 31
	s_add_u32 s40, s29, s38
	s_mov_b32 s39, s38
	s_addc_u32 s41, s0, s38
	s_xor_b64 s[40:41], s[40:41], s[38:39]
	v_cvt_f32_u32_e32 v2, s40
	v_cvt_f32_u32_e32 v3, s41
	s_sub_u32 s39, 0, s40
	s_subb_u32 s49, 0, s41
	v_mac_f32_e32 v2, 0x4f800000, v3
	v_rcp_f32_e32 v2, v2
	v_mul_f32_e32 v2, 0x5f7ffffc, v2
	v_mul_f32_e32 v3, 0x2f800000, v2
	v_trunc_f32_e32 v3, v3
	v_mac_f32_e32 v2, 0xcf800000, v3
	v_cvt_u32_f32_e32 v3, v3
	v_cvt_u32_f32_e32 v2, v2
	v_readfirstlane_b32 s50, v3
	v_readfirstlane_b32 s0, v2
	s_mul_i32 s1, s39, s50
	s_mul_hi_u32 s52, s39, s0
	s_mul_i32 s51, s49, s0
	s_add_i32 s1, s52, s1
	s_add_i32 s1, s1, s51
	s_mul_i32 s53, s39, s0
	s_mul_i32 s52, s0, s1
	s_mul_hi_u32 s54, s0, s53
	s_mul_hi_u32 s51, s0, s1
	s_add_u32 s52, s54, s52
	s_addc_u32 s51, 0, s51
	s_mul_hi_u32 s55, s50, s53
	s_mul_i32 s53, s50, s53
	s_add_u32 s52, s52, s53
	s_mul_hi_u32 s54, s50, s1
	s_addc_u32 s51, s51, s55
	s_addc_u32 s52, s54, 0
	s_mul_i32 s1, s50, s1
	s_add_u32 s1, s51, s1
	s_addc_u32 s51, 0, s52
	s_add_u32 s52, s0, s1
	s_cselect_b64 s[0:1], -1, 0
	s_cmp_lg_u64 s[0:1], 0
	s_addc_u32 s50, s50, s51
	s_mul_i32 s0, s39, s50
	s_mul_hi_u32 s1, s39, s52
	s_add_i32 s0, s1, s0
	s_mul_i32 s49, s49, s52
	s_add_i32 s0, s0, s49
	s_mul_i32 s39, s39, s52
	s_mul_hi_u32 s49, s50, s39
	s_mul_i32 s51, s50, s39
	s_mul_i32 s54, s52, s0
	s_mul_hi_u32 s39, s52, s39
	s_mul_hi_u32 s53, s52, s0
	s_add_u32 s39, s39, s54
	s_addc_u32 s53, 0, s53
	s_add_u32 s39, s39, s51
	s_mul_hi_u32 s1, s50, s0
	s_addc_u32 s39, s53, s49
	s_addc_u32 s1, s1, 0
	s_mul_i32 s0, s50, s0
	s_add_u32 s0, s39, s0
	s_addc_u32 s39, 0, s1
	s_add_u32 s49, s52, s0
	s_cselect_b64 s[0:1], -1, 0
	v_ashrrev_i32_e32 v3, 31, v1
	s_cmp_lg_u64 s[0:1], 0
	v_add_co_u32_e32 v2, vcc, v0, v3
	s_addc_u32 s39, s50, s39
	v_xor_b32_e32 v9, v2, v3
	v_addc_co_u32_e32 v5, vcc, v1, v3, vcc
	v_mad_u64_u32 v[1:2], s[0:1], v9, s39, 0
	v_mul_hi_u32 v11, v9, s49
	v_xor_b32_e32 v5, v5, v3
	v_xor_b32_e32 v3, s38, v3
	v_add_co_u32_e32 v13, vcc, v11, v1
	v_addc_co_u32_e32 v14, vcc, 0, v2, vcc
	v_mad_u64_u32 v[1:2], s[0:1], v5, s49, 0
	v_mad_u64_u32 v[11:12], s[0:1], v5, s39, 0
	v_add_co_u32_e32 v1, vcc, v13, v1
	v_addc_co_u32_e32 v1, vcc, v14, v2, vcc
	v_addc_co_u32_e32 v2, vcc, 0, v12, vcc
	v_add_co_u32_e32 v11, vcc, v1, v11
	v_addc_co_u32_e32 v12, vcc, 0, v2, vcc
	v_mul_lo_u32 v13, s41, v11
	v_mul_lo_u32 v14, s40, v12
	v_mad_u64_u32 v[1:2], s[0:1], s40, v11, 0
	v_add3_u32 v2, v2, v14, v13
	v_sub_u32_e32 v13, v5, v2
	v_mov_b32_e32 v14, s41
	v_sub_co_u32_e32 v1, vcc, v9, v1
	v_subb_co_u32_e64 v9, s[0:1], v13, v14, vcc
	v_subrev_co_u32_e64 v13, s[0:1], s40, v1
	v_subbrev_co_u32_e64 v9, s[0:1], 0, v9, s[0:1]
	v_cmp_le_u32_e64 s[0:1], s41, v9
	v_cndmask_b32_e64 v14, 0, -1, s[0:1]
	v_cmp_le_u32_e64 s[0:1], s40, v13
	v_cndmask_b32_e64 v13, 0, -1, s[0:1]
	v_cmp_eq_u32_e64 s[0:1], s41, v9
	v_cndmask_b32_e64 v9, v14, v13, s[0:1]
	v_add_co_u32_e64 v13, s[0:1], 2, v11
	v_subb_co_u32_e32 v2, vcc, v5, v2, vcc
	v_addc_co_u32_e64 v14, s[0:1], 0, v12, s[0:1]
	v_cmp_le_u32_e32 vcc, s41, v2
	v_add_co_u32_e64 v15, s[0:1], 1, v11
	v_cndmask_b32_e64 v5, 0, -1, vcc
	v_cmp_le_u32_e32 vcc, s40, v1
	v_addc_co_u32_e64 v16, s[0:1], 0, v12, s[0:1]
	v_cndmask_b32_e64 v1, 0, -1, vcc
	v_cmp_eq_u32_e32 vcc, s41, v2
	v_cmp_ne_u32_e64 s[0:1], 0, v9
	v_cndmask_b32_e32 v1, v5, v1, vcc
	v_cmp_ne_u32_e32 vcc, 0, v1
	v_cndmask_b32_e64 v2, v15, v13, s[0:1]
	v_cndmask_b32_e64 v9, v16, v14, s[0:1]
	v_cndmask_b32_e32 v2, v11, v2, vcc
	v_cndmask_b32_e32 v1, v12, v9, vcc
	v_xor_b32_e32 v2, v2, v3
	v_xor_b32_e32 v1, v1, v3
	v_sub_co_u32_e32 v2, vcc, v2, v3
	v_subb_co_u32_e32 v3, vcc, v1, v3, vcc
.LBB29_23:                              ;   in Loop: Header=BB29_21 Depth=2
	s_andn2_saveexec_b64 s[0:1], s[36:37]
	s_cbranch_execz .LBB29_25
; %bb.24:                               ;   in Loop: Header=BB29_21 Depth=2
	v_cvt_f32_u32_e32 v1, s29
	s_sub_i32 s36, 0, s29
	v_rcp_iflag_f32_e32 v1, v1
	v_mul_f32_e32 v1, 0x4f7ffffe, v1
	v_cvt_u32_f32_e32 v1, v1
	v_mul_lo_u32 v2, s36, v1
	v_mul_hi_u32 v2, v1, v2
	v_add_u32_e32 v1, v1, v2
	v_mul_hi_u32 v1, v0, v1
	v_mul_lo_u32 v2, v1, s29
	v_add_u32_e32 v3, 1, v1
	v_sub_u32_e32 v2, v0, v2
	v_subrev_u32_e32 v5, s29, v2
	v_cmp_le_u32_e32 vcc, s29, v2
	v_cndmask_b32_e32 v2, v2, v5, vcc
	v_cndmask_b32_e32 v1, v1, v3, vcc
	v_add_u32_e32 v3, 1, v1
	v_cmp_le_u32_e32 vcc, s29, v2
	v_cndmask_b32_e32 v2, v1, v3, vcc
	v_mov_b32_e32 v3, v4
.LBB29_25:                              ;   in Loop: Header=BB29_21 Depth=2
	s_or_b64 exec, exec, s[0:1]
	s_add_u32 s0, s4, s30
	s_addc_u32 s1, s5, s31
	s_add_i32 s30, s20, -1
	s_mov_b32 s31, s21
	s_lshl_b64 s[36:37], s[30:31], 2
	s_add_u32 s30, s42, s36
	s_addc_u32 s31, s43, s37
	s_load_dword s51, s[30:31], 0x8
	s_load_dword s50, s[34:35], 0x6c
	;; [unrolled: 1-line block ×3, first 2 shown]
                                        ; implicit-def: $vgpr11_vgpr12
	s_waitcnt lgkmcnt(0)
	s_ashr_i32 s0, s51, 31
	v_or_b32_e32 v5, s0, v3
	v_cmp_ne_u64_e32 vcc, 0, v[4:5]
	s_and_saveexec_b64 s[34:35], vcc
	s_xor_b64 s[34:35], exec, s[34:35]
	s_cbranch_execz .LBB29_27
; %bb.26:                               ;   in Loop: Header=BB29_21 Depth=2
	s_ashr_i32 s38, s0, 31
	s_add_u32 s40, s51, s38
	s_mov_b32 s39, s38
	s_addc_u32 s41, s0, s38
	s_xor_b64 s[40:41], s[40:41], s[38:39]
	v_cvt_f32_u32_e32 v1, s40
	v_cvt_f32_u32_e32 v5, s41
	s_sub_u32 s39, 0, s40
	s_subb_u32 s52, 0, s41
	v_mac_f32_e32 v1, 0x4f800000, v5
	v_rcp_f32_e32 v1, v1
	v_mul_f32_e32 v1, 0x5f7ffffc, v1
	v_mul_f32_e32 v5, 0x2f800000, v1
	v_trunc_f32_e32 v5, v5
	v_mac_f32_e32 v1, 0xcf800000, v5
	v_cvt_u32_f32_e32 v5, v5
	v_cvt_u32_f32_e32 v1, v1
	v_readfirstlane_b32 s53, v5
	v_readfirstlane_b32 s0, v1
	s_mul_i32 s1, s39, s53
	s_mul_hi_u32 s55, s39, s0
	s_mul_i32 s54, s52, s0
	s_add_i32 s1, s55, s1
	s_add_i32 s1, s1, s54
	s_mul_i32 s56, s39, s0
	s_mul_i32 s55, s0, s1
	s_mul_hi_u32 s57, s0, s56
	s_mul_hi_u32 s54, s0, s1
	s_add_u32 s55, s57, s55
	s_addc_u32 s54, 0, s54
	s_mul_hi_u32 s58, s53, s56
	s_mul_i32 s56, s53, s56
	s_add_u32 s55, s55, s56
	s_mul_hi_u32 s57, s53, s1
	s_addc_u32 s54, s54, s58
	s_addc_u32 s55, s57, 0
	s_mul_i32 s1, s53, s1
	s_add_u32 s1, s54, s1
	s_addc_u32 s54, 0, s55
	s_add_u32 s55, s0, s1
	s_cselect_b64 s[0:1], -1, 0
	s_cmp_lg_u64 s[0:1], 0
	s_addc_u32 s53, s53, s54
	s_mul_i32 s0, s39, s53
	s_mul_hi_u32 s1, s39, s55
	s_add_i32 s0, s1, s0
	s_mul_i32 s52, s52, s55
	s_add_i32 s0, s0, s52
	s_mul_i32 s39, s39, s55
	s_mul_hi_u32 s52, s53, s39
	s_mul_i32 s54, s53, s39
	s_mul_i32 s57, s55, s0
	s_mul_hi_u32 s39, s55, s39
	s_mul_hi_u32 s56, s55, s0
	s_add_u32 s39, s39, s57
	s_addc_u32 s56, 0, s56
	s_add_u32 s39, s39, s54
	s_mul_hi_u32 s1, s53, s0
	s_addc_u32 s39, s56, s52
	s_addc_u32 s1, s1, 0
	s_mul_i32 s0, s53, s0
	s_add_u32 s0, s39, s0
	s_addc_u32 s39, 0, s1
	s_add_u32 s52, s55, s0
	s_cselect_b64 s[0:1], -1, 0
	v_ashrrev_i32_e32 v1, 31, v3
	s_cmp_lg_u64 s[0:1], 0
	v_add_co_u32_e32 v5, vcc, v2, v1
	s_addc_u32 s39, s53, s39
	v_xor_b32_e32 v5, v5, v1
	v_mad_u64_u32 v[11:12], s[0:1], v5, s39, 0
	v_mul_hi_u32 v9, v5, s52
	v_addc_co_u32_e32 v3, vcc, v3, v1, vcc
	v_xor_b32_e32 v3, v3, v1
	v_add_co_u32_e32 v9, vcc, v9, v11
	v_addc_co_u32_e32 v15, vcc, 0, v12, vcc
	v_mad_u64_u32 v[11:12], s[0:1], v3, s52, 0
	v_mad_u64_u32 v[13:14], s[0:1], v3, s39, 0
	v_add_co_u32_e32 v9, vcc, v9, v11
	v_addc_co_u32_e32 v9, vcc, v15, v12, vcc
	v_addc_co_u32_e32 v11, vcc, 0, v14, vcc
	v_add_co_u32_e32 v9, vcc, v9, v13
	v_addc_co_u32_e32 v13, vcc, 0, v11, vcc
	v_mul_lo_u32 v14, s41, v9
	v_mul_lo_u32 v15, s40, v13
	v_mad_u64_u32 v[11:12], s[0:1], s40, v9, 0
	v_xor_b32_e32 v1, s38, v1
	v_add3_u32 v12, v12, v15, v14
	v_sub_u32_e32 v14, v3, v12
	v_mov_b32_e32 v15, s41
	v_sub_co_u32_e32 v5, vcc, v5, v11
	v_subb_co_u32_e64 v11, s[0:1], v14, v15, vcc
	v_subrev_co_u32_e64 v14, s[0:1], s40, v5
	v_subbrev_co_u32_e64 v11, s[0:1], 0, v11, s[0:1]
	v_cmp_le_u32_e64 s[0:1], s41, v11
	v_cndmask_b32_e64 v15, 0, -1, s[0:1]
	v_cmp_le_u32_e64 s[0:1], s40, v14
	v_cndmask_b32_e64 v14, 0, -1, s[0:1]
	v_cmp_eq_u32_e64 s[0:1], s41, v11
	v_cndmask_b32_e64 v11, v15, v14, s[0:1]
	v_add_co_u32_e64 v14, s[0:1], 2, v9
	v_subb_co_u32_e32 v3, vcc, v3, v12, vcc
	v_addc_co_u32_e64 v15, s[0:1], 0, v13, s[0:1]
	v_cmp_le_u32_e32 vcc, s41, v3
	v_add_co_u32_e64 v16, s[0:1], 1, v9
	v_cndmask_b32_e64 v12, 0, -1, vcc
	v_cmp_le_u32_e32 vcc, s40, v5
	v_addc_co_u32_e64 v19, s[0:1], 0, v13, s[0:1]
	v_cndmask_b32_e64 v5, 0, -1, vcc
	v_cmp_eq_u32_e32 vcc, s41, v3
	v_cmp_ne_u32_e64 s[0:1], 0, v11
	v_cndmask_b32_e32 v3, v12, v5, vcc
	v_cmp_ne_u32_e32 vcc, 0, v3
	v_cndmask_b32_e64 v5, v16, v14, s[0:1]
	v_cndmask_b32_e64 v11, v19, v15, s[0:1]
	v_cndmask_b32_e32 v5, v9, v5, vcc
	v_cndmask_b32_e32 v3, v13, v11, vcc
	v_xor_b32_e32 v5, v5, v1
	v_xor_b32_e32 v3, v3, v1
	v_sub_co_u32_e32 v11, vcc, v5, v1
	v_subb_co_u32_e32 v12, vcc, v3, v1, vcc
.LBB29_27:                              ;   in Loop: Header=BB29_21 Depth=2
	s_andn2_saveexec_b64 s[0:1], s[34:35]
	s_cbranch_execz .LBB29_29
; %bb.28:                               ;   in Loop: Header=BB29_21 Depth=2
	v_cvt_f32_u32_e32 v1, s51
	s_sub_i32 s34, 0, s51
	v_mov_b32_e32 v12, v4
	v_rcp_iflag_f32_e32 v1, v1
	v_mul_f32_e32 v1, 0x4f7ffffe, v1
	v_cvt_u32_f32_e32 v1, v1
	v_mul_lo_u32 v3, s34, v1
	v_mul_hi_u32 v3, v1, v3
	v_add_u32_e32 v1, v1, v3
	v_mul_hi_u32 v1, v2, v1
	v_mul_lo_u32 v3, v1, s51
	v_add_u32_e32 v5, 1, v1
	v_sub_u32_e32 v3, v2, v3
	v_subrev_u32_e32 v9, s51, v3
	v_cmp_le_u32_e32 vcc, s51, v3
	v_cndmask_b32_e32 v3, v3, v9, vcc
	v_cndmask_b32_e32 v1, v1, v5, vcc
	v_add_u32_e32 v5, 1, v1
	v_cmp_le_u32_e32 vcc, s51, v3
	v_cndmask_b32_e32 v11, v1, v5, vcc
.LBB29_29:                              ;   in Loop: Header=BB29_21 Depth=2
	s_or_b64 exec, exec, s[0:1]
	s_add_u32 s0, s4, s36
	s_addc_u32 s1, s5, s37
	s_add_i32 s34, s20, -2
	s_mov_b32 s35, s21
	s_lshl_b64 s[34:35], s[34:35], 2
	s_add_u32 s36, s42, s34
	s_addc_u32 s37, s43, s35
	s_load_dword s53, s[36:37], 0x8
	s_load_dword s54, s[30:31], 0x6c
	;; [unrolled: 1-line block ×3, first 2 shown]
                                        ; implicit-def: $vgpr13_vgpr14
	s_waitcnt lgkmcnt(0)
	s_ashr_i32 s0, s53, 31
	v_or_b32_e32 v5, s0, v12
	v_cmp_ne_u64_e32 vcc, 0, v[4:5]
	s_and_saveexec_b64 s[30:31], vcc
	s_xor_b64 s[30:31], exec, s[30:31]
	s_cbranch_execz .LBB29_31
; %bb.30:                               ;   in Loop: Header=BB29_21 Depth=2
	s_ashr_i32 s38, s0, 31
	s_add_u32 s40, s53, s38
	s_mov_b32 s39, s38
	s_addc_u32 s41, s0, s38
	s_xor_b64 s[40:41], s[40:41], s[38:39]
	v_cvt_f32_u32_e32 v1, s40
	v_cvt_f32_u32_e32 v3, s41
	s_sub_u32 s39, 0, s40
	s_subb_u32 s55, 0, s41
	v_mac_f32_e32 v1, 0x4f800000, v3
	v_rcp_f32_e32 v1, v1
	v_mul_f32_e32 v1, 0x5f7ffffc, v1
	v_mul_f32_e32 v3, 0x2f800000, v1
	v_trunc_f32_e32 v3, v3
	v_mac_f32_e32 v1, 0xcf800000, v3
	v_cvt_u32_f32_e32 v3, v3
	v_cvt_u32_f32_e32 v1, v1
	v_readfirstlane_b32 s56, v3
	v_readfirstlane_b32 s0, v1
	s_mul_i32 s1, s39, s56
	s_mul_hi_u32 s58, s39, s0
	s_mul_i32 s57, s55, s0
	s_add_i32 s1, s58, s1
	s_add_i32 s1, s1, s57
	s_mul_i32 s59, s39, s0
	s_mul_i32 s58, s0, s1
	s_mul_hi_u32 s60, s0, s59
	s_mul_hi_u32 s57, s0, s1
	s_add_u32 s58, s60, s58
	s_addc_u32 s57, 0, s57
	s_mul_hi_u32 s61, s56, s59
	s_mul_i32 s59, s56, s59
	s_add_u32 s58, s58, s59
	s_mul_hi_u32 s60, s56, s1
	s_addc_u32 s57, s57, s61
	s_addc_u32 s58, s60, 0
	s_mul_i32 s1, s56, s1
	s_add_u32 s1, s57, s1
	s_addc_u32 s57, 0, s58
	s_add_u32 s58, s0, s1
	s_cselect_b64 s[0:1], -1, 0
	s_cmp_lg_u64 s[0:1], 0
	s_addc_u32 s56, s56, s57
	s_mul_i32 s0, s39, s56
	s_mul_hi_u32 s1, s39, s58
	s_add_i32 s0, s1, s0
	s_mul_i32 s55, s55, s58
	s_add_i32 s0, s0, s55
	s_mul_i32 s39, s39, s58
	s_mul_hi_u32 s55, s56, s39
	s_mul_i32 s57, s56, s39
	s_mul_i32 s60, s58, s0
	s_mul_hi_u32 s39, s58, s39
	s_mul_hi_u32 s59, s58, s0
	s_add_u32 s39, s39, s60
	s_addc_u32 s59, 0, s59
	s_add_u32 s39, s39, s57
	s_mul_hi_u32 s1, s56, s0
	s_addc_u32 s39, s59, s55
	s_addc_u32 s1, s1, 0
	s_mul_i32 s0, s56, s0
	s_add_u32 s0, s39, s0
	s_addc_u32 s39, 0, s1
	s_add_u32 s55, s58, s0
	s_cselect_b64 s[0:1], -1, 0
	v_ashrrev_i32_e32 v1, 31, v12
	s_cmp_lg_u64 s[0:1], 0
	v_add_co_u32_e32 v3, vcc, v11, v1
	s_addc_u32 s39, s56, s39
	v_xor_b32_e32 v3, v3, v1
	v_addc_co_u32_e32 v5, vcc, v12, v1, vcc
	v_mad_u64_u32 v[12:13], s[0:1], v3, s39, 0
	v_mul_hi_u32 v9, v3, s55
	v_xor_b32_e32 v5, v5, v1
	v_mad_u64_u32 v[14:15], s[0:1], v5, s39, 0
	v_add_co_u32_e32 v9, vcc, v9, v12
	v_addc_co_u32_e32 v16, vcc, 0, v13, vcc
	v_mad_u64_u32 v[12:13], s[0:1], v5, s55, 0
	v_xor_b32_e32 v1, s38, v1
	v_add_co_u32_e32 v9, vcc, v9, v12
	v_addc_co_u32_e32 v9, vcc, v16, v13, vcc
	v_addc_co_u32_e32 v12, vcc, 0, v15, vcc
	v_add_co_u32_e32 v9, vcc, v9, v14
	v_addc_co_u32_e32 v14, vcc, 0, v12, vcc
	v_mul_lo_u32 v15, s41, v9
	v_mul_lo_u32 v16, s40, v14
	v_mad_u64_u32 v[12:13], s[0:1], s40, v9, 0
	v_add3_u32 v13, v13, v16, v15
	v_sub_u32_e32 v15, v5, v13
	v_mov_b32_e32 v16, s41
	v_sub_co_u32_e32 v3, vcc, v3, v12
	v_subb_co_u32_e64 v12, s[0:1], v15, v16, vcc
	v_subrev_co_u32_e64 v15, s[0:1], s40, v3
	v_subbrev_co_u32_e64 v12, s[0:1], 0, v12, s[0:1]
	v_cmp_le_u32_e64 s[0:1], s41, v12
	v_cndmask_b32_e64 v16, 0, -1, s[0:1]
	v_cmp_le_u32_e64 s[0:1], s40, v15
	v_cndmask_b32_e64 v15, 0, -1, s[0:1]
	v_cmp_eq_u32_e64 s[0:1], s41, v12
	v_cndmask_b32_e64 v12, v16, v15, s[0:1]
	v_add_co_u32_e64 v15, s[0:1], 2, v9
	v_subb_co_u32_e32 v5, vcc, v5, v13, vcc
	v_addc_co_u32_e64 v16, s[0:1], 0, v14, s[0:1]
	v_cmp_le_u32_e32 vcc, s41, v5
	v_add_co_u32_e64 v19, s[0:1], 1, v9
	v_cndmask_b32_e64 v13, 0, -1, vcc
	v_cmp_le_u32_e32 vcc, s40, v3
	v_addc_co_u32_e64 v20, s[0:1], 0, v14, s[0:1]
	v_cndmask_b32_e64 v3, 0, -1, vcc
	v_cmp_eq_u32_e32 vcc, s41, v5
	v_cmp_ne_u32_e64 s[0:1], 0, v12
	v_cndmask_b32_e32 v3, v13, v3, vcc
	v_cmp_ne_u32_e32 vcc, 0, v3
	v_cndmask_b32_e64 v5, v19, v15, s[0:1]
	v_cndmask_b32_e64 v12, v20, v16, s[0:1]
	v_cndmask_b32_e32 v5, v9, v5, vcc
	v_cndmask_b32_e32 v3, v14, v12, vcc
	v_xor_b32_e32 v5, v5, v1
	v_xor_b32_e32 v3, v3, v1
	v_sub_co_u32_e32 v13, vcc, v5, v1
	v_subb_co_u32_e32 v14, vcc, v3, v1, vcc
.LBB29_31:                              ;   in Loop: Header=BB29_21 Depth=2
	s_andn2_saveexec_b64 s[0:1], s[30:31]
	s_cbranch_execz .LBB29_33
; %bb.32:                               ;   in Loop: Header=BB29_21 Depth=2
	v_cvt_f32_u32_e32 v1, s53
	s_sub_i32 s30, 0, s53
	v_mov_b32_e32 v14, v4
	v_rcp_iflag_f32_e32 v1, v1
	v_mul_f32_e32 v1, 0x4f7ffffe, v1
	v_cvt_u32_f32_e32 v1, v1
	v_mul_lo_u32 v3, s30, v1
	v_mul_hi_u32 v3, v1, v3
	v_add_u32_e32 v1, v1, v3
	v_mul_hi_u32 v1, v11, v1
	v_mul_lo_u32 v3, v1, s53
	v_add_u32_e32 v5, 1, v1
	v_sub_u32_e32 v3, v11, v3
	v_subrev_u32_e32 v9, s53, v3
	v_cmp_le_u32_e32 vcc, s53, v3
	v_cndmask_b32_e32 v3, v3, v9, vcc
	v_cndmask_b32_e32 v1, v1, v5, vcc
	v_add_u32_e32 v5, 1, v1
	v_cmp_le_u32_e32 vcc, s53, v3
	v_cndmask_b32_e32 v13, v1, v5, vcc
.LBB29_33:                              ;   in Loop: Header=BB29_21 Depth=2
	s_or_b64 exec, exec, s[0:1]
	s_add_u32 s0, s4, s34
	s_addc_u32 s1, s5, s35
	s_add_i32 s30, s20, -3
	s_mov_b32 s31, s21
	s_lshl_b64 s[30:31], s[30:31], 2
	s_add_u32 s34, s42, s30
	s_addc_u32 s35, s43, s31
	s_load_dword s56, s[34:35], 0x8
	s_load_dword s57, s[36:37], 0x6c
	;; [unrolled: 1-line block ×3, first 2 shown]
                                        ; implicit-def: $vgpr15_vgpr16
	s_waitcnt lgkmcnt(0)
	s_ashr_i32 s0, s56, 31
	v_or_b32_e32 v5, s0, v14
	v_cmp_ne_u64_e32 vcc, 0, v[4:5]
	s_and_saveexec_b64 s[36:37], vcc
	s_xor_b64 s[36:37], exec, s[36:37]
	s_cbranch_execz .LBB29_35
; %bb.34:                               ;   in Loop: Header=BB29_21 Depth=2
	s_ashr_i32 s38, s0, 31
	s_add_u32 s40, s56, s38
	s_mov_b32 s39, s38
	s_addc_u32 s41, s0, s38
	s_xor_b64 s[40:41], s[40:41], s[38:39]
	v_cvt_f32_u32_e32 v1, s40
	v_cvt_f32_u32_e32 v3, s41
	s_sub_u32 s39, 0, s40
	s_subb_u32 s58, 0, s41
	v_mac_f32_e32 v1, 0x4f800000, v3
	v_rcp_f32_e32 v1, v1
	v_mul_f32_e32 v1, 0x5f7ffffc, v1
	v_mul_f32_e32 v3, 0x2f800000, v1
	v_trunc_f32_e32 v3, v3
	v_mac_f32_e32 v1, 0xcf800000, v3
	v_cvt_u32_f32_e32 v3, v3
	v_cvt_u32_f32_e32 v1, v1
	v_readfirstlane_b32 s59, v3
	v_readfirstlane_b32 s0, v1
	s_mul_i32 s1, s39, s59
	s_mul_hi_u32 s61, s39, s0
	s_mul_i32 s60, s58, s0
	s_add_i32 s1, s61, s1
	s_add_i32 s1, s1, s60
	s_mul_i32 s62, s39, s0
	s_mul_i32 s61, s0, s1
	s_mul_hi_u32 s63, s0, s62
	s_mul_hi_u32 s60, s0, s1
	s_add_u32 s61, s63, s61
	s_addc_u32 s60, 0, s60
	s_mul_hi_u32 s64, s59, s62
	s_mul_i32 s62, s59, s62
	s_add_u32 s61, s61, s62
	s_mul_hi_u32 s63, s59, s1
	s_addc_u32 s60, s60, s64
	s_addc_u32 s61, s63, 0
	s_mul_i32 s1, s59, s1
	s_add_u32 s1, s60, s1
	s_addc_u32 s60, 0, s61
	s_add_u32 s61, s0, s1
	s_cselect_b64 s[0:1], -1, 0
	s_cmp_lg_u64 s[0:1], 0
	s_addc_u32 s59, s59, s60
	s_mul_i32 s0, s39, s59
	s_mul_hi_u32 s1, s39, s61
	s_add_i32 s0, s1, s0
	s_mul_i32 s58, s58, s61
	s_add_i32 s0, s0, s58
	s_mul_i32 s39, s39, s61
	s_mul_hi_u32 s58, s59, s39
	s_mul_i32 s60, s59, s39
	s_mul_i32 s63, s61, s0
	s_mul_hi_u32 s39, s61, s39
	s_mul_hi_u32 s62, s61, s0
	s_add_u32 s39, s39, s63
	s_addc_u32 s62, 0, s62
	s_add_u32 s39, s39, s60
	s_mul_hi_u32 s1, s59, s0
	s_addc_u32 s39, s62, s58
	s_addc_u32 s1, s1, 0
	s_mul_i32 s0, s59, s0
	s_add_u32 s0, s39, s0
	s_addc_u32 s39, 0, s1
	s_add_u32 s58, s61, s0
	s_cselect_b64 s[0:1], -1, 0
	v_ashrrev_i32_e32 v1, 31, v14
	s_cmp_lg_u64 s[0:1], 0
	v_add_co_u32_e32 v3, vcc, v13, v1
	s_addc_u32 s39, s59, s39
	v_xor_b32_e32 v3, v3, v1
	v_addc_co_u32_e32 v5, vcc, v14, v1, vcc
	v_mad_u64_u32 v[14:15], s[0:1], v3, s39, 0
	v_mul_hi_u32 v9, v3, s58
	v_xor_b32_e32 v5, v5, v1
	v_mad_u64_u32 v[19:20], s[0:1], v5, s39, 0
	v_add_co_u32_e32 v9, vcc, v9, v14
	v_addc_co_u32_e32 v12, vcc, 0, v15, vcc
	v_mad_u64_u32 v[14:15], s[0:1], v5, s58, 0
	v_xor_b32_e32 v1, s38, v1
	v_add_co_u32_e32 v9, vcc, v9, v14
	v_addc_co_u32_e32 v9, vcc, v12, v15, vcc
	v_addc_co_u32_e32 v12, vcc, 0, v20, vcc
	v_add_co_u32_e32 v9, vcc, v9, v19
	v_addc_co_u32_e32 v12, vcc, 0, v12, vcc
	v_mul_lo_u32 v16, s41, v9
	v_mul_lo_u32 v19, s40, v12
	v_mad_u64_u32 v[14:15], s[0:1], s40, v9, 0
	v_add3_u32 v15, v15, v19, v16
	v_sub_u32_e32 v16, v5, v15
	v_mov_b32_e32 v19, s41
	v_sub_co_u32_e32 v3, vcc, v3, v14
	v_subb_co_u32_e64 v14, s[0:1], v16, v19, vcc
	v_subrev_co_u32_e64 v16, s[0:1], s40, v3
	v_subbrev_co_u32_e64 v14, s[0:1], 0, v14, s[0:1]
	v_cmp_le_u32_e64 s[0:1], s41, v14
	v_cndmask_b32_e64 v19, 0, -1, s[0:1]
	v_cmp_le_u32_e64 s[0:1], s40, v16
	v_cndmask_b32_e64 v16, 0, -1, s[0:1]
	v_cmp_eq_u32_e64 s[0:1], s41, v14
	v_cndmask_b32_e64 v14, v19, v16, s[0:1]
	v_add_co_u32_e64 v16, s[0:1], 2, v9
	v_subb_co_u32_e32 v5, vcc, v5, v15, vcc
	v_addc_co_u32_e64 v19, s[0:1], 0, v12, s[0:1]
	v_cmp_le_u32_e32 vcc, s41, v5
	v_add_co_u32_e64 v20, s[0:1], 1, v9
	v_cndmask_b32_e64 v15, 0, -1, vcc
	v_cmp_le_u32_e32 vcc, s40, v3
	v_addc_co_u32_e64 v21, s[0:1], 0, v12, s[0:1]
	v_cndmask_b32_e64 v3, 0, -1, vcc
	v_cmp_eq_u32_e32 vcc, s41, v5
	v_cmp_ne_u32_e64 s[0:1], 0, v14
	v_cndmask_b32_e32 v3, v15, v3, vcc
	v_cmp_ne_u32_e32 vcc, 0, v3
	v_cndmask_b32_e64 v5, v20, v16, s[0:1]
	v_cndmask_b32_e64 v14, v21, v19, s[0:1]
	v_cndmask_b32_e32 v5, v9, v5, vcc
	v_cndmask_b32_e32 v3, v12, v14, vcc
	v_xor_b32_e32 v5, v5, v1
	v_xor_b32_e32 v3, v3, v1
	v_sub_co_u32_e32 v15, vcc, v5, v1
	v_subb_co_u32_e32 v16, vcc, v3, v1, vcc
.LBB29_35:                              ;   in Loop: Header=BB29_21 Depth=2
	s_andn2_saveexec_b64 s[0:1], s[36:37]
	s_cbranch_execz .LBB29_37
; %bb.36:                               ;   in Loop: Header=BB29_21 Depth=2
	v_cvt_f32_u32_e32 v1, s56
	s_sub_i32 s36, 0, s56
	v_mov_b32_e32 v16, v4
	v_rcp_iflag_f32_e32 v1, v1
	v_mul_f32_e32 v1, 0x4f7ffffe, v1
	v_cvt_u32_f32_e32 v1, v1
	v_mul_lo_u32 v3, s36, v1
	v_mul_hi_u32 v3, v1, v3
	v_add_u32_e32 v1, v1, v3
	v_mul_hi_u32 v1, v13, v1
	v_mul_lo_u32 v3, v1, s56
	v_add_u32_e32 v5, 1, v1
	v_sub_u32_e32 v3, v13, v3
	v_subrev_u32_e32 v9, s56, v3
	v_cmp_le_u32_e32 vcc, s56, v3
	v_cndmask_b32_e32 v3, v3, v9, vcc
	v_cndmask_b32_e32 v1, v1, v5, vcc
	v_add_u32_e32 v5, 1, v1
	v_cmp_le_u32_e32 vcc, s56, v3
	v_cndmask_b32_e32 v15, v1, v5, vcc
.LBB29_37:                              ;   in Loop: Header=BB29_21 Depth=2
	s_or_b64 exec, exec, s[0:1]
	v_mul_lo_u32 v1, v2, s29
	v_mul_lo_u32 v3, v11, s51
	s_add_u32 s0, s4, s30
	s_addc_u32 s1, s5, s31
	v_sub_u32_e32 v0, v0, v1
	v_sub_u32_e32 v1, v2, v3
	v_mul_lo_u32 v2, s50, v0
	v_mul_lo_u32 v3, s54, v1
	;; [unrolled: 1-line block ×4, first 2 shown]
	s_load_dword s29, s[34:35], 0x6c
	v_mul_lo_u32 v0, s49, v0
	s_load_dword s0, s[0:1], 0x6c
	v_mul_lo_u32 v1, s52, v1
	v_add3_u32 v2, v2, v10, v3
	v_sub_u32_e32 v3, v11, v5
	v_sub_u32_e32 v9, v13, v9
	v_mul_lo_u32 v5, s57, v3
	s_waitcnt lgkmcnt(0)
	v_mul_lo_u32 v10, s29, v9
	v_add3_u32 v0, v0, v8, v1
	v_mul_lo_u32 v1, s55, v3
	v_mul_lo_u32 v3, s0, v9
	s_add_i32 s20, s20, -4
	v_add3_u32 v10, v5, v2, v10
	s_cmp_eq_u32 s20, -1
	v_add3_u32 v8, v1, v0, v3
	s_cbranch_scc1 .LBB29_39
; %bb.38:                               ;   in Loop: Header=BB29_21 Depth=2
	v_mov_b32_e32 v0, v15
	v_mov_b32_e32 v1, v16
	s_branch .LBB29_21
.LBB29_39:                              ;   in Loop: Header=BB29_3 Depth=1
	v_sub_u32_e32 v0, v17, v18
	v_ashrrev_i32_e32 v1, 31, v0
	v_cmp_ge_i64_e64 s[0:1], s[8:9], v[0:1]
	v_cmp_gt_i32_e32 vcc, s7, v17
	v_mov_b32_e32 v0, 0
	v_mov_b32_e32 v2, 0
	;; [unrolled: 1-line block ×4, first 2 shown]
	s_and_b64 s[0:1], s[0:1], vcc
	s_and_saveexec_b64 s[30:31], s[0:1]
	s_cbranch_execz .LBB29_41
; %bb.40:                               ;   in Loop: Header=BB29_3 Depth=1
	v_ashrrev_i32_e32 v11, 31, v10
	v_lshlrev_b64 v[0:1], 4, v[10:11]
	v_mov_b32_e32 v2, s3
	v_add_co_u32_e64 v0, s[0:1], s2, v0
	v_addc_co_u32_e64 v1, s[0:1], v2, v1, s[0:1]
	global_load_dwordx4 v[0:3], v[0:1], off
.LBB29_41:                              ;   in Loop: Header=BB29_3 Depth=1
	s_or_b64 exec, exec, s[30:31]
	s_and_saveexec_b64 s[0:1], vcc
	s_cbranch_execz .LBB29_2
; %bb.42:                               ;   in Loop: Header=BB29_3 Depth=1
	v_ashrrev_i32_e32 v9, 31, v8
	v_lshlrev_b64 v[8:9], 4, v[8:9]
	v_mov_b32_e32 v5, s19
	v_add_co_u32_e32 v8, vcc, s18, v8
	v_addc_co_u32_e32 v9, vcc, v5, v9, vcc
	s_waitcnt vmcnt(0)
	global_store_dwordx4 v[8:9], v[0:3], off
	s_branch .LBB29_2
.LBB29_43:
	s_endpgm
	.section	.rodata,"a",@progbits
	.p2align	6, 0x0
	.amdhsa_kernel _ZN2at6native16triu_tril_kernelIN3c107complexIdEEiLb0ELi1ELb0EEEvNS_4cuda6detail10TensorInfoIT_T0_EENS7_IKS8_S9_EEllS9_
		.amdhsa_group_segment_fixed_size 0
		.amdhsa_private_segment_fixed_size 0
		.amdhsa_kernarg_size 712
		.amdhsa_user_sgpr_count 6
		.amdhsa_user_sgpr_private_segment_buffer 1
		.amdhsa_user_sgpr_dispatch_ptr 0
		.amdhsa_user_sgpr_queue_ptr 0
		.amdhsa_user_sgpr_kernarg_segment_ptr 1
		.amdhsa_user_sgpr_dispatch_id 0
		.amdhsa_user_sgpr_flat_scratch_init 0
		.amdhsa_user_sgpr_private_segment_size 0
		.amdhsa_uses_dynamic_stack 0
		.amdhsa_system_sgpr_private_segment_wavefront_offset 0
		.amdhsa_system_sgpr_workgroup_id_x 1
		.amdhsa_system_sgpr_workgroup_id_y 0
		.amdhsa_system_sgpr_workgroup_id_z 0
		.amdhsa_system_sgpr_workgroup_info 0
		.amdhsa_system_vgpr_workitem_id 0
		.amdhsa_next_free_vgpr 22
		.amdhsa_next_free_sgpr 65
		.amdhsa_reserve_vcc 1
		.amdhsa_reserve_flat_scratch 0
		.amdhsa_float_round_mode_32 0
		.amdhsa_float_round_mode_16_64 0
		.amdhsa_float_denorm_mode_32 3
		.amdhsa_float_denorm_mode_16_64 3
		.amdhsa_dx10_clamp 1
		.amdhsa_ieee_mode 1
		.amdhsa_fp16_overflow 0
		.amdhsa_exception_fp_ieee_invalid_op 0
		.amdhsa_exception_fp_denorm_src 0
		.amdhsa_exception_fp_ieee_div_zero 0
		.amdhsa_exception_fp_ieee_overflow 0
		.amdhsa_exception_fp_ieee_underflow 0
		.amdhsa_exception_fp_ieee_inexact 0
		.amdhsa_exception_int_div_zero 0
	.end_amdhsa_kernel
	.section	.text._ZN2at6native16triu_tril_kernelIN3c107complexIdEEiLb0ELi1ELb0EEEvNS_4cuda6detail10TensorInfoIT_T0_EENS7_IKS8_S9_EEllS9_,"axG",@progbits,_ZN2at6native16triu_tril_kernelIN3c107complexIdEEiLb0ELi1ELb0EEEvNS_4cuda6detail10TensorInfoIT_T0_EENS7_IKS8_S9_EEllS9_,comdat
.Lfunc_end29:
	.size	_ZN2at6native16triu_tril_kernelIN3c107complexIdEEiLb0ELi1ELb0EEEvNS_4cuda6detail10TensorInfoIT_T0_EENS7_IKS8_S9_EEllS9_, .Lfunc_end29-_ZN2at6native16triu_tril_kernelIN3c107complexIdEEiLb0ELi1ELb0EEEvNS_4cuda6detail10TensorInfoIT_T0_EENS7_IKS8_S9_EEllS9_
                                        ; -- End function
	.set _ZN2at6native16triu_tril_kernelIN3c107complexIdEEiLb0ELi1ELb0EEEvNS_4cuda6detail10TensorInfoIT_T0_EENS7_IKS8_S9_EEllS9_.num_vgpr, 22
	.set _ZN2at6native16triu_tril_kernelIN3c107complexIdEEiLb0ELi1ELb0EEEvNS_4cuda6detail10TensorInfoIT_T0_EENS7_IKS8_S9_EEllS9_.num_agpr, 0
	.set _ZN2at6native16triu_tril_kernelIN3c107complexIdEEiLb0ELi1ELb0EEEvNS_4cuda6detail10TensorInfoIT_T0_EENS7_IKS8_S9_EEllS9_.numbered_sgpr, 65
	.set _ZN2at6native16triu_tril_kernelIN3c107complexIdEEiLb0ELi1ELb0EEEvNS_4cuda6detail10TensorInfoIT_T0_EENS7_IKS8_S9_EEllS9_.num_named_barrier, 0
	.set _ZN2at6native16triu_tril_kernelIN3c107complexIdEEiLb0ELi1ELb0EEEvNS_4cuda6detail10TensorInfoIT_T0_EENS7_IKS8_S9_EEllS9_.private_seg_size, 0
	.set _ZN2at6native16triu_tril_kernelIN3c107complexIdEEiLb0ELi1ELb0EEEvNS_4cuda6detail10TensorInfoIT_T0_EENS7_IKS8_S9_EEllS9_.uses_vcc, 1
	.set _ZN2at6native16triu_tril_kernelIN3c107complexIdEEiLb0ELi1ELb0EEEvNS_4cuda6detail10TensorInfoIT_T0_EENS7_IKS8_S9_EEllS9_.uses_flat_scratch, 0
	.set _ZN2at6native16triu_tril_kernelIN3c107complexIdEEiLb0ELi1ELb0EEEvNS_4cuda6detail10TensorInfoIT_T0_EENS7_IKS8_S9_EEllS9_.has_dyn_sized_stack, 0
	.set _ZN2at6native16triu_tril_kernelIN3c107complexIdEEiLb0ELi1ELb0EEEvNS_4cuda6detail10TensorInfoIT_T0_EENS7_IKS8_S9_EEllS9_.has_recursion, 0
	.set _ZN2at6native16triu_tril_kernelIN3c107complexIdEEiLb0ELi1ELb0EEEvNS_4cuda6detail10TensorInfoIT_T0_EENS7_IKS8_S9_EEllS9_.has_indirect_call, 0
	.section	.AMDGPU.csdata,"",@progbits
; Kernel info:
; codeLenInByte = 6204
; TotalNumSgprs: 69
; NumVgprs: 22
; ScratchSize: 0
; MemoryBound: 1
; FloatMode: 240
; IeeeMode: 1
; LDSByteSize: 0 bytes/workgroup (compile time only)
; SGPRBlocks: 8
; VGPRBlocks: 5
; NumSGPRsForWavesPerEU: 69
; NumVGPRsForWavesPerEU: 22
; Occupancy: 10
; WaveLimiterHint : 1
; COMPUTE_PGM_RSRC2:SCRATCH_EN: 0
; COMPUTE_PGM_RSRC2:USER_SGPR: 6
; COMPUTE_PGM_RSRC2:TRAP_HANDLER: 0
; COMPUTE_PGM_RSRC2:TGID_X_EN: 1
; COMPUTE_PGM_RSRC2:TGID_Y_EN: 0
; COMPUTE_PGM_RSRC2:TGID_Z_EN: 0
; COMPUTE_PGM_RSRC2:TIDIG_COMP_CNT: 0
	.section	.text._ZN2at6native16triu_tril_kernelIN3c107complexIdEElLb0ELi1ELb1EEEvNS_4cuda6detail10TensorInfoIT_T0_EENS7_IKS8_S9_EEllS9_,"axG",@progbits,_ZN2at6native16triu_tril_kernelIN3c107complexIdEElLb0ELi1ELb1EEEvNS_4cuda6detail10TensorInfoIT_T0_EENS7_IKS8_S9_EEllS9_,comdat
	.protected	_ZN2at6native16triu_tril_kernelIN3c107complexIdEElLb0ELi1ELb1EEEvNS_4cuda6detail10TensorInfoIT_T0_EENS7_IKS8_S9_EEllS9_ ; -- Begin function _ZN2at6native16triu_tril_kernelIN3c107complexIdEElLb0ELi1ELb1EEEvNS_4cuda6detail10TensorInfoIT_T0_EENS7_IKS8_S9_EEllS9_
	.globl	_ZN2at6native16triu_tril_kernelIN3c107complexIdEElLb0ELi1ELb1EEEvNS_4cuda6detail10TensorInfoIT_T0_EENS7_IKS8_S9_EEllS9_
	.p2align	8
	.type	_ZN2at6native16triu_tril_kernelIN3c107complexIdEElLb0ELi1ELb1EEEvNS_4cuda6detail10TensorInfoIT_T0_EENS7_IKS8_S9_EEllS9_,@function
_ZN2at6native16triu_tril_kernelIN3c107complexIdEElLb0ELi1ELb1EEEvNS_4cuda6detail10TensorInfoIT_T0_EENS7_IKS8_S9_EEllS9_: ; @_ZN2at6native16triu_tril_kernelIN3c107complexIdEElLb0ELi1ELb1EEEvNS_4cuda6detail10TensorInfoIT_T0_EENS7_IKS8_S9_EEllS9_
; %bb.0:
	s_load_dword s2, s[4:5], 0x364
	s_load_dwordx4 s[8:11], s[4:5], 0x340
	s_add_u32 s0, s4, 0x358
	v_mov_b32_e32 v2, 0
	s_addc_u32 s1, s5, 0
	s_waitcnt lgkmcnt(0)
	s_and_b32 s22, s2, 0xffff
	v_mov_b32_e32 v1, v2
	v_mov_b32_e32 v3, s6
	v_mad_u64_u32 v[0:1], s[2:3], s22, v3, v[0:1]
	v_cmp_gt_i64_e32 vcc, s[10:11], v[0:1]
	s_and_saveexec_b64 s[2:3], vcc
	s_cbranch_execz .LBB30_40
; %bb.1:
	s_load_dword s18, s[4:5], 0x338
	s_add_u32 s30, s4, 0x1a0
	s_addc_u32 s31, s5, 0
	s_load_dword s23, s[0:1], 0x0
	s_load_dwordx2 s[2:3], s[4:5], 0x350
	s_load_dwordx2 s[6:7], s[4:5], 0x0
	s_waitcnt lgkmcnt(0)
	s_add_i32 s0, s18, -2
	s_ashr_i32 s1, s0, 31
	s_ashr_i32 s19, s18, 31
	s_lshl_b64 s[14:15], s[0:1], 3
	s_add_u32 s14, s30, s14
	s_addc_u32 s15, s31, s15
	s_lshl_b64 s[20:21], s[18:19], 3
	s_add_u32 s16, s4, s20
	v_cmp_gt_i64_e64 s[12:13], s[18:19], 2
	s_addc_u32 s17, s5, s21
	s_add_i32 s18, s18, -3
	s_ashr_i32 s19, s18, 31
	s_add_u32 s20, s30, s20
	s_addc_u32 s21, s31, s21
	s_mul_i32 s33, s23, s22
	s_and_b32 s22, s0, 3
	s_and_b32 s0, s18, 3
	s_cmp_lg_u32 s0, 3
	s_cselect_b64 s[24:25], -1, 0
	s_cmp_gt_u32 s18, 2
	s_cselect_b64 s[26:27], -1, 0
	s_lshl_b64 s[0:1], s[18:19], 3
	s_add_u32 s28, s4, s0
	s_addc_u32 s29, s5, s1
	s_add_u32 s28, s28, 0xd0
	s_addc_u32 s29, s29, 0
	;; [unrolled: 2-line block ×3, first 2 shown]
	s_add_u32 s30, s0, 8
	s_load_dwordx2 s[14:15], s[14:15], 0x8
	s_addc_u32 s31, s1, 0
	s_add_u32 s62, s4, 0xb8
	s_addc_u32 s63, s5, 0
	s_add_u32 s64, s4, 0x190
	s_mov_b32 s23, 0
	s_addc_u32 s65, s5, 0
	s_mov_b64 s[4:5], 0
	s_branch .LBB30_3
.LBB30_2:                               ;   in Loop: Header=BB30_3 Depth=1
	s_or_b64 exec, exec, s[34:35]
	v_add_co_u32_e32 v0, vcc, s33, v0
	v_addc_co_u32_e32 v1, vcc, 0, v1, vcc
	v_cmp_le_i64_e32 vcc, s[10:11], v[0:1]
	s_or_b64 s[4:5], vcc, s[4:5]
	s_andn2_b64 exec, exec, s[4:5]
	s_cbranch_execz .LBB30_40
.LBB30_3:                               ; =>This Loop Header: Depth=1
                                        ;     Child Loop BB30_17 Depth 2
                                        ;     Child Loop BB30_22 Depth 2
	v_or_b32_e32 v3, s3, v1
	v_cmp_ne_u64_e32 vcc, 0, v[2:3]
                                        ; implicit-def: $vgpr6_vgpr7
	s_and_saveexec_b64 s[0:1], vcc
	s_xor_b64 s[34:35], exec, s[0:1]
	s_cbranch_execz .LBB30_5
; %bb.4:                                ;   in Loop: Header=BB30_3 Depth=1
	s_ashr_i32 s36, s3, 31
	s_add_u32 s0, s2, s36
	s_mov_b32 s37, s36
	s_addc_u32 s1, s3, s36
	s_xor_b64 s[38:39], s[0:1], s[36:37]
	v_cvt_f32_u32_e32 v3, s38
	v_cvt_f32_u32_e32 v4, s39
	s_sub_u32 s37, 0, s38
	s_subb_u32 s40, 0, s39
	v_ashrrev_i32_e32 v7, 31, v1
	v_mac_f32_e32 v3, 0x4f800000, v4
	v_rcp_f32_e32 v3, v3
	v_mul_f32_e32 v3, 0x5f7ffffc, v3
	v_mul_f32_e32 v4, 0x2f800000, v3
	v_trunc_f32_e32 v4, v4
	v_mac_f32_e32 v3, 0xcf800000, v4
	v_cvt_u32_f32_e32 v4, v4
	v_cvt_u32_f32_e32 v3, v3
	v_readfirstlane_b32 s41, v4
	v_readfirstlane_b32 s0, v3
	s_mul_i32 s1, s37, s41
	s_mul_hi_u32 s43, s37, s0
	s_mul_i32 s42, s40, s0
	s_add_i32 s1, s43, s1
	s_add_i32 s1, s1, s42
	s_mul_i32 s44, s37, s0
	s_mul_i32 s43, s0, s1
	s_mul_hi_u32 s45, s0, s44
	s_mul_hi_u32 s42, s0, s1
	s_add_u32 s43, s45, s43
	s_addc_u32 s42, 0, s42
	s_mul_hi_u32 s46, s41, s44
	s_mul_i32 s44, s41, s44
	s_add_u32 s43, s43, s44
	s_mul_hi_u32 s45, s41, s1
	s_addc_u32 s42, s42, s46
	s_addc_u32 s43, s45, 0
	s_mul_i32 s1, s41, s1
	s_add_u32 s1, s42, s1
	s_addc_u32 s42, 0, s43
	s_add_u32 s43, s0, s1
	s_cselect_b64 s[0:1], -1, 0
	s_cmp_lg_u64 s[0:1], 0
	s_addc_u32 s41, s41, s42
	s_mul_i32 s0, s37, s41
	s_mul_hi_u32 s1, s37, s43
	s_add_i32 s0, s1, s0
	s_mul_i32 s40, s40, s43
	s_add_i32 s0, s0, s40
	s_mul_i32 s37, s37, s43
	s_mul_hi_u32 s40, s41, s37
	s_mul_i32 s42, s41, s37
	s_mul_i32 s45, s43, s0
	s_mul_hi_u32 s37, s43, s37
	s_mul_hi_u32 s44, s43, s0
	s_add_u32 s37, s37, s45
	s_addc_u32 s44, 0, s44
	s_add_u32 s37, s37, s42
	s_mul_hi_u32 s1, s41, s0
	s_addc_u32 s37, s44, s40
	s_addc_u32 s1, s1, 0
	s_mul_i32 s0, s41, s0
	s_add_u32 s0, s37, s0
	s_addc_u32 s37, 0, s1
	s_add_u32 s40, s43, s0
	s_cselect_b64 s[0:1], -1, 0
	s_cmp_lg_u64 s[0:1], 0
	v_add_co_u32_e32 v3, vcc, v0, v7
	s_addc_u32 s37, s41, s37
	v_xor_b32_e32 v8, v3, v7
	v_mad_u64_u32 v[3:4], s[0:1], v8, s37, 0
	v_mul_hi_u32 v6, v8, s40
	v_addc_co_u32_e32 v5, vcc, v1, v7, vcc
	v_xor_b32_e32 v9, v5, v7
	v_add_co_u32_e32 v10, vcc, v6, v3
	v_addc_co_u32_e32 v11, vcc, 0, v4, vcc
	v_mad_u64_u32 v[3:4], s[0:1], v9, s40, 0
	v_mad_u64_u32 v[5:6], s[0:1], v9, s37, 0
	v_add_co_u32_e32 v3, vcc, v10, v3
	v_addc_co_u32_e32 v3, vcc, v11, v4, vcc
	v_addc_co_u32_e32 v4, vcc, 0, v6, vcc
	v_add_co_u32_e32 v5, vcc, v3, v5
	v_addc_co_u32_e32 v6, vcc, 0, v4, vcc
	v_mul_lo_u32 v10, s39, v5
	v_mul_lo_u32 v11, s38, v6
	v_mad_u64_u32 v[3:4], s[0:1], s38, v5, 0
	v_add3_u32 v4, v4, v11, v10
	v_sub_u32_e32 v10, v9, v4
	v_mov_b32_e32 v11, s39
	v_sub_co_u32_e32 v3, vcc, v8, v3
	v_subb_co_u32_e64 v8, s[0:1], v10, v11, vcc
	v_subrev_co_u32_e64 v10, s[0:1], s38, v3
	v_subbrev_co_u32_e64 v8, s[0:1], 0, v8, s[0:1]
	v_cmp_le_u32_e64 s[0:1], s39, v8
	v_cndmask_b32_e64 v11, 0, -1, s[0:1]
	v_cmp_le_u32_e64 s[0:1], s38, v10
	v_cndmask_b32_e64 v10, 0, -1, s[0:1]
	v_cmp_eq_u32_e64 s[0:1], s39, v8
	v_cndmask_b32_e64 v8, v11, v10, s[0:1]
	v_add_co_u32_e64 v10, s[0:1], 2, v5
	v_subb_co_u32_e32 v4, vcc, v9, v4, vcc
	v_addc_co_u32_e64 v11, s[0:1], 0, v6, s[0:1]
	v_cmp_le_u32_e32 vcc, s39, v4
	v_add_co_u32_e64 v12, s[0:1], 1, v5
	v_cndmask_b32_e64 v9, 0, -1, vcc
	v_cmp_le_u32_e32 vcc, s38, v3
	v_addc_co_u32_e64 v13, s[0:1], 0, v6, s[0:1]
	v_cndmask_b32_e64 v3, 0, -1, vcc
	v_cmp_eq_u32_e32 vcc, s39, v4
	v_cmp_ne_u32_e64 s[0:1], 0, v8
	v_cndmask_b32_e32 v3, v9, v3, vcc
	v_cmp_ne_u32_e32 vcc, 0, v3
	v_cndmask_b32_e64 v4, v12, v10, s[0:1]
	v_cndmask_b32_e64 v8, v13, v11, s[0:1]
	v_cndmask_b32_e32 v4, v5, v4, vcc
	v_xor_b32_e32 v5, s36, v7
	v_cndmask_b32_e32 v3, v6, v8, vcc
	v_xor_b32_e32 v4, v4, v5
	v_xor_b32_e32 v3, v3, v5
	v_sub_co_u32_e32 v6, vcc, v4, v5
	v_subb_co_u32_e32 v7, vcc, v3, v5, vcc
.LBB30_5:                               ;   in Loop: Header=BB30_3 Depth=1
	s_andn2_saveexec_b64 s[0:1], s[34:35]
	s_cbranch_execz .LBB30_7
; %bb.6:                                ;   in Loop: Header=BB30_3 Depth=1
	v_cvt_f32_u32_e32 v3, s2
	s_sub_i32 s34, 0, s2
	v_mov_b32_e32 v7, v2
	v_rcp_iflag_f32_e32 v3, v3
	v_mul_f32_e32 v3, 0x4f7ffffe, v3
	v_cvt_u32_f32_e32 v3, v3
	v_mul_lo_u32 v4, s34, v3
	v_mul_hi_u32 v4, v3, v4
	v_add_u32_e32 v3, v3, v4
	v_mul_hi_u32 v3, v0, v3
	v_mul_lo_u32 v4, v3, s2
	v_add_u32_e32 v5, 1, v3
	v_sub_u32_e32 v4, v0, v4
	v_subrev_u32_e32 v6, s2, v4
	v_cmp_le_u32_e32 vcc, s2, v4
	v_cndmask_b32_e32 v4, v4, v6, vcc
	v_cndmask_b32_e32 v3, v3, v5, vcc
	v_add_u32_e32 v5, 1, v3
	v_cmp_le_u32_e32 vcc, s2, v4
	v_cndmask_b32_e32 v6, v3, v5, vcc
.LBB30_7:                               ;   in Loop: Header=BB30_3 Depth=1
	s_or_b64 exec, exec, s[0:1]
	s_waitcnt lgkmcnt(0)
	v_or_b32_e32 v3, s15, v7
	v_cmp_ne_u64_e32 vcc, 0, v[2:3]
                                        ; implicit-def: $vgpr10_vgpr11
	s_and_saveexec_b64 s[0:1], vcc
	s_xor_b64 s[34:35], exec, s[0:1]
	s_cbranch_execz .LBB30_9
; %bb.8:                                ;   in Loop: Header=BB30_3 Depth=1
	s_ashr_i32 s36, s15, 31
	s_add_u32 s0, s14, s36
	s_mov_b32 s37, s36
	s_addc_u32 s1, s15, s36
	s_xor_b64 s[38:39], s[0:1], s[36:37]
	v_cvt_f32_u32_e32 v3, s38
	v_cvt_f32_u32_e32 v4, s39
	s_sub_u32 s37, 0, s38
	s_subb_u32 s40, 0, s39
	v_ashrrev_i32_e32 v5, 31, v7
	v_mac_f32_e32 v3, 0x4f800000, v4
	v_rcp_f32_e32 v3, v3
	v_mul_f32_e32 v3, 0x5f7ffffc, v3
	v_mul_f32_e32 v4, 0x2f800000, v3
	v_trunc_f32_e32 v4, v4
	v_mac_f32_e32 v3, 0xcf800000, v4
	v_cvt_u32_f32_e32 v4, v4
	v_cvt_u32_f32_e32 v3, v3
	v_readfirstlane_b32 s41, v4
	v_readfirstlane_b32 s0, v3
	s_mul_i32 s1, s37, s41
	s_mul_hi_u32 s43, s37, s0
	s_mul_i32 s42, s40, s0
	s_add_i32 s1, s43, s1
	s_add_i32 s1, s1, s42
	s_mul_i32 s44, s37, s0
	s_mul_i32 s43, s0, s1
	s_mul_hi_u32 s45, s0, s44
	s_mul_hi_u32 s42, s0, s1
	s_add_u32 s43, s45, s43
	s_addc_u32 s42, 0, s42
	s_mul_hi_u32 s46, s41, s44
	s_mul_i32 s44, s41, s44
	s_add_u32 s43, s43, s44
	s_mul_hi_u32 s45, s41, s1
	s_addc_u32 s42, s42, s46
	s_addc_u32 s43, s45, 0
	s_mul_i32 s1, s41, s1
	s_add_u32 s1, s42, s1
	s_addc_u32 s42, 0, s43
	s_add_u32 s43, s0, s1
	s_cselect_b64 s[0:1], -1, 0
	s_cmp_lg_u64 s[0:1], 0
	s_addc_u32 s41, s41, s42
	s_mul_i32 s0, s37, s41
	s_mul_hi_u32 s1, s37, s43
	s_add_i32 s0, s1, s0
	s_mul_i32 s40, s40, s43
	s_add_i32 s0, s0, s40
	s_mul_i32 s37, s37, s43
	s_mul_hi_u32 s40, s41, s37
	s_mul_i32 s42, s41, s37
	s_mul_i32 s45, s43, s0
	s_mul_hi_u32 s37, s43, s37
	s_mul_hi_u32 s44, s43, s0
	s_add_u32 s37, s37, s45
	s_addc_u32 s44, 0, s44
	s_add_u32 s37, s37, s42
	s_mul_hi_u32 s1, s41, s0
	s_addc_u32 s37, s44, s40
	s_addc_u32 s1, s1, 0
	s_mul_i32 s0, s41, s0
	s_add_u32 s0, s37, s0
	s_addc_u32 s37, 0, s1
	s_add_u32 s40, s43, s0
	s_cselect_b64 s[0:1], -1, 0
	s_cmp_lg_u64 s[0:1], 0
	v_add_co_u32_e32 v3, vcc, v6, v5
	s_addc_u32 s37, s41, s37
	v_xor_b32_e32 v10, v3, v5
	v_mad_u64_u32 v[3:4], s[0:1], v10, s37, 0
	v_mul_hi_u32 v9, v10, s40
	v_addc_co_u32_e32 v8, vcc, v7, v5, vcc
	v_xor_b32_e32 v11, v8, v5
	v_add_co_u32_e32 v12, vcc, v9, v3
	v_addc_co_u32_e32 v13, vcc, 0, v4, vcc
	v_mad_u64_u32 v[3:4], s[0:1], v11, s40, 0
	v_mad_u64_u32 v[8:9], s[0:1], v11, s37, 0
	v_add_co_u32_e32 v3, vcc, v12, v3
	v_addc_co_u32_e32 v3, vcc, v13, v4, vcc
	v_addc_co_u32_e32 v4, vcc, 0, v9, vcc
	v_add_co_u32_e32 v8, vcc, v3, v8
	v_addc_co_u32_e32 v9, vcc, 0, v4, vcc
	v_mul_lo_u32 v12, s39, v8
	v_mul_lo_u32 v13, s38, v9
	v_mad_u64_u32 v[3:4], s[0:1], s38, v8, 0
	v_xor_b32_e32 v5, s36, v5
	v_add3_u32 v4, v4, v13, v12
	v_sub_u32_e32 v12, v11, v4
	v_mov_b32_e32 v13, s39
	v_sub_co_u32_e32 v3, vcc, v10, v3
	v_subb_co_u32_e64 v10, s[0:1], v12, v13, vcc
	v_subrev_co_u32_e64 v12, s[0:1], s38, v3
	v_subbrev_co_u32_e64 v10, s[0:1], 0, v10, s[0:1]
	v_cmp_le_u32_e64 s[0:1], s39, v10
	v_cndmask_b32_e64 v13, 0, -1, s[0:1]
	v_cmp_le_u32_e64 s[0:1], s38, v12
	v_cndmask_b32_e64 v12, 0, -1, s[0:1]
	v_cmp_eq_u32_e64 s[0:1], s39, v10
	v_cndmask_b32_e64 v10, v13, v12, s[0:1]
	v_add_co_u32_e64 v12, s[0:1], 2, v8
	v_subb_co_u32_e32 v4, vcc, v11, v4, vcc
	v_addc_co_u32_e64 v13, s[0:1], 0, v9, s[0:1]
	v_cmp_le_u32_e32 vcc, s39, v4
	v_add_co_u32_e64 v14, s[0:1], 1, v8
	v_cndmask_b32_e64 v11, 0, -1, vcc
	v_cmp_le_u32_e32 vcc, s38, v3
	v_addc_co_u32_e64 v15, s[0:1], 0, v9, s[0:1]
	v_cndmask_b32_e64 v3, 0, -1, vcc
	v_cmp_eq_u32_e32 vcc, s39, v4
	v_cmp_ne_u32_e64 s[0:1], 0, v10
	v_cndmask_b32_e32 v3, v11, v3, vcc
	v_cmp_ne_u32_e32 vcc, 0, v3
	v_cndmask_b32_e64 v4, v14, v12, s[0:1]
	v_cndmask_b32_e64 v10, v15, v13, s[0:1]
	v_cndmask_b32_e32 v4, v8, v4, vcc
	v_cndmask_b32_e32 v3, v9, v10, vcc
	v_xor_b32_e32 v4, v4, v5
	v_xor_b32_e32 v3, v3, v5
	v_sub_co_u32_e32 v10, vcc, v4, v5
	v_subb_co_u32_e32 v11, vcc, v3, v5, vcc
.LBB30_9:                               ;   in Loop: Header=BB30_3 Depth=1
	s_andn2_saveexec_b64 s[0:1], s[34:35]
	s_cbranch_execz .LBB30_11
; %bb.10:                               ;   in Loop: Header=BB30_3 Depth=1
	v_cvt_f32_u32_e32 v3, s14
	s_sub_i32 s34, 0, s14
	v_mov_b32_e32 v11, v2
	v_rcp_iflag_f32_e32 v3, v3
	v_mul_f32_e32 v3, 0x4f7ffffe, v3
	v_cvt_u32_f32_e32 v3, v3
	v_mul_lo_u32 v4, s34, v3
	v_mul_hi_u32 v4, v3, v4
	v_add_u32_e32 v3, v3, v4
	v_mul_hi_u32 v3, v6, v3
	v_mul_lo_u32 v4, v3, s14
	v_add_u32_e32 v5, 1, v3
	v_sub_u32_e32 v4, v6, v4
	v_subrev_u32_e32 v8, s14, v4
	v_cmp_le_u32_e32 vcc, s14, v4
	v_cndmask_b32_e32 v4, v4, v8, vcc
	v_cndmask_b32_e32 v3, v3, v5, vcc
	v_add_u32_e32 v5, 1, v3
	v_cmp_le_u32_e32 vcc, s14, v4
	v_cndmask_b32_e32 v10, v3, v5, vcc
.LBB30_11:                              ;   in Loop: Header=BB30_3 Depth=1
	s_or_b64 exec, exec, s[0:1]
	v_mul_lo_u32 v5, v7, s2
	v_mul_lo_u32 v8, v6, s3
	v_mad_u64_u32 v[3:4], s[0:1], v6, s2, 0
	v_mul_lo_u32 v12, v11, s14
	v_mul_lo_u32 v13, v10, s15
	v_add3_u32 v5, v4, v8, v5
	v_mad_u64_u32 v[8:9], s[0:1], v10, s14, 0
	v_sub_co_u32_e32 v4, vcc, v0, v3
	v_subb_co_u32_e32 v5, vcc, v1, v5, vcc
	v_add3_u32 v9, v9, v13, v12
	v_sub_co_u32_e32 v3, vcc, v6, v8
	v_subb_co_u32_e32 v8, vcc, v7, v9, vcc
	v_sub_co_u32_e32 v6, vcc, v4, v3
	v_subb_co_u32_e32 v7, vcc, v5, v8, vcc
	v_add_co_u32_e32 v12, vcc, 1, v6
	v_addc_co_u32_e32 v13, vcc, 0, v7, vcc
	v_cmp_lt_i64_e32 vcc, s[8:9], v[12:13]
	s_and_saveexec_b64 s[34:35], vcc
	s_cbranch_execz .LBB30_2
; %bb.12:                               ;   in Loop: Header=BB30_3 Depth=1
	s_load_dwordx4 s[36:39], s[16:17], 0xc0
	s_andn2_b64 vcc, exec, s[12:13]
	s_waitcnt lgkmcnt(0)
	v_mul_lo_u32 v9, s39, v4
	v_mul_lo_u32 v14, s38, v5
	v_mad_u64_u32 v[12:13], s[0:1], s38, v4, 0
	v_mul_lo_u32 v15, s36, v8
	v_add3_u32 v13, v13, v14, v9
	v_mad_u64_u32 v[8:9], s[0:1], s36, v3, v[12:13]
	v_mul_lo_u32 v3, s37, v3
	v_add3_u32 v9, v3, v9, v15
	s_cbranch_vccnz .LBB30_38
; %bb.13:                               ;   in Loop: Header=BB30_3 Depth=1
	s_andn2_b64 vcc, exec, s[24:25]
	s_mov_b64 s[36:37], s[22:23]
	s_mov_b64 s[38:39], s[30:31]
	;; [unrolled: 1-line block ×4, first 2 shown]
	s_cbranch_vccz .LBB30_17
.LBB30_14:                              ;   in Loop: Header=BB30_3 Depth=1
	s_andn2_b64 vcc, exec, s[26:27]
	s_cbranch_vccnz .LBB30_38
; %bb.15:                               ;   in Loop: Header=BB30_3 Depth=1
	s_lshl_b64 s[0:1], s[40:41], 3
	s_add_u32 s36, s62, s0
	s_addc_u32 s37, s63, s1
	s_add_u32 s38, s64, s0
	s_addc_u32 s39, s65, s1
	s_add_u32 s40, s40, 1
	s_addc_u32 s41, s41, 0
	s_branch .LBB30_22
.LBB30_16:                              ;   in Loop: Header=BB30_17 Depth=2
	s_or_b64 exec, exec, s[0:1]
	v_mul_lo_u32 v3, v13, s44
	v_mul_lo_u32 v16, v12, s45
	v_mad_u64_u32 v[14:15], s[0:1], v12, s44, 0
	s_load_dwordx2 s[0:1], s[42:43], 0x0
	s_add_u32 s40, s40, -1
	v_add3_u32 v3, v15, v16, v3
	v_sub_co_u32_e32 v10, vcc, v10, v14
	s_addc_u32 s41, s41, -1
	v_subb_co_u32_e32 v3, vcc, v11, v3, vcc
	s_add_u32 s42, s42, -8
	s_waitcnt lgkmcnt(0)
	v_mul_lo_u32 v3, s0, v3
	v_mul_lo_u32 v11, s1, v10
	v_mad_u64_u32 v[8:9], s[0:1], s0, v10, v[8:9]
	s_addc_u32 s43, s43, -1
	s_add_u32 s38, s38, -8
	s_addc_u32 s39, s39, -1
	s_add_u32 s36, s36, -1
	s_addc_u32 s37, s37, -1
	v_add3_u32 v9, v11, v9, v3
	v_mov_b32_e32 v10, v12
	s_cmp_lg_u64 s[36:37], 0
	v_mov_b32_e32 v11, v13
	s_cbranch_scc0 .LBB30_14
.LBB30_17:                              ;   Parent Loop BB30_3 Depth=1
                                        ; =>  This Inner Loop Header: Depth=2
	s_load_dwordx2 s[44:45], s[38:39], 0x0
                                        ; implicit-def: $vgpr12_vgpr13
	s_waitcnt lgkmcnt(0)
	v_or_b32_e32 v3, s45, v11
	v_cmp_ne_u64_e32 vcc, 0, v[2:3]
	s_and_saveexec_b64 s[0:1], vcc
	s_xor_b64 s[46:47], exec, s[0:1]
	s_cbranch_execz .LBB30_19
; %bb.18:                               ;   in Loop: Header=BB30_17 Depth=2
	s_ashr_i32 s48, s45, 31
	s_add_u32 s0, s44, s48
	s_mov_b32 s49, s48
	s_addc_u32 s1, s45, s48
	s_xor_b64 s[50:51], s[0:1], s[48:49]
	v_cvt_f32_u32_e32 v3, s50
	v_cvt_f32_u32_e32 v12, s51
	s_sub_u32 s49, 0, s50
	s_subb_u32 s52, 0, s51
	v_mac_f32_e32 v3, 0x4f800000, v12
	v_rcp_f32_e32 v3, v3
	v_mul_f32_e32 v3, 0x5f7ffffc, v3
	v_mul_f32_e32 v12, 0x2f800000, v3
	v_trunc_f32_e32 v12, v12
	v_mac_f32_e32 v3, 0xcf800000, v12
	v_cvt_u32_f32_e32 v12, v12
	v_cvt_u32_f32_e32 v3, v3
	v_readfirstlane_b32 s53, v12
	v_readfirstlane_b32 s0, v3
	s_mul_i32 s1, s49, s53
	s_mul_hi_u32 s55, s49, s0
	s_mul_i32 s54, s52, s0
	s_add_i32 s1, s55, s1
	s_add_i32 s1, s1, s54
	s_mul_i32 s56, s49, s0
	s_mul_i32 s55, s0, s1
	s_mul_hi_u32 s57, s0, s56
	s_mul_hi_u32 s54, s0, s1
	s_add_u32 s55, s57, s55
	s_addc_u32 s54, 0, s54
	s_mul_hi_u32 s58, s53, s56
	s_mul_i32 s56, s53, s56
	s_add_u32 s55, s55, s56
	s_mul_hi_u32 s57, s53, s1
	s_addc_u32 s54, s54, s58
	s_addc_u32 s55, s57, 0
	s_mul_i32 s1, s53, s1
	s_add_u32 s1, s54, s1
	s_addc_u32 s54, 0, s55
	s_add_u32 s55, s0, s1
	s_cselect_b64 s[0:1], -1, 0
	s_cmp_lg_u64 s[0:1], 0
	s_addc_u32 s53, s53, s54
	s_mul_i32 s0, s49, s53
	s_mul_hi_u32 s1, s49, s55
	s_add_i32 s0, s1, s0
	s_mul_i32 s52, s52, s55
	s_add_i32 s0, s0, s52
	s_mul_i32 s49, s49, s55
	s_mul_hi_u32 s52, s53, s49
	s_mul_i32 s54, s53, s49
	s_mul_i32 s57, s55, s0
	s_mul_hi_u32 s49, s55, s49
	s_mul_hi_u32 s56, s55, s0
	s_add_u32 s49, s49, s57
	s_addc_u32 s56, 0, s56
	s_add_u32 s49, s49, s54
	s_mul_hi_u32 s1, s53, s0
	s_addc_u32 s49, s56, s52
	s_addc_u32 s1, s1, 0
	s_mul_i32 s0, s53, s0
	s_add_u32 s0, s49, s0
	s_addc_u32 s49, 0, s1
	s_add_u32 s52, s55, s0
	s_cselect_b64 s[0:1], -1, 0
	v_ashrrev_i32_e32 v3, 31, v11
	s_cmp_lg_u64 s[0:1], 0
	v_add_co_u32_e32 v12, vcc, v10, v3
	s_addc_u32 s49, s53, s49
	v_xor_b32_e32 v16, v12, v3
	v_mad_u64_u32 v[12:13], s[0:1], v16, s49, 0
	v_mul_hi_u32 v15, v16, s52
	v_addc_co_u32_e32 v14, vcc, v11, v3, vcc
	v_xor_b32_e32 v17, v14, v3
	v_add_co_u32_e32 v18, vcc, v15, v12
	v_addc_co_u32_e32 v19, vcc, 0, v13, vcc
	v_mad_u64_u32 v[12:13], s[0:1], v17, s52, 0
	v_mad_u64_u32 v[14:15], s[0:1], v17, s49, 0
	v_add_co_u32_e32 v12, vcc, v18, v12
	v_addc_co_u32_e32 v12, vcc, v19, v13, vcc
	v_addc_co_u32_e32 v13, vcc, 0, v15, vcc
	v_add_co_u32_e32 v14, vcc, v12, v14
	v_addc_co_u32_e32 v15, vcc, 0, v13, vcc
	v_mul_lo_u32 v18, s51, v14
	v_mul_lo_u32 v19, s50, v15
	v_mad_u64_u32 v[12:13], s[0:1], s50, v14, 0
	v_xor_b32_e32 v3, s48, v3
	v_add3_u32 v13, v13, v19, v18
	v_sub_u32_e32 v18, v17, v13
	v_mov_b32_e32 v19, s51
	v_sub_co_u32_e32 v12, vcc, v16, v12
	v_subb_co_u32_e64 v16, s[0:1], v18, v19, vcc
	v_subrev_co_u32_e64 v18, s[0:1], s50, v12
	v_subbrev_co_u32_e64 v16, s[0:1], 0, v16, s[0:1]
	v_cmp_le_u32_e64 s[0:1], s51, v16
	v_cndmask_b32_e64 v19, 0, -1, s[0:1]
	v_cmp_le_u32_e64 s[0:1], s50, v18
	v_cndmask_b32_e64 v18, 0, -1, s[0:1]
	v_cmp_eq_u32_e64 s[0:1], s51, v16
	v_cndmask_b32_e64 v16, v19, v18, s[0:1]
	v_add_co_u32_e64 v18, s[0:1], 2, v14
	v_subb_co_u32_e32 v13, vcc, v17, v13, vcc
	v_addc_co_u32_e64 v19, s[0:1], 0, v15, s[0:1]
	v_cmp_le_u32_e32 vcc, s51, v13
	v_add_co_u32_e64 v20, s[0:1], 1, v14
	v_cndmask_b32_e64 v17, 0, -1, vcc
	v_cmp_le_u32_e32 vcc, s50, v12
	v_addc_co_u32_e64 v21, s[0:1], 0, v15, s[0:1]
	v_cndmask_b32_e64 v12, 0, -1, vcc
	v_cmp_eq_u32_e32 vcc, s51, v13
	v_cmp_ne_u32_e64 s[0:1], 0, v16
	v_cndmask_b32_e32 v12, v17, v12, vcc
	v_cndmask_b32_e64 v16, v21, v19, s[0:1]
	v_cmp_ne_u32_e32 vcc, 0, v12
	v_cndmask_b32_e64 v13, v20, v18, s[0:1]
	v_cndmask_b32_e32 v12, v15, v16, vcc
	v_cndmask_b32_e32 v13, v14, v13, vcc
	v_xor_b32_e32 v14, v12, v3
	v_xor_b32_e32 v12, v13, v3
	v_sub_co_u32_e32 v12, vcc, v12, v3
	v_subb_co_u32_e32 v13, vcc, v14, v3, vcc
.LBB30_19:                              ;   in Loop: Header=BB30_17 Depth=2
	s_andn2_saveexec_b64 s[0:1], s[46:47]
	s_cbranch_execz .LBB30_16
; %bb.20:                               ;   in Loop: Header=BB30_17 Depth=2
	v_cvt_f32_u32_e32 v3, s44
	s_sub_i32 s46, 0, s44
	v_rcp_iflag_f32_e32 v3, v3
	v_mul_f32_e32 v3, 0x4f7ffffe, v3
	v_cvt_u32_f32_e32 v3, v3
	v_mul_lo_u32 v12, s46, v3
	v_mul_hi_u32 v12, v3, v12
	v_add_u32_e32 v3, v3, v12
	v_mul_hi_u32 v3, v10, v3
	v_mul_lo_u32 v12, v3, s44
	v_add_u32_e32 v13, 1, v3
	v_sub_u32_e32 v12, v10, v12
	v_subrev_u32_e32 v14, s44, v12
	v_cmp_le_u32_e32 vcc, s44, v12
	v_cndmask_b32_e32 v12, v12, v14, vcc
	v_cndmask_b32_e32 v3, v3, v13, vcc
	v_add_u32_e32 v13, 1, v3
	v_cmp_le_u32_e32 vcc, s44, v12
	v_cndmask_b32_e32 v12, v3, v13, vcc
	v_mov_b32_e32 v13, v2
	s_branch .LBB30_16
.LBB30_21:                              ;   in Loop: Header=BB30_22 Depth=2
	s_or_b64 exec, exec, s[0:1]
	v_mul_lo_u32 v3, v13, s42
	v_mul_lo_u32 v22, v12, s43
	v_mad_u64_u32 v[20:21], s[0:1], v12, s42, 0
	v_add3_u32 v3, v21, v22, v3
	v_sub_co_u32_e32 v10, vcc, v10, v20
	v_subb_co_u32_e32 v3, vcc, v11, v3, vcc
	v_mul_lo_u32 v3, s46, v3
	v_mul_lo_u32 v20, s47, v10
	v_mad_u64_u32 v[8:9], s[0:1], s46, v10, v[8:9]
	v_mul_lo_u32 v21, v15, s44
	v_mul_lo_u32 v22, v14, s45
	v_mad_u64_u32 v[10:11], s[0:1], v14, s44, 0
	v_add3_u32 v9, v20, v9, v3
	v_mul_lo_u32 v20, v16, s49
	v_add3_u32 v3, v11, v22, v21
	v_sub_co_u32_e32 v10, vcc, v12, v10
	v_subb_co_u32_e32 v3, vcc, v13, v3, vcc
	v_mad_u64_u32 v[8:9], s[0:1], s50, v10, v[8:9]
	v_mul_lo_u32 v3, s50, v3
	v_mul_lo_u32 v12, s51, v10
	;; [unrolled: 1-line block ×3, first 2 shown]
	v_mad_u64_u32 v[10:11], s[0:1], v16, s48, 0
	v_add3_u32 v9, v12, v9, v3
	v_add3_u32 v3, v11, v20, v13
	v_sub_co_u32_e32 v10, vcc, v14, v10
	v_subb_co_u32_e32 v3, vcc, v15, v3, vcc
	v_mad_u64_u32 v[8:9], s[0:1], s54, v10, v[8:9]
	v_mul_lo_u32 v3, s54, v3
	v_mul_lo_u32 v12, s55, v10
	;; [unrolled: 1-line block ×4, first 2 shown]
	v_mad_u64_u32 v[10:11], s[0:1], v18, s52, 0
	s_load_dwordx2 s[0:1], s[36:37], 0x0
	v_add3_u32 v9, v12, v9, v3
	v_add3_u32 v3, v11, v14, v13
	v_sub_co_u32_e32 v10, vcc, v16, v10
	v_subb_co_u32_e32 v3, vcc, v17, v3, vcc
	s_add_u32 s36, s36, 0xffffffe0
	s_waitcnt lgkmcnt(0)
	v_mad_u64_u32 v[8:9], s[42:43], s0, v10, v[8:9]
	v_mul_lo_u32 v3, s0, v3
	v_mul_lo_u32 v10, s1, v10
	s_addc_u32 s37, s37, -1
	s_add_u32 s38, s38, 0xffffffe0
	s_addc_u32 s39, s39, -1
	s_add_u32 s40, s40, -4
	v_add3_u32 v9, v10, v9, v3
	s_addc_u32 s41, s41, -1
	v_mov_b32_e32 v10, v18
	s_cmp_eq_u64 s[40:41], 0
	v_mov_b32_e32 v11, v19
	s_cbranch_scc1 .LBB30_38
.LBB30_22:                              ;   Parent Loop BB30_3 Depth=1
                                        ; =>  This Inner Loop Header: Depth=2
	s_load_dwordx2 s[42:43], s[38:39], 0x18
                                        ; implicit-def: $vgpr12_vgpr13
	s_waitcnt lgkmcnt(0)
	v_or_b32_e32 v3, s43, v11
	v_cmp_ne_u64_e32 vcc, 0, v[2:3]
	s_and_saveexec_b64 s[0:1], vcc
	s_xor_b64 s[44:45], exec, s[0:1]
	s_cbranch_execz .LBB30_24
; %bb.23:                               ;   in Loop: Header=BB30_22 Depth=2
	s_ashr_i32 s46, s43, 31
	s_add_u32 s0, s42, s46
	s_mov_b32 s47, s46
	s_addc_u32 s1, s43, s46
	s_xor_b64 s[48:49], s[0:1], s[46:47]
	v_cvt_f32_u32_e32 v3, s48
	v_cvt_f32_u32_e32 v12, s49
	s_sub_u32 s47, 0, s48
	s_subb_u32 s50, 0, s49
	v_mac_f32_e32 v3, 0x4f800000, v12
	v_rcp_f32_e32 v3, v3
	v_mul_f32_e32 v3, 0x5f7ffffc, v3
	v_mul_f32_e32 v12, 0x2f800000, v3
	v_trunc_f32_e32 v12, v12
	v_mac_f32_e32 v3, 0xcf800000, v12
	v_cvt_u32_f32_e32 v12, v12
	v_cvt_u32_f32_e32 v3, v3
	v_readfirstlane_b32 s51, v12
	v_readfirstlane_b32 s0, v3
	s_mul_i32 s1, s47, s51
	s_mul_hi_u32 s53, s47, s0
	s_mul_i32 s52, s50, s0
	s_add_i32 s1, s53, s1
	s_add_i32 s1, s1, s52
	s_mul_i32 s54, s47, s0
	s_mul_i32 s53, s0, s1
	s_mul_hi_u32 s55, s0, s54
	s_mul_hi_u32 s52, s0, s1
	s_add_u32 s53, s55, s53
	s_addc_u32 s52, 0, s52
	s_mul_hi_u32 s56, s51, s54
	s_mul_i32 s54, s51, s54
	s_add_u32 s53, s53, s54
	s_mul_hi_u32 s55, s51, s1
	s_addc_u32 s52, s52, s56
	s_addc_u32 s53, s55, 0
	s_mul_i32 s1, s51, s1
	s_add_u32 s1, s52, s1
	s_addc_u32 s52, 0, s53
	s_add_u32 s53, s0, s1
	s_cselect_b64 s[0:1], -1, 0
	s_cmp_lg_u64 s[0:1], 0
	s_addc_u32 s51, s51, s52
	s_mul_i32 s0, s47, s51
	s_mul_hi_u32 s1, s47, s53
	s_add_i32 s0, s1, s0
	s_mul_i32 s50, s50, s53
	s_add_i32 s0, s0, s50
	s_mul_i32 s47, s47, s53
	s_mul_hi_u32 s50, s51, s47
	s_mul_i32 s52, s51, s47
	s_mul_i32 s55, s53, s0
	s_mul_hi_u32 s47, s53, s47
	s_mul_hi_u32 s54, s53, s0
	s_add_u32 s47, s47, s55
	s_addc_u32 s54, 0, s54
	s_add_u32 s47, s47, s52
	s_mul_hi_u32 s1, s51, s0
	s_addc_u32 s47, s54, s50
	s_addc_u32 s1, s1, 0
	s_mul_i32 s0, s51, s0
	s_add_u32 s0, s47, s0
	s_addc_u32 s47, 0, s1
	s_add_u32 s50, s53, s0
	s_cselect_b64 s[0:1], -1, 0
	v_ashrrev_i32_e32 v3, 31, v11
	s_cmp_lg_u64 s[0:1], 0
	v_add_co_u32_e32 v12, vcc, v10, v3
	s_addc_u32 s47, s51, s47
	v_xor_b32_e32 v16, v12, v3
	v_mad_u64_u32 v[12:13], s[0:1], v16, s47, 0
	v_mul_hi_u32 v15, v16, s50
	v_addc_co_u32_e32 v14, vcc, v11, v3, vcc
	v_xor_b32_e32 v17, v14, v3
	v_add_co_u32_e32 v18, vcc, v15, v12
	v_addc_co_u32_e32 v19, vcc, 0, v13, vcc
	v_mad_u64_u32 v[12:13], s[0:1], v17, s50, 0
	v_mad_u64_u32 v[14:15], s[0:1], v17, s47, 0
	v_add_co_u32_e32 v12, vcc, v18, v12
	v_addc_co_u32_e32 v12, vcc, v19, v13, vcc
	v_addc_co_u32_e32 v13, vcc, 0, v15, vcc
	v_add_co_u32_e32 v14, vcc, v12, v14
	v_addc_co_u32_e32 v15, vcc, 0, v13, vcc
	v_mul_lo_u32 v18, s49, v14
	v_mul_lo_u32 v19, s48, v15
	v_mad_u64_u32 v[12:13], s[0:1], s48, v14, 0
	v_xor_b32_e32 v3, s46, v3
	v_add3_u32 v13, v13, v19, v18
	v_sub_u32_e32 v18, v17, v13
	v_mov_b32_e32 v19, s49
	v_sub_co_u32_e32 v12, vcc, v16, v12
	v_subb_co_u32_e64 v16, s[0:1], v18, v19, vcc
	v_subrev_co_u32_e64 v18, s[0:1], s48, v12
	v_subbrev_co_u32_e64 v16, s[0:1], 0, v16, s[0:1]
	v_cmp_le_u32_e64 s[0:1], s49, v16
	v_cndmask_b32_e64 v19, 0, -1, s[0:1]
	v_cmp_le_u32_e64 s[0:1], s48, v18
	v_cndmask_b32_e64 v18, 0, -1, s[0:1]
	v_cmp_eq_u32_e64 s[0:1], s49, v16
	v_cndmask_b32_e64 v16, v19, v18, s[0:1]
	v_add_co_u32_e64 v18, s[0:1], 2, v14
	v_subb_co_u32_e32 v13, vcc, v17, v13, vcc
	v_addc_co_u32_e64 v19, s[0:1], 0, v15, s[0:1]
	v_cmp_le_u32_e32 vcc, s49, v13
	v_add_co_u32_e64 v20, s[0:1], 1, v14
	v_cndmask_b32_e64 v17, 0, -1, vcc
	v_cmp_le_u32_e32 vcc, s48, v12
	v_addc_co_u32_e64 v21, s[0:1], 0, v15, s[0:1]
	v_cndmask_b32_e64 v12, 0, -1, vcc
	v_cmp_eq_u32_e32 vcc, s49, v13
	v_cmp_ne_u32_e64 s[0:1], 0, v16
	v_cndmask_b32_e32 v12, v17, v12, vcc
	v_cndmask_b32_e64 v16, v21, v19, s[0:1]
	v_cmp_ne_u32_e32 vcc, 0, v12
	v_cndmask_b32_e64 v13, v20, v18, s[0:1]
	v_cndmask_b32_e32 v12, v15, v16, vcc
	v_cndmask_b32_e32 v13, v14, v13, vcc
	v_xor_b32_e32 v14, v12, v3
	v_xor_b32_e32 v12, v13, v3
	v_sub_co_u32_e32 v12, vcc, v12, v3
	v_subb_co_u32_e32 v13, vcc, v14, v3, vcc
.LBB30_24:                              ;   in Loop: Header=BB30_22 Depth=2
	s_andn2_saveexec_b64 s[0:1], s[44:45]
	s_cbranch_execz .LBB30_26
; %bb.25:                               ;   in Loop: Header=BB30_22 Depth=2
	v_cvt_f32_u32_e32 v3, s42
	s_sub_i32 s44, 0, s42
	v_rcp_iflag_f32_e32 v3, v3
	v_mul_f32_e32 v3, 0x4f7ffffe, v3
	v_cvt_u32_f32_e32 v3, v3
	v_mul_lo_u32 v12, s44, v3
	v_mul_hi_u32 v12, v3, v12
	v_add_u32_e32 v3, v3, v12
	v_mul_hi_u32 v3, v10, v3
	v_mul_lo_u32 v12, v3, s42
	v_add_u32_e32 v13, 1, v3
	v_sub_u32_e32 v12, v10, v12
	v_subrev_u32_e32 v14, s42, v12
	v_cmp_le_u32_e32 vcc, s42, v12
	v_cndmask_b32_e32 v12, v12, v14, vcc
	v_cndmask_b32_e32 v3, v3, v13, vcc
	v_add_u32_e32 v13, 1, v3
	v_cmp_le_u32_e32 vcc, s42, v12
	v_cndmask_b32_e32 v12, v3, v13, vcc
	v_mov_b32_e32 v13, v2
.LBB30_26:                              ;   in Loop: Header=BB30_22 Depth=2
	s_or_b64 exec, exec, s[0:1]
	s_load_dwordx2 s[44:45], s[38:39], 0x10
	s_load_dwordx2 s[46:47], s[36:37], 0x18
                                        ; implicit-def: $vgpr14_vgpr15
	s_waitcnt lgkmcnt(0)
	v_or_b32_e32 v3, s45, v13
	v_cmp_ne_u64_e32 vcc, 0, v[2:3]
	s_and_saveexec_b64 s[0:1], vcc
	s_xor_b64 s[48:49], exec, s[0:1]
	s_cbranch_execz .LBB30_28
; %bb.27:                               ;   in Loop: Header=BB30_22 Depth=2
	s_ashr_i32 s50, s45, 31
	s_add_u32 s0, s44, s50
	s_mov_b32 s51, s50
	s_addc_u32 s1, s45, s50
	s_xor_b64 s[52:53], s[0:1], s[50:51]
	v_cvt_f32_u32_e32 v3, s52
	v_cvt_f32_u32_e32 v14, s53
	s_sub_u32 s51, 0, s52
	s_subb_u32 s54, 0, s53
	v_mac_f32_e32 v3, 0x4f800000, v14
	v_rcp_f32_e32 v3, v3
	v_mul_f32_e32 v3, 0x5f7ffffc, v3
	v_mul_f32_e32 v14, 0x2f800000, v3
	v_trunc_f32_e32 v14, v14
	v_mac_f32_e32 v3, 0xcf800000, v14
	v_cvt_u32_f32_e32 v14, v14
	v_cvt_u32_f32_e32 v3, v3
	v_readfirstlane_b32 s55, v14
	v_readfirstlane_b32 s0, v3
	s_mul_i32 s1, s51, s55
	s_mul_hi_u32 s57, s51, s0
	s_mul_i32 s56, s54, s0
	s_add_i32 s1, s57, s1
	s_add_i32 s1, s1, s56
	s_mul_i32 s58, s51, s0
	s_mul_i32 s57, s0, s1
	s_mul_hi_u32 s59, s0, s58
	s_mul_hi_u32 s56, s0, s1
	s_add_u32 s57, s59, s57
	s_addc_u32 s56, 0, s56
	s_mul_hi_u32 s60, s55, s58
	s_mul_i32 s58, s55, s58
	s_add_u32 s57, s57, s58
	s_mul_hi_u32 s59, s55, s1
	s_addc_u32 s56, s56, s60
	s_addc_u32 s57, s59, 0
	s_mul_i32 s1, s55, s1
	s_add_u32 s1, s56, s1
	s_addc_u32 s56, 0, s57
	s_add_u32 s57, s0, s1
	s_cselect_b64 s[0:1], -1, 0
	s_cmp_lg_u64 s[0:1], 0
	s_addc_u32 s55, s55, s56
	s_mul_i32 s0, s51, s55
	s_mul_hi_u32 s1, s51, s57
	s_add_i32 s0, s1, s0
	s_mul_i32 s54, s54, s57
	s_add_i32 s0, s0, s54
	s_mul_i32 s51, s51, s57
	s_mul_hi_u32 s54, s55, s51
	s_mul_i32 s56, s55, s51
	s_mul_i32 s59, s57, s0
	s_mul_hi_u32 s51, s57, s51
	s_mul_hi_u32 s58, s57, s0
	s_add_u32 s51, s51, s59
	s_addc_u32 s58, 0, s58
	s_add_u32 s51, s51, s56
	s_mul_hi_u32 s1, s55, s0
	s_addc_u32 s51, s58, s54
	s_addc_u32 s1, s1, 0
	s_mul_i32 s0, s55, s0
	s_add_u32 s0, s51, s0
	s_addc_u32 s51, 0, s1
	s_add_u32 s54, s57, s0
	s_cselect_b64 s[0:1], -1, 0
	v_ashrrev_i32_e32 v3, 31, v13
	s_cmp_lg_u64 s[0:1], 0
	v_add_co_u32_e32 v14, vcc, v12, v3
	s_addc_u32 s51, s55, s51
	v_xor_b32_e32 v18, v14, v3
	v_mad_u64_u32 v[14:15], s[0:1], v18, s51, 0
	v_mul_hi_u32 v17, v18, s54
	v_addc_co_u32_e32 v16, vcc, v13, v3, vcc
	v_xor_b32_e32 v19, v16, v3
	v_add_co_u32_e32 v20, vcc, v17, v14
	v_addc_co_u32_e32 v21, vcc, 0, v15, vcc
	v_mad_u64_u32 v[14:15], s[0:1], v19, s54, 0
	v_mad_u64_u32 v[16:17], s[0:1], v19, s51, 0
	v_add_co_u32_e32 v14, vcc, v20, v14
	v_addc_co_u32_e32 v14, vcc, v21, v15, vcc
	v_addc_co_u32_e32 v15, vcc, 0, v17, vcc
	v_add_co_u32_e32 v16, vcc, v14, v16
	v_addc_co_u32_e32 v17, vcc, 0, v15, vcc
	v_mul_lo_u32 v20, s53, v16
	v_mul_lo_u32 v21, s52, v17
	v_mad_u64_u32 v[14:15], s[0:1], s52, v16, 0
	v_xor_b32_e32 v3, s50, v3
	v_add3_u32 v15, v15, v21, v20
	v_sub_u32_e32 v20, v19, v15
	v_mov_b32_e32 v21, s53
	v_sub_co_u32_e32 v14, vcc, v18, v14
	v_subb_co_u32_e64 v18, s[0:1], v20, v21, vcc
	v_subrev_co_u32_e64 v20, s[0:1], s52, v14
	v_subbrev_co_u32_e64 v18, s[0:1], 0, v18, s[0:1]
	v_cmp_le_u32_e64 s[0:1], s53, v18
	v_cndmask_b32_e64 v21, 0, -1, s[0:1]
	v_cmp_le_u32_e64 s[0:1], s52, v20
	v_cndmask_b32_e64 v20, 0, -1, s[0:1]
	v_cmp_eq_u32_e64 s[0:1], s53, v18
	v_cndmask_b32_e64 v18, v21, v20, s[0:1]
	v_add_co_u32_e64 v20, s[0:1], 2, v16
	v_subb_co_u32_e32 v15, vcc, v19, v15, vcc
	v_addc_co_u32_e64 v21, s[0:1], 0, v17, s[0:1]
	v_cmp_le_u32_e32 vcc, s53, v15
	v_add_co_u32_e64 v22, s[0:1], 1, v16
	v_cndmask_b32_e64 v19, 0, -1, vcc
	v_cmp_le_u32_e32 vcc, s52, v14
	v_addc_co_u32_e64 v23, s[0:1], 0, v17, s[0:1]
	v_cndmask_b32_e64 v14, 0, -1, vcc
	v_cmp_eq_u32_e32 vcc, s53, v15
	v_cmp_ne_u32_e64 s[0:1], 0, v18
	v_cndmask_b32_e32 v14, v19, v14, vcc
	v_cndmask_b32_e64 v18, v23, v21, s[0:1]
	v_cmp_ne_u32_e32 vcc, 0, v14
	v_cndmask_b32_e64 v15, v22, v20, s[0:1]
	v_cndmask_b32_e32 v14, v17, v18, vcc
	v_cndmask_b32_e32 v15, v16, v15, vcc
	v_xor_b32_e32 v16, v14, v3
	v_xor_b32_e32 v14, v15, v3
	v_sub_co_u32_e32 v14, vcc, v14, v3
	v_subb_co_u32_e32 v15, vcc, v16, v3, vcc
.LBB30_28:                              ;   in Loop: Header=BB30_22 Depth=2
	s_andn2_saveexec_b64 s[0:1], s[48:49]
	s_cbranch_execz .LBB30_30
; %bb.29:                               ;   in Loop: Header=BB30_22 Depth=2
	v_cvt_f32_u32_e32 v3, s44
	s_sub_i32 s48, 0, s44
	v_rcp_iflag_f32_e32 v3, v3
	v_mul_f32_e32 v3, 0x4f7ffffe, v3
	v_cvt_u32_f32_e32 v3, v3
	v_mul_lo_u32 v14, s48, v3
	v_mul_hi_u32 v14, v3, v14
	v_add_u32_e32 v3, v3, v14
	v_mul_hi_u32 v3, v12, v3
	v_mul_lo_u32 v14, v3, s44
	v_add_u32_e32 v15, 1, v3
	v_sub_u32_e32 v14, v12, v14
	v_subrev_u32_e32 v16, s44, v14
	v_cmp_le_u32_e32 vcc, s44, v14
	v_cndmask_b32_e32 v14, v14, v16, vcc
	v_cndmask_b32_e32 v3, v3, v15, vcc
	v_add_u32_e32 v15, 1, v3
	v_cmp_le_u32_e32 vcc, s44, v14
	v_cndmask_b32_e32 v14, v3, v15, vcc
	v_mov_b32_e32 v15, v2
.LBB30_30:                              ;   in Loop: Header=BB30_22 Depth=2
	s_or_b64 exec, exec, s[0:1]
	s_load_dwordx2 s[48:49], s[38:39], 0x8
	s_load_dwordx2 s[50:51], s[36:37], 0x10
                                        ; implicit-def: $vgpr16_vgpr17
	s_waitcnt lgkmcnt(0)
	v_or_b32_e32 v3, s49, v15
	v_cmp_ne_u64_e32 vcc, 0, v[2:3]
	s_and_saveexec_b64 s[0:1], vcc
	s_xor_b64 s[52:53], exec, s[0:1]
	s_cbranch_execz .LBB30_32
; %bb.31:                               ;   in Loop: Header=BB30_22 Depth=2
	s_ashr_i32 s54, s49, 31
	s_add_u32 s0, s48, s54
	s_mov_b32 s55, s54
	s_addc_u32 s1, s49, s54
	s_xor_b64 s[56:57], s[0:1], s[54:55]
	v_cvt_f32_u32_e32 v3, s56
	v_cvt_f32_u32_e32 v16, s57
	s_sub_u32 s55, 0, s56
	s_subb_u32 s58, 0, s57
	v_mac_f32_e32 v3, 0x4f800000, v16
	v_rcp_f32_e32 v3, v3
	v_mul_f32_e32 v3, 0x5f7ffffc, v3
	v_mul_f32_e32 v16, 0x2f800000, v3
	v_trunc_f32_e32 v16, v16
	v_mac_f32_e32 v3, 0xcf800000, v16
	v_cvt_u32_f32_e32 v16, v16
	v_cvt_u32_f32_e32 v3, v3
	v_readfirstlane_b32 s59, v16
	v_readfirstlane_b32 s0, v3
	s_mul_i32 s1, s55, s59
	s_mul_hi_u32 s61, s55, s0
	s_mul_i32 s60, s58, s0
	s_add_i32 s1, s61, s1
	s_add_i32 s1, s1, s60
	s_mul_i32 s66, s55, s0
	s_mul_i32 s61, s0, s1
	s_mul_hi_u32 s67, s0, s66
	s_mul_hi_u32 s60, s0, s1
	s_add_u32 s61, s67, s61
	s_addc_u32 s60, 0, s60
	s_mul_hi_u32 s68, s59, s66
	s_mul_i32 s66, s59, s66
	s_add_u32 s61, s61, s66
	s_mul_hi_u32 s67, s59, s1
	s_addc_u32 s60, s60, s68
	s_addc_u32 s61, s67, 0
	s_mul_i32 s1, s59, s1
	s_add_u32 s1, s60, s1
	s_addc_u32 s60, 0, s61
	s_add_u32 s61, s0, s1
	s_cselect_b64 s[0:1], -1, 0
	s_cmp_lg_u64 s[0:1], 0
	s_addc_u32 s59, s59, s60
	s_mul_i32 s0, s55, s59
	s_mul_hi_u32 s1, s55, s61
	s_add_i32 s0, s1, s0
	s_mul_i32 s58, s58, s61
	s_add_i32 s0, s0, s58
	s_mul_i32 s55, s55, s61
	s_mul_hi_u32 s58, s59, s55
	s_mul_i32 s60, s59, s55
	s_mul_i32 s67, s61, s0
	s_mul_hi_u32 s55, s61, s55
	s_mul_hi_u32 s66, s61, s0
	s_add_u32 s55, s55, s67
	s_addc_u32 s66, 0, s66
	s_add_u32 s55, s55, s60
	s_mul_hi_u32 s1, s59, s0
	s_addc_u32 s55, s66, s58
	s_addc_u32 s1, s1, 0
	s_mul_i32 s0, s59, s0
	s_add_u32 s0, s55, s0
	s_addc_u32 s55, 0, s1
	s_add_u32 s58, s61, s0
	s_cselect_b64 s[0:1], -1, 0
	v_ashrrev_i32_e32 v3, 31, v15
	s_cmp_lg_u64 s[0:1], 0
	v_add_co_u32_e32 v16, vcc, v14, v3
	s_addc_u32 s55, s59, s55
	v_xor_b32_e32 v20, v16, v3
	v_mad_u64_u32 v[16:17], s[0:1], v20, s55, 0
	v_mul_hi_u32 v19, v20, s58
	v_addc_co_u32_e32 v18, vcc, v15, v3, vcc
	v_xor_b32_e32 v21, v18, v3
	v_add_co_u32_e32 v22, vcc, v19, v16
	v_addc_co_u32_e32 v23, vcc, 0, v17, vcc
	v_mad_u64_u32 v[16:17], s[0:1], v21, s58, 0
	v_mad_u64_u32 v[18:19], s[0:1], v21, s55, 0
	v_add_co_u32_e32 v16, vcc, v22, v16
	v_addc_co_u32_e32 v16, vcc, v23, v17, vcc
	v_addc_co_u32_e32 v17, vcc, 0, v19, vcc
	v_add_co_u32_e32 v18, vcc, v16, v18
	v_addc_co_u32_e32 v19, vcc, 0, v17, vcc
	v_mul_lo_u32 v22, s57, v18
	v_mul_lo_u32 v23, s56, v19
	v_mad_u64_u32 v[16:17], s[0:1], s56, v18, 0
	v_xor_b32_e32 v3, s54, v3
	v_add3_u32 v17, v17, v23, v22
	v_sub_u32_e32 v22, v21, v17
	v_mov_b32_e32 v23, s57
	v_sub_co_u32_e32 v16, vcc, v20, v16
	v_subb_co_u32_e64 v20, s[0:1], v22, v23, vcc
	v_subrev_co_u32_e64 v22, s[0:1], s56, v16
	v_subbrev_co_u32_e64 v20, s[0:1], 0, v20, s[0:1]
	v_cmp_le_u32_e64 s[0:1], s57, v20
	v_cndmask_b32_e64 v23, 0, -1, s[0:1]
	v_cmp_le_u32_e64 s[0:1], s56, v22
	v_cndmask_b32_e64 v22, 0, -1, s[0:1]
	v_cmp_eq_u32_e64 s[0:1], s57, v20
	v_cndmask_b32_e64 v20, v23, v22, s[0:1]
	v_add_co_u32_e64 v22, s[0:1], 2, v18
	v_subb_co_u32_e32 v17, vcc, v21, v17, vcc
	v_addc_co_u32_e64 v23, s[0:1], 0, v19, s[0:1]
	v_cmp_le_u32_e32 vcc, s57, v17
	v_add_co_u32_e64 v24, s[0:1], 1, v18
	v_cndmask_b32_e64 v21, 0, -1, vcc
	v_cmp_le_u32_e32 vcc, s56, v16
	v_addc_co_u32_e64 v25, s[0:1], 0, v19, s[0:1]
	v_cndmask_b32_e64 v16, 0, -1, vcc
	v_cmp_eq_u32_e32 vcc, s57, v17
	v_cmp_ne_u32_e64 s[0:1], 0, v20
	v_cndmask_b32_e32 v16, v21, v16, vcc
	v_cndmask_b32_e64 v20, v25, v23, s[0:1]
	v_cmp_ne_u32_e32 vcc, 0, v16
	v_cndmask_b32_e64 v17, v24, v22, s[0:1]
	v_cndmask_b32_e32 v16, v19, v20, vcc
	v_cndmask_b32_e32 v17, v18, v17, vcc
	v_xor_b32_e32 v18, v16, v3
	v_xor_b32_e32 v16, v17, v3
	v_sub_co_u32_e32 v16, vcc, v16, v3
	v_subb_co_u32_e32 v17, vcc, v18, v3, vcc
.LBB30_32:                              ;   in Loop: Header=BB30_22 Depth=2
	s_andn2_saveexec_b64 s[0:1], s[52:53]
	s_cbranch_execz .LBB30_34
; %bb.33:                               ;   in Loop: Header=BB30_22 Depth=2
	v_cvt_f32_u32_e32 v3, s48
	s_sub_i32 s52, 0, s48
	v_rcp_iflag_f32_e32 v3, v3
	v_mul_f32_e32 v3, 0x4f7ffffe, v3
	v_cvt_u32_f32_e32 v3, v3
	v_mul_lo_u32 v16, s52, v3
	v_mul_hi_u32 v16, v3, v16
	v_add_u32_e32 v3, v3, v16
	v_mul_hi_u32 v3, v14, v3
	v_mul_lo_u32 v16, v3, s48
	v_add_u32_e32 v17, 1, v3
	v_sub_u32_e32 v16, v14, v16
	v_subrev_u32_e32 v18, s48, v16
	v_cmp_le_u32_e32 vcc, s48, v16
	v_cndmask_b32_e32 v16, v16, v18, vcc
	v_cndmask_b32_e32 v3, v3, v17, vcc
	v_add_u32_e32 v17, 1, v3
	v_cmp_le_u32_e32 vcc, s48, v16
	v_cndmask_b32_e32 v16, v3, v17, vcc
	v_mov_b32_e32 v17, v2
.LBB30_34:                              ;   in Loop: Header=BB30_22 Depth=2
	s_or_b64 exec, exec, s[0:1]
	s_load_dwordx2 s[52:53], s[38:39], 0x0
	s_load_dwordx2 s[54:55], s[36:37], 0x8
                                        ; implicit-def: $vgpr18_vgpr19
	s_waitcnt lgkmcnt(0)
	v_or_b32_e32 v3, s53, v17
	v_cmp_ne_u64_e32 vcc, 0, v[2:3]
	s_and_saveexec_b64 s[0:1], vcc
	s_xor_b64 s[56:57], exec, s[0:1]
	s_cbranch_execz .LBB30_36
; %bb.35:                               ;   in Loop: Header=BB30_22 Depth=2
	s_ashr_i32 s58, s53, 31
	s_add_u32 s0, s52, s58
	s_mov_b32 s59, s58
	s_addc_u32 s1, s53, s58
	s_xor_b64 s[60:61], s[0:1], s[58:59]
	v_cvt_f32_u32_e32 v3, s60
	v_cvt_f32_u32_e32 v18, s61
	s_sub_u32 s59, 0, s60
	s_subb_u32 s66, 0, s61
	v_mac_f32_e32 v3, 0x4f800000, v18
	v_rcp_f32_e32 v3, v3
	v_mul_f32_e32 v3, 0x5f7ffffc, v3
	v_mul_f32_e32 v18, 0x2f800000, v3
	v_trunc_f32_e32 v18, v18
	v_mac_f32_e32 v3, 0xcf800000, v18
	v_cvt_u32_f32_e32 v18, v18
	v_cvt_u32_f32_e32 v3, v3
	v_readfirstlane_b32 s67, v18
	v_readfirstlane_b32 s0, v3
	s_mul_i32 s1, s59, s67
	s_mul_hi_u32 s69, s59, s0
	s_mul_i32 s68, s66, s0
	s_add_i32 s1, s69, s1
	s_add_i32 s1, s1, s68
	s_mul_i32 s70, s59, s0
	s_mul_i32 s69, s0, s1
	s_mul_hi_u32 s71, s0, s70
	s_mul_hi_u32 s68, s0, s1
	s_add_u32 s69, s71, s69
	s_addc_u32 s68, 0, s68
	s_mul_hi_u32 s72, s67, s70
	s_mul_i32 s70, s67, s70
	s_add_u32 s69, s69, s70
	s_mul_hi_u32 s71, s67, s1
	s_addc_u32 s68, s68, s72
	s_addc_u32 s69, s71, 0
	s_mul_i32 s1, s67, s1
	s_add_u32 s1, s68, s1
	s_addc_u32 s68, 0, s69
	s_add_u32 s69, s0, s1
	s_cselect_b64 s[0:1], -1, 0
	s_cmp_lg_u64 s[0:1], 0
	s_addc_u32 s67, s67, s68
	s_mul_i32 s0, s59, s67
	s_mul_hi_u32 s1, s59, s69
	s_add_i32 s0, s1, s0
	s_mul_i32 s66, s66, s69
	s_add_i32 s0, s0, s66
	s_mul_i32 s59, s59, s69
	s_mul_hi_u32 s66, s67, s59
	s_mul_i32 s68, s67, s59
	s_mul_i32 s71, s69, s0
	s_mul_hi_u32 s59, s69, s59
	s_mul_hi_u32 s70, s69, s0
	s_add_u32 s59, s59, s71
	s_addc_u32 s70, 0, s70
	s_add_u32 s59, s59, s68
	s_mul_hi_u32 s1, s67, s0
	s_addc_u32 s59, s70, s66
	s_addc_u32 s1, s1, 0
	s_mul_i32 s0, s67, s0
	s_add_u32 s0, s59, s0
	s_addc_u32 s59, 0, s1
	s_add_u32 s66, s69, s0
	s_cselect_b64 s[0:1], -1, 0
	v_ashrrev_i32_e32 v3, 31, v17
	s_cmp_lg_u64 s[0:1], 0
	v_add_co_u32_e32 v18, vcc, v16, v3
	s_addc_u32 s59, s67, s59
	v_xor_b32_e32 v22, v18, v3
	v_mad_u64_u32 v[18:19], s[0:1], v22, s59, 0
	v_mul_hi_u32 v21, v22, s66
	v_addc_co_u32_e32 v20, vcc, v17, v3, vcc
	v_xor_b32_e32 v23, v20, v3
	v_add_co_u32_e32 v24, vcc, v21, v18
	v_addc_co_u32_e32 v25, vcc, 0, v19, vcc
	v_mad_u64_u32 v[18:19], s[0:1], v23, s66, 0
	v_mad_u64_u32 v[20:21], s[0:1], v23, s59, 0
	v_add_co_u32_e32 v18, vcc, v24, v18
	v_addc_co_u32_e32 v18, vcc, v25, v19, vcc
	v_addc_co_u32_e32 v19, vcc, 0, v21, vcc
	v_add_co_u32_e32 v20, vcc, v18, v20
	v_addc_co_u32_e32 v21, vcc, 0, v19, vcc
	v_mul_lo_u32 v24, s61, v20
	v_mul_lo_u32 v25, s60, v21
	v_mad_u64_u32 v[18:19], s[0:1], s60, v20, 0
	v_xor_b32_e32 v3, s58, v3
	v_add3_u32 v19, v19, v25, v24
	v_sub_u32_e32 v24, v23, v19
	v_mov_b32_e32 v25, s61
	v_sub_co_u32_e32 v18, vcc, v22, v18
	v_subb_co_u32_e64 v22, s[0:1], v24, v25, vcc
	v_subrev_co_u32_e64 v24, s[0:1], s60, v18
	v_subbrev_co_u32_e64 v22, s[0:1], 0, v22, s[0:1]
	v_cmp_le_u32_e64 s[0:1], s61, v22
	v_cndmask_b32_e64 v25, 0, -1, s[0:1]
	v_cmp_le_u32_e64 s[0:1], s60, v24
	v_cndmask_b32_e64 v24, 0, -1, s[0:1]
	v_cmp_eq_u32_e64 s[0:1], s61, v22
	v_cndmask_b32_e64 v22, v25, v24, s[0:1]
	v_add_co_u32_e64 v24, s[0:1], 2, v20
	v_subb_co_u32_e32 v19, vcc, v23, v19, vcc
	v_addc_co_u32_e64 v25, s[0:1], 0, v21, s[0:1]
	v_cmp_le_u32_e32 vcc, s61, v19
	v_add_co_u32_e64 v26, s[0:1], 1, v20
	v_cndmask_b32_e64 v23, 0, -1, vcc
	v_cmp_le_u32_e32 vcc, s60, v18
	v_addc_co_u32_e64 v27, s[0:1], 0, v21, s[0:1]
	v_cndmask_b32_e64 v18, 0, -1, vcc
	v_cmp_eq_u32_e32 vcc, s61, v19
	v_cmp_ne_u32_e64 s[0:1], 0, v22
	v_cndmask_b32_e32 v18, v23, v18, vcc
	v_cndmask_b32_e64 v22, v27, v25, s[0:1]
	v_cmp_ne_u32_e32 vcc, 0, v18
	v_cndmask_b32_e64 v19, v26, v24, s[0:1]
	v_cndmask_b32_e32 v18, v21, v22, vcc
	v_cndmask_b32_e32 v19, v20, v19, vcc
	v_xor_b32_e32 v20, v18, v3
	v_xor_b32_e32 v18, v19, v3
	v_sub_co_u32_e32 v18, vcc, v18, v3
	v_subb_co_u32_e32 v19, vcc, v20, v3, vcc
.LBB30_36:                              ;   in Loop: Header=BB30_22 Depth=2
	s_andn2_saveexec_b64 s[0:1], s[56:57]
	s_cbranch_execz .LBB30_21
; %bb.37:                               ;   in Loop: Header=BB30_22 Depth=2
	v_cvt_f32_u32_e32 v3, s52
	s_sub_i32 s56, 0, s52
	v_rcp_iflag_f32_e32 v3, v3
	v_mul_f32_e32 v3, 0x4f7ffffe, v3
	v_cvt_u32_f32_e32 v3, v3
	v_mul_lo_u32 v18, s56, v3
	v_mul_hi_u32 v18, v3, v18
	v_add_u32_e32 v3, v3, v18
	v_mul_hi_u32 v3, v16, v3
	v_mul_lo_u32 v18, v3, s52
	v_add_u32_e32 v19, 1, v3
	v_sub_u32_e32 v18, v16, v18
	v_subrev_u32_e32 v20, s52, v18
	v_cmp_le_u32_e32 vcc, s52, v18
	v_cndmask_b32_e32 v18, v18, v20, vcc
	v_cndmask_b32_e32 v3, v3, v19, vcc
	v_add_u32_e32 v19, 1, v3
	v_cmp_le_u32_e32 vcc, s52, v18
	v_cndmask_b32_e32 v18, v3, v19, vcc
	v_mov_b32_e32 v19, v2
	s_branch .LBB30_21
.LBB30_38:                              ;   in Loop: Header=BB30_3 Depth=1
	s_load_dwordx2 s[0:1], s[20:21], 0x0
	s_waitcnt lgkmcnt(0)
	v_cmp_gt_i64_e32 vcc, s[0:1], v[4:5]
	v_cmp_lt_i64_e64 s[0:1], s[8:9], v[6:7]
	s_and_b64 s[0:1], vcc, s[0:1]
	s_and_b64 exec, exec, s[0:1]
	s_cbranch_execz .LBB30_2
; %bb.39:                               ;   in Loop: Header=BB30_3 Depth=1
	v_lshlrev_b64 v[3:4], 4, v[8:9]
	v_mov_b32_e32 v5, s7
	v_add_co_u32_e32 v6, vcc, s6, v3
	v_addc_co_u32_e32 v7, vcc, v5, v4, vcc
	v_mov_b32_e32 v3, v2
	v_mov_b32_e32 v4, v2
	;; [unrolled: 1-line block ×3, first 2 shown]
	global_store_dwordx4 v[6:7], v[2:5], off
	s_branch .LBB30_2
.LBB30_40:
	s_endpgm
	.section	.rodata,"a",@progbits
	.p2align	6, 0x0
	.amdhsa_kernel _ZN2at6native16triu_tril_kernelIN3c107complexIdEElLb0ELi1ELb1EEEvNS_4cuda6detail10TensorInfoIT_T0_EENS7_IKS8_S9_EEllS9_
		.amdhsa_group_segment_fixed_size 0
		.amdhsa_private_segment_fixed_size 0
		.amdhsa_kernarg_size 1112
		.amdhsa_user_sgpr_count 6
		.amdhsa_user_sgpr_private_segment_buffer 1
		.amdhsa_user_sgpr_dispatch_ptr 0
		.amdhsa_user_sgpr_queue_ptr 0
		.amdhsa_user_sgpr_kernarg_segment_ptr 1
		.amdhsa_user_sgpr_dispatch_id 0
		.amdhsa_user_sgpr_flat_scratch_init 0
		.amdhsa_user_sgpr_private_segment_size 0
		.amdhsa_uses_dynamic_stack 0
		.amdhsa_system_sgpr_private_segment_wavefront_offset 0
		.amdhsa_system_sgpr_workgroup_id_x 1
		.amdhsa_system_sgpr_workgroup_id_y 0
		.amdhsa_system_sgpr_workgroup_id_z 0
		.amdhsa_system_sgpr_workgroup_info 0
		.amdhsa_system_vgpr_workitem_id 0
		.amdhsa_next_free_vgpr 28
		.amdhsa_next_free_sgpr 73
		.amdhsa_reserve_vcc 1
		.amdhsa_reserve_flat_scratch 0
		.amdhsa_float_round_mode_32 0
		.amdhsa_float_round_mode_16_64 0
		.amdhsa_float_denorm_mode_32 3
		.amdhsa_float_denorm_mode_16_64 3
		.amdhsa_dx10_clamp 1
		.amdhsa_ieee_mode 1
		.amdhsa_fp16_overflow 0
		.amdhsa_exception_fp_ieee_invalid_op 0
		.amdhsa_exception_fp_denorm_src 0
		.amdhsa_exception_fp_ieee_div_zero 0
		.amdhsa_exception_fp_ieee_overflow 0
		.amdhsa_exception_fp_ieee_underflow 0
		.amdhsa_exception_fp_ieee_inexact 0
		.amdhsa_exception_int_div_zero 0
	.end_amdhsa_kernel
	.section	.text._ZN2at6native16triu_tril_kernelIN3c107complexIdEElLb0ELi1ELb1EEEvNS_4cuda6detail10TensorInfoIT_T0_EENS7_IKS8_S9_EEllS9_,"axG",@progbits,_ZN2at6native16triu_tril_kernelIN3c107complexIdEElLb0ELi1ELb1EEEvNS_4cuda6detail10TensorInfoIT_T0_EENS7_IKS8_S9_EEllS9_,comdat
.Lfunc_end30:
	.size	_ZN2at6native16triu_tril_kernelIN3c107complexIdEElLb0ELi1ELb1EEEvNS_4cuda6detail10TensorInfoIT_T0_EENS7_IKS8_S9_EEllS9_, .Lfunc_end30-_ZN2at6native16triu_tril_kernelIN3c107complexIdEElLb0ELi1ELb1EEEvNS_4cuda6detail10TensorInfoIT_T0_EENS7_IKS8_S9_EEllS9_
                                        ; -- End function
	.set _ZN2at6native16triu_tril_kernelIN3c107complexIdEElLb0ELi1ELb1EEEvNS_4cuda6detail10TensorInfoIT_T0_EENS7_IKS8_S9_EEllS9_.num_vgpr, 28
	.set _ZN2at6native16triu_tril_kernelIN3c107complexIdEElLb0ELi1ELb1EEEvNS_4cuda6detail10TensorInfoIT_T0_EENS7_IKS8_S9_EEllS9_.num_agpr, 0
	.set _ZN2at6native16triu_tril_kernelIN3c107complexIdEElLb0ELi1ELb1EEEvNS_4cuda6detail10TensorInfoIT_T0_EENS7_IKS8_S9_EEllS9_.numbered_sgpr, 73
	.set _ZN2at6native16triu_tril_kernelIN3c107complexIdEElLb0ELi1ELb1EEEvNS_4cuda6detail10TensorInfoIT_T0_EENS7_IKS8_S9_EEllS9_.num_named_barrier, 0
	.set _ZN2at6native16triu_tril_kernelIN3c107complexIdEElLb0ELi1ELb1EEEvNS_4cuda6detail10TensorInfoIT_T0_EENS7_IKS8_S9_EEllS9_.private_seg_size, 0
	.set _ZN2at6native16triu_tril_kernelIN3c107complexIdEElLb0ELi1ELb1EEEvNS_4cuda6detail10TensorInfoIT_T0_EENS7_IKS8_S9_EEllS9_.uses_vcc, 1
	.set _ZN2at6native16triu_tril_kernelIN3c107complexIdEElLb0ELi1ELb1EEEvNS_4cuda6detail10TensorInfoIT_T0_EENS7_IKS8_S9_EEllS9_.uses_flat_scratch, 0
	.set _ZN2at6native16triu_tril_kernelIN3c107complexIdEElLb0ELi1ELb1EEEvNS_4cuda6detail10TensorInfoIT_T0_EENS7_IKS8_S9_EEllS9_.has_dyn_sized_stack, 0
	.set _ZN2at6native16triu_tril_kernelIN3c107complexIdEElLb0ELi1ELb1EEEvNS_4cuda6detail10TensorInfoIT_T0_EENS7_IKS8_S9_EEllS9_.has_recursion, 0
	.set _ZN2at6native16triu_tril_kernelIN3c107complexIdEElLb0ELi1ELb1EEEvNS_4cuda6detail10TensorInfoIT_T0_EENS7_IKS8_S9_EEllS9_.has_indirect_call, 0
	.section	.AMDGPU.csdata,"",@progbits
; Kernel info:
; codeLenInByte = 6388
; TotalNumSgprs: 77
; NumVgprs: 28
; ScratchSize: 0
; MemoryBound: 0
; FloatMode: 240
; IeeeMode: 1
; LDSByteSize: 0 bytes/workgroup (compile time only)
; SGPRBlocks: 9
; VGPRBlocks: 6
; NumSGPRsForWavesPerEU: 77
; NumVGPRsForWavesPerEU: 28
; Occupancy: 9
; WaveLimiterHint : 0
; COMPUTE_PGM_RSRC2:SCRATCH_EN: 0
; COMPUTE_PGM_RSRC2:USER_SGPR: 6
; COMPUTE_PGM_RSRC2:TRAP_HANDLER: 0
; COMPUTE_PGM_RSRC2:TGID_X_EN: 1
; COMPUTE_PGM_RSRC2:TGID_Y_EN: 0
; COMPUTE_PGM_RSRC2:TGID_Z_EN: 0
; COMPUTE_PGM_RSRC2:TIDIG_COMP_CNT: 0
	.section	.text._ZN2at6native16triu_tril_kernelIN3c107complexIdEElLb0ELi1ELb0EEEvNS_4cuda6detail10TensorInfoIT_T0_EENS7_IKS8_S9_EEllS9_,"axG",@progbits,_ZN2at6native16triu_tril_kernelIN3c107complexIdEElLb0ELi1ELb0EEEvNS_4cuda6detail10TensorInfoIT_T0_EENS7_IKS8_S9_EEllS9_,comdat
	.protected	_ZN2at6native16triu_tril_kernelIN3c107complexIdEElLb0ELi1ELb0EEEvNS_4cuda6detail10TensorInfoIT_T0_EENS7_IKS8_S9_EEllS9_ ; -- Begin function _ZN2at6native16triu_tril_kernelIN3c107complexIdEElLb0ELi1ELb0EEEvNS_4cuda6detail10TensorInfoIT_T0_EENS7_IKS8_S9_EEllS9_
	.globl	_ZN2at6native16triu_tril_kernelIN3c107complexIdEElLb0ELi1ELb0EEEvNS_4cuda6detail10TensorInfoIT_T0_EENS7_IKS8_S9_EEllS9_
	.p2align	8
	.type	_ZN2at6native16triu_tril_kernelIN3c107complexIdEElLb0ELi1ELb0EEEvNS_4cuda6detail10TensorInfoIT_T0_EENS7_IKS8_S9_EEllS9_,@function
_ZN2at6native16triu_tril_kernelIN3c107complexIdEElLb0ELi1ELb0EEEvNS_4cuda6detail10TensorInfoIT_T0_EENS7_IKS8_S9_EEllS9_: ; @_ZN2at6native16triu_tril_kernelIN3c107complexIdEElLb0ELi1ELb0EEEvNS_4cuda6detail10TensorInfoIT_T0_EENS7_IKS8_S9_EEllS9_
; %bb.0:
	s_load_dword s2, s[4:5], 0x364
	s_load_dwordx4 s[8:11], s[4:5], 0x340
	s_add_u32 s0, s4, 0x358
	v_mov_b32_e32 v4, 0
	s_addc_u32 s1, s5, 0
	s_waitcnt lgkmcnt(0)
	s_and_b32 s30, s2, 0xffff
	v_mov_b32_e32 v1, v4
	v_mov_b32_e32 v2, s6
	v_mad_u64_u32 v[6:7], s[2:3], s30, v2, v[0:1]
	v_cmp_gt_i64_e32 vcc, s[10:11], v[6:7]
	s_and_saveexec_b64 s[2:3], vcc
	s_cbranch_execz .LBB31_33
; %bb.1:
	s_load_dword s24, s[4:5], 0x338
	s_add_u32 s33, s4, 0x1a0
	s_addc_u32 s62, s5, 0
	s_load_dword s31, s[0:1], 0x0
	s_load_dwordx2 s[2:3], s[4:5], 0x1a0
	s_waitcnt lgkmcnt(0)
	s_ashr_i32 s25, s24, 31
	s_lshl_b64 s[0:1], s[24:25], 3
	s_add_u32 s20, s33, s0
	s_addc_u32 s21, s62, s1
	s_add_u32 s22, s20, -8
	s_addc_u32 s23, s21, -1
	s_add_u32 s0, s4, s0
	v_cmp_gt_i64_e64 s[6:7], s[24:25], 2
	s_addc_u32 s1, s5, s1
	s_add_i32 s24, s24, -3
	s_ashr_i32 s25, s24, 31
	s_bitcmp0_b32 s24, 0
	s_load_dwordx4 s[12:15], s[22:23], 0x0
	s_load_dwordx4 s[16:19], s[20:21], 0xc0
	s_mul_i32 s63, s31, s30
	s_load_dwordx4 s[20:23], s[0:1], 0xc0
	s_cselect_b64 s[30:31], -1, 0
	s_lshl_b64 s[0:1], s[24:25], 3
	s_add_u32 s34, s33, s0
	s_addc_u32 s35, s62, s1
	s_add_u32 s36, s4, s0
	s_addc_u32 s37, s5, s1
	s_load_dwordx2 s[26:27], s[4:5], 0x350
	s_load_dwordx2 s[28:29], s[4:5], 0x0
	s_add_u32 s38, s24, -1
	s_addc_u32 s39, s25, -1
	s_cmp_lg_u32 s24, 0
	s_cselect_b64 s[40:41], -1, 0
	s_add_u32 s64, s4, 0xc8
	s_addc_u32 s65, s5, 0
	s_mov_b64 s[4:5], 0
	s_branch .LBB31_3
.LBB31_2:                               ;   in Loop: Header=BB31_3 Depth=1
	s_or_b64 exec, exec, s[0:1]
	v_add_co_u32_e32 v6, vcc, s63, v6
	v_addc_co_u32_e32 v7, vcc, 0, v7, vcc
	v_cmp_le_i64_e32 vcc, s[10:11], v[6:7]
	s_or_b64 s[4:5], vcc, s[4:5]
	s_andn2_b64 exec, exec, s[4:5]
	s_cbranch_execz .LBB31_33
.LBB31_3:                               ; =>This Loop Header: Depth=1
                                        ;     Child Loop BB31_21 Depth 2
	s_waitcnt lgkmcnt(0)
	v_or_b32_e32 v5, s27, v7
	v_cmp_ne_u64_e32 vcc, 0, v[4:5]
                                        ; implicit-def: $vgpr8_vgpr9
	s_and_saveexec_b64 s[0:1], vcc
	s_xor_b64 s[42:43], exec, s[0:1]
	s_cbranch_execz .LBB31_5
; %bb.4:                                ;   in Loop: Header=BB31_3 Depth=1
	s_ashr_i32 s44, s27, 31
	s_add_u32 s0, s26, s44
	s_mov_b32 s45, s44
	s_addc_u32 s1, s27, s44
	s_xor_b64 s[46:47], s[0:1], s[44:45]
	s_waitcnt vmcnt(0)
	v_cvt_f32_u32_e32 v0, s46
	v_cvt_f32_u32_e32 v1, s47
	s_sub_u32 s45, 0, s46
	s_subb_u32 s48, 0, s47
	v_ashrrev_i32_e32 v5, 31, v7
	v_mac_f32_e32 v0, 0x4f800000, v1
	v_rcp_f32_e32 v0, v0
	v_mul_f32_e32 v0, 0x5f7ffffc, v0
	v_mul_f32_e32 v1, 0x2f800000, v0
	v_trunc_f32_e32 v1, v1
	v_mac_f32_e32 v0, 0xcf800000, v1
	v_cvt_u32_f32_e32 v1, v1
	v_cvt_u32_f32_e32 v0, v0
	v_readfirstlane_b32 s49, v1
	v_readfirstlane_b32 s0, v0
	s_mul_i32 s1, s45, s49
	s_mul_hi_u32 s51, s45, s0
	s_mul_i32 s50, s48, s0
	s_add_i32 s1, s51, s1
	s_add_i32 s1, s1, s50
	s_mul_i32 s52, s45, s0
	s_mul_i32 s51, s0, s1
	s_mul_hi_u32 s53, s0, s52
	s_mul_hi_u32 s50, s0, s1
	s_add_u32 s51, s53, s51
	s_addc_u32 s50, 0, s50
	s_mul_hi_u32 s54, s49, s52
	s_mul_i32 s52, s49, s52
	s_add_u32 s51, s51, s52
	s_mul_hi_u32 s53, s49, s1
	s_addc_u32 s50, s50, s54
	s_addc_u32 s51, s53, 0
	s_mul_i32 s1, s49, s1
	s_add_u32 s1, s50, s1
	s_addc_u32 s50, 0, s51
	s_add_u32 s51, s0, s1
	s_cselect_b64 s[0:1], -1, 0
	s_cmp_lg_u64 s[0:1], 0
	s_addc_u32 s49, s49, s50
	s_mul_i32 s0, s45, s49
	s_mul_hi_u32 s1, s45, s51
	s_add_i32 s0, s1, s0
	s_mul_i32 s48, s48, s51
	s_add_i32 s0, s0, s48
	s_mul_i32 s45, s45, s51
	s_mul_hi_u32 s48, s49, s45
	s_mul_i32 s50, s49, s45
	s_mul_i32 s53, s51, s0
	s_mul_hi_u32 s45, s51, s45
	s_mul_hi_u32 s52, s51, s0
	s_add_u32 s45, s45, s53
	s_addc_u32 s52, 0, s52
	s_add_u32 s45, s45, s50
	s_mul_hi_u32 s1, s49, s0
	s_addc_u32 s45, s52, s48
	s_addc_u32 s1, s1, 0
	s_mul_i32 s0, s49, s0
	s_add_u32 s0, s45, s0
	s_addc_u32 s45, 0, s1
	s_add_u32 s48, s51, s0
	s_cselect_b64 s[0:1], -1, 0
	s_cmp_lg_u64 s[0:1], 0
	v_add_co_u32_e32 v0, vcc, v6, v5
	s_addc_u32 s45, s49, s45
	v_xor_b32_e32 v8, v0, v5
	v_mad_u64_u32 v[0:1], s[0:1], v8, s45, 0
	v_mul_hi_u32 v3, v8, s48
	v_addc_co_u32_e32 v2, vcc, v7, v5, vcc
	v_xor_b32_e32 v9, v2, v5
	v_add_co_u32_e32 v10, vcc, v3, v0
	v_addc_co_u32_e32 v11, vcc, 0, v1, vcc
	v_mad_u64_u32 v[0:1], s[0:1], v9, s48, 0
	v_mad_u64_u32 v[2:3], s[0:1], v9, s45, 0
	v_add_co_u32_e32 v0, vcc, v10, v0
	v_addc_co_u32_e32 v0, vcc, v11, v1, vcc
	v_addc_co_u32_e32 v1, vcc, 0, v3, vcc
	v_add_co_u32_e32 v2, vcc, v0, v2
	v_addc_co_u32_e32 v3, vcc, 0, v1, vcc
	v_mul_lo_u32 v10, s47, v2
	v_mul_lo_u32 v11, s46, v3
	v_mad_u64_u32 v[0:1], s[0:1], s46, v2, 0
	v_add3_u32 v1, v1, v11, v10
	v_sub_u32_e32 v10, v9, v1
	v_mov_b32_e32 v11, s47
	v_sub_co_u32_e32 v0, vcc, v8, v0
	v_subb_co_u32_e64 v8, s[0:1], v10, v11, vcc
	v_subrev_co_u32_e64 v10, s[0:1], s46, v0
	v_subbrev_co_u32_e64 v8, s[0:1], 0, v8, s[0:1]
	v_cmp_le_u32_e64 s[0:1], s47, v8
	v_cndmask_b32_e64 v11, 0, -1, s[0:1]
	v_cmp_le_u32_e64 s[0:1], s46, v10
	v_cndmask_b32_e64 v10, 0, -1, s[0:1]
	v_cmp_eq_u32_e64 s[0:1], s47, v8
	v_cndmask_b32_e64 v8, v11, v10, s[0:1]
	v_add_co_u32_e64 v10, s[0:1], 2, v2
	v_subb_co_u32_e32 v1, vcc, v9, v1, vcc
	v_addc_co_u32_e64 v11, s[0:1], 0, v3, s[0:1]
	v_cmp_le_u32_e32 vcc, s47, v1
	v_add_co_u32_e64 v12, s[0:1], 1, v2
	v_cndmask_b32_e64 v9, 0, -1, vcc
	v_cmp_le_u32_e32 vcc, s46, v0
	v_addc_co_u32_e64 v13, s[0:1], 0, v3, s[0:1]
	v_cndmask_b32_e64 v0, 0, -1, vcc
	v_cmp_eq_u32_e32 vcc, s47, v1
	v_cmp_ne_u32_e64 s[0:1], 0, v8
	v_cndmask_b32_e32 v0, v9, v0, vcc
	v_cmp_ne_u32_e32 vcc, 0, v0
	v_cndmask_b32_e64 v1, v12, v10, s[0:1]
	v_cndmask_b32_e64 v8, v13, v11, s[0:1]
	v_cndmask_b32_e32 v1, v2, v1, vcc
	v_xor_b32_e32 v2, s44, v5
	v_cndmask_b32_e32 v0, v3, v8, vcc
	v_xor_b32_e32 v1, v1, v2
	v_xor_b32_e32 v0, v0, v2
	v_sub_co_u32_e32 v8, vcc, v1, v2
	v_subb_co_u32_e32 v9, vcc, v0, v2, vcc
.LBB31_5:                               ;   in Loop: Header=BB31_3 Depth=1
	s_andn2_saveexec_b64 s[0:1], s[42:43]
	s_cbranch_execz .LBB31_7
; %bb.6:                                ;   in Loop: Header=BB31_3 Depth=1
	s_waitcnt vmcnt(0)
	v_cvt_f32_u32_e32 v0, s26
	s_sub_i32 s42, 0, s26
	v_mov_b32_e32 v9, v4
	v_rcp_iflag_f32_e32 v0, v0
	v_mul_f32_e32 v0, 0x4f7ffffe, v0
	v_cvt_u32_f32_e32 v0, v0
	v_mul_lo_u32 v1, s42, v0
	v_mul_hi_u32 v1, v0, v1
	v_add_u32_e32 v0, v0, v1
	v_mul_hi_u32 v0, v6, v0
	v_mul_lo_u32 v1, v0, s26
	v_add_u32_e32 v2, 1, v0
	v_sub_u32_e32 v1, v6, v1
	v_subrev_u32_e32 v3, s26, v1
	v_cmp_le_u32_e32 vcc, s26, v1
	v_cndmask_b32_e32 v1, v1, v3, vcc
	v_cndmask_b32_e32 v0, v0, v2, vcc
	v_add_u32_e32 v2, 1, v0
	v_cmp_le_u32_e32 vcc, s26, v1
	v_cndmask_b32_e32 v8, v0, v2, vcc
.LBB31_7:                               ;   in Loop: Header=BB31_3 Depth=1
	s_or_b64 exec, exec, s[0:1]
	v_or_b32_e32 v5, s13, v9
	v_cmp_ne_u64_e32 vcc, 0, v[4:5]
                                        ; implicit-def: $vgpr2_vgpr3
	s_and_saveexec_b64 s[0:1], vcc
	s_xor_b64 s[42:43], exec, s[0:1]
	s_cbranch_execz .LBB31_9
; %bb.8:                                ;   in Loop: Header=BB31_3 Depth=1
	s_ashr_i32 s44, s13, 31
	s_add_u32 s0, s12, s44
	s_mov_b32 s45, s44
	s_addc_u32 s1, s13, s44
	s_xor_b64 s[46:47], s[0:1], s[44:45]
	s_waitcnt vmcnt(0)
	v_cvt_f32_u32_e32 v0, s46
	v_cvt_f32_u32_e32 v1, s47
	s_sub_u32 s45, 0, s46
	s_subb_u32 s48, 0, s47
	v_ashrrev_i32_e32 v5, 31, v9
	v_mac_f32_e32 v0, 0x4f800000, v1
	v_rcp_f32_e32 v0, v0
	v_mul_f32_e32 v0, 0x5f7ffffc, v0
	v_mul_f32_e32 v1, 0x2f800000, v0
	v_trunc_f32_e32 v1, v1
	v_mac_f32_e32 v0, 0xcf800000, v1
	v_cvt_u32_f32_e32 v1, v1
	v_cvt_u32_f32_e32 v0, v0
	v_readfirstlane_b32 s49, v1
	v_readfirstlane_b32 s0, v0
	s_mul_i32 s1, s45, s49
	s_mul_hi_u32 s51, s45, s0
	s_mul_i32 s50, s48, s0
	s_add_i32 s1, s51, s1
	s_add_i32 s1, s1, s50
	s_mul_i32 s52, s45, s0
	s_mul_i32 s51, s0, s1
	s_mul_hi_u32 s53, s0, s52
	s_mul_hi_u32 s50, s0, s1
	s_add_u32 s51, s53, s51
	s_addc_u32 s50, 0, s50
	s_mul_hi_u32 s54, s49, s52
	s_mul_i32 s52, s49, s52
	s_add_u32 s51, s51, s52
	s_mul_hi_u32 s53, s49, s1
	s_addc_u32 s50, s50, s54
	s_addc_u32 s51, s53, 0
	s_mul_i32 s1, s49, s1
	s_add_u32 s1, s50, s1
	s_addc_u32 s50, 0, s51
	s_add_u32 s51, s0, s1
	s_cselect_b64 s[0:1], -1, 0
	s_cmp_lg_u64 s[0:1], 0
	s_addc_u32 s49, s49, s50
	s_mul_i32 s0, s45, s49
	s_mul_hi_u32 s1, s45, s51
	s_add_i32 s0, s1, s0
	s_mul_i32 s48, s48, s51
	s_add_i32 s0, s0, s48
	s_mul_i32 s45, s45, s51
	s_mul_hi_u32 s48, s49, s45
	s_mul_i32 s50, s49, s45
	s_mul_i32 s53, s51, s0
	s_mul_hi_u32 s45, s51, s45
	s_mul_hi_u32 s52, s51, s0
	s_add_u32 s45, s45, s53
	s_addc_u32 s52, 0, s52
	s_add_u32 s45, s45, s50
	s_mul_hi_u32 s1, s49, s0
	s_addc_u32 s45, s52, s48
	s_addc_u32 s1, s1, 0
	s_mul_i32 s0, s49, s0
	s_add_u32 s0, s45, s0
	s_addc_u32 s45, 0, s1
	s_add_u32 s48, s51, s0
	s_cselect_b64 s[0:1], -1, 0
	s_cmp_lg_u64 s[0:1], 0
	v_add_co_u32_e32 v0, vcc, v8, v5
	s_addc_u32 s45, s49, s45
	v_xor_b32_e32 v10, v0, v5
	v_mad_u64_u32 v[0:1], s[0:1], v10, s45, 0
	v_mul_hi_u32 v3, v10, s48
	v_addc_co_u32_e32 v2, vcc, v9, v5, vcc
	v_xor_b32_e32 v11, v2, v5
	v_add_co_u32_e32 v12, vcc, v3, v0
	v_addc_co_u32_e32 v13, vcc, 0, v1, vcc
	v_mad_u64_u32 v[0:1], s[0:1], v11, s48, 0
	v_mad_u64_u32 v[2:3], s[0:1], v11, s45, 0
	v_add_co_u32_e32 v0, vcc, v12, v0
	v_addc_co_u32_e32 v0, vcc, v13, v1, vcc
	v_addc_co_u32_e32 v1, vcc, 0, v3, vcc
	v_add_co_u32_e32 v2, vcc, v0, v2
	v_addc_co_u32_e32 v3, vcc, 0, v1, vcc
	v_mul_lo_u32 v12, s47, v2
	v_mul_lo_u32 v13, s46, v3
	v_mad_u64_u32 v[0:1], s[0:1], s46, v2, 0
	v_add3_u32 v1, v1, v13, v12
	v_sub_u32_e32 v12, v11, v1
	v_mov_b32_e32 v13, s47
	v_sub_co_u32_e32 v0, vcc, v10, v0
	v_subb_co_u32_e64 v10, s[0:1], v12, v13, vcc
	v_subrev_co_u32_e64 v12, s[0:1], s46, v0
	v_subbrev_co_u32_e64 v10, s[0:1], 0, v10, s[0:1]
	v_cmp_le_u32_e64 s[0:1], s47, v10
	v_cndmask_b32_e64 v13, 0, -1, s[0:1]
	v_cmp_le_u32_e64 s[0:1], s46, v12
	v_cndmask_b32_e64 v12, 0, -1, s[0:1]
	v_cmp_eq_u32_e64 s[0:1], s47, v10
	v_cndmask_b32_e64 v10, v13, v12, s[0:1]
	v_add_co_u32_e64 v12, s[0:1], 2, v2
	v_subb_co_u32_e32 v1, vcc, v11, v1, vcc
	v_addc_co_u32_e64 v13, s[0:1], 0, v3, s[0:1]
	v_cmp_le_u32_e32 vcc, s47, v1
	v_add_co_u32_e64 v14, s[0:1], 1, v2
	v_cndmask_b32_e64 v11, 0, -1, vcc
	v_cmp_le_u32_e32 vcc, s46, v0
	v_addc_co_u32_e64 v15, s[0:1], 0, v3, s[0:1]
	v_cndmask_b32_e64 v0, 0, -1, vcc
	v_cmp_eq_u32_e32 vcc, s47, v1
	v_cmp_ne_u32_e64 s[0:1], 0, v10
	v_cndmask_b32_e32 v0, v11, v0, vcc
	v_cndmask_b32_e64 v10, v15, v13, s[0:1]
	v_cmp_ne_u32_e32 vcc, 0, v0
	v_cndmask_b32_e64 v1, v14, v12, s[0:1]
	v_cndmask_b32_e32 v0, v3, v10, vcc
	v_cndmask_b32_e32 v1, v2, v1, vcc
	v_xor_b32_e32 v3, s44, v5
	v_xor_b32_e32 v1, v1, v3
	;; [unrolled: 1-line block ×3, first 2 shown]
	v_sub_co_u32_e32 v2, vcc, v1, v3
	v_subb_co_u32_e32 v3, vcc, v0, v3, vcc
.LBB31_9:                               ;   in Loop: Header=BB31_3 Depth=1
	s_andn2_saveexec_b64 s[0:1], s[42:43]
	s_cbranch_execz .LBB31_11
; %bb.10:                               ;   in Loop: Header=BB31_3 Depth=1
	s_waitcnt vmcnt(0)
	v_cvt_f32_u32_e32 v0, s12
	s_sub_i32 s42, 0, s12
	v_rcp_iflag_f32_e32 v0, v0
	v_mul_f32_e32 v0, 0x4f7ffffe, v0
	v_cvt_u32_f32_e32 v0, v0
	v_mul_lo_u32 v1, s42, v0
	v_mul_hi_u32 v1, v0, v1
	v_add_u32_e32 v0, v0, v1
	v_mul_hi_u32 v0, v8, v0
	v_mul_lo_u32 v1, v0, s12
	v_add_u32_e32 v2, 1, v0
	v_sub_u32_e32 v1, v8, v1
	v_subrev_u32_e32 v3, s12, v1
	v_cmp_le_u32_e32 vcc, s12, v1
	v_cndmask_b32_e32 v1, v1, v3, vcc
	v_cndmask_b32_e32 v0, v0, v2, vcc
	v_add_u32_e32 v2, 1, v0
	v_cmp_le_u32_e32 vcc, s12, v1
	v_cndmask_b32_e32 v2, v0, v2, vcc
	v_mov_b32_e32 v3, v4
.LBB31_11:                              ;   in Loop: Header=BB31_3 Depth=1
	s_or_b64 exec, exec, s[0:1]
	v_mul_lo_u32 v5, v9, s26
	v_mul_lo_u32 v10, v8, s27
	s_waitcnt vmcnt(0)
	v_mad_u64_u32 v[0:1], s[0:1], v8, s26, 0
	v_mul_lo_u32 v12, v2, s13
	v_add3_u32 v1, v1, v10, v5
	v_mul_lo_u32 v5, v3, s12
	v_mad_u64_u32 v[10:11], s[0:1], v2, s12, 0
	v_sub_co_u32_e32 v0, vcc, v6, v0
	v_subb_co_u32_e32 v1, vcc, v7, v1, vcc
	v_add3_u32 v5, v11, v12, v5
	v_mul_lo_u32 v13, s19, v0
	v_mul_lo_u32 v14, s18, v1
	v_mad_u64_u32 v[11:12], s[0:1], s18, v0, 0
	v_sub_co_u32_e32 v16, vcc, v8, v10
	v_subb_co_u32_e32 v17, vcc, v9, v5, vcc
	v_add3_u32 v12, v12, v14, v13
	v_mul_lo_u32 v5, s23, v0
	v_mul_lo_u32 v13, s22, v1
	v_mad_u64_u32 v[8:9], s[0:1], s22, v0, 0
	v_mad_u64_u32 v[10:11], s[0:1], s16, v16, v[11:12]
	v_mul_lo_u32 v12, s16, v17
	v_mul_lo_u32 v14, s17, v16
	v_add3_u32 v9, v9, v13, v5
	v_mad_u64_u32 v[8:9], s[0:1], s20, v16, v[8:9]
	v_add3_u32 v11, v14, v11, v12
	v_mul_lo_u32 v5, s20, v17
	v_mul_lo_u32 v12, s21, v16
	s_andn2_b64 vcc, exec, s[6:7]
	v_add3_u32 v9, v12, v9, v5
	s_cbranch_vccnz .LBB31_29
; %bb.12:                               ;   in Loop: Header=BB31_3 Depth=1
	s_andn2_b64 vcc, exec, s[30:31]
	s_cbranch_vccnz .LBB31_18
; %bb.13:                               ;   in Loop: Header=BB31_3 Depth=1
	s_load_dwordx2 s[42:43], s[34:35], 0x8
                                        ; implicit-def: $vgpr12_vgpr13
	s_waitcnt lgkmcnt(0)
	v_or_b32_e32 v5, s43, v3
	v_cmp_ne_u64_e32 vcc, 0, v[4:5]
	s_and_saveexec_b64 s[0:1], vcc
	s_xor_b64 s[44:45], exec, s[0:1]
	s_cbranch_execz .LBB31_15
; %bb.14:                               ;   in Loop: Header=BB31_3 Depth=1
	s_ashr_i32 s46, s43, 31
	s_add_u32 s0, s42, s46
	s_mov_b32 s47, s46
	s_addc_u32 s1, s43, s46
	s_xor_b64 s[48:49], s[0:1], s[46:47]
	v_cvt_f32_u32_e32 v5, s48
	v_cvt_f32_u32_e32 v12, s49
	s_sub_u32 s47, 0, s48
	s_subb_u32 s50, 0, s49
	v_mac_f32_e32 v5, 0x4f800000, v12
	v_rcp_f32_e32 v5, v5
	v_mul_f32_e32 v5, 0x5f7ffffc, v5
	v_mul_f32_e32 v12, 0x2f800000, v5
	v_trunc_f32_e32 v12, v12
	v_mac_f32_e32 v5, 0xcf800000, v12
	v_cvt_u32_f32_e32 v12, v12
	v_cvt_u32_f32_e32 v5, v5
	v_readfirstlane_b32 s51, v12
	v_readfirstlane_b32 s0, v5
	s_mul_i32 s1, s47, s51
	s_mul_hi_u32 s53, s47, s0
	s_mul_i32 s52, s50, s0
	s_add_i32 s1, s53, s1
	s_add_i32 s1, s1, s52
	s_mul_i32 s54, s47, s0
	s_mul_i32 s53, s0, s1
	s_mul_hi_u32 s55, s0, s54
	s_mul_hi_u32 s52, s0, s1
	s_add_u32 s53, s55, s53
	s_addc_u32 s52, 0, s52
	s_mul_hi_u32 s56, s51, s54
	s_mul_i32 s54, s51, s54
	s_add_u32 s53, s53, s54
	s_mul_hi_u32 s55, s51, s1
	s_addc_u32 s52, s52, s56
	s_addc_u32 s53, s55, 0
	s_mul_i32 s1, s51, s1
	s_add_u32 s1, s52, s1
	s_addc_u32 s52, 0, s53
	s_add_u32 s53, s0, s1
	s_cselect_b64 s[0:1], -1, 0
	s_cmp_lg_u64 s[0:1], 0
	s_addc_u32 s51, s51, s52
	s_mul_i32 s0, s47, s51
	s_mul_hi_u32 s1, s47, s53
	s_add_i32 s0, s1, s0
	s_mul_i32 s50, s50, s53
	s_add_i32 s0, s0, s50
	s_mul_i32 s47, s47, s53
	s_mul_hi_u32 s50, s51, s47
	s_mul_i32 s52, s51, s47
	s_mul_i32 s55, s53, s0
	s_mul_hi_u32 s47, s53, s47
	s_mul_hi_u32 s54, s53, s0
	s_add_u32 s47, s47, s55
	s_addc_u32 s54, 0, s54
	s_add_u32 s47, s47, s52
	s_mul_hi_u32 s1, s51, s0
	s_addc_u32 s47, s54, s50
	s_addc_u32 s1, s1, 0
	s_mul_i32 s0, s51, s0
	s_add_u32 s0, s47, s0
	s_addc_u32 s47, 0, s1
	s_add_u32 s50, s53, s0
	s_cselect_b64 s[0:1], -1, 0
	v_ashrrev_i32_e32 v5, 31, v3
	s_cmp_lg_u64 s[0:1], 0
	v_add_co_u32_e32 v12, vcc, v2, v5
	s_addc_u32 s47, s51, s47
	v_xor_b32_e32 v18, v12, v5
	v_mad_u64_u32 v[12:13], s[0:1], v18, s47, 0
	v_mul_hi_u32 v15, v18, s50
	v_addc_co_u32_e32 v14, vcc, v3, v5, vcc
	v_xor_b32_e32 v19, v14, v5
	v_add_co_u32_e32 v20, vcc, v15, v12
	v_addc_co_u32_e32 v21, vcc, 0, v13, vcc
	v_mad_u64_u32 v[12:13], s[0:1], v19, s50, 0
	v_mad_u64_u32 v[14:15], s[0:1], v19, s47, 0
	v_add_co_u32_e32 v12, vcc, v20, v12
	v_addc_co_u32_e32 v12, vcc, v21, v13, vcc
	v_addc_co_u32_e32 v13, vcc, 0, v15, vcc
	v_add_co_u32_e32 v14, vcc, v12, v14
	v_addc_co_u32_e32 v15, vcc, 0, v13, vcc
	v_mul_lo_u32 v20, s49, v14
	v_mul_lo_u32 v21, s48, v15
	v_mad_u64_u32 v[12:13], s[0:1], s48, v14, 0
	v_xor_b32_e32 v5, s46, v5
	v_add3_u32 v13, v13, v21, v20
	v_sub_u32_e32 v20, v19, v13
	v_mov_b32_e32 v21, s49
	v_sub_co_u32_e32 v12, vcc, v18, v12
	v_subb_co_u32_e64 v18, s[0:1], v20, v21, vcc
	v_subrev_co_u32_e64 v20, s[0:1], s48, v12
	v_subbrev_co_u32_e64 v18, s[0:1], 0, v18, s[0:1]
	v_cmp_le_u32_e64 s[0:1], s49, v18
	v_cndmask_b32_e64 v21, 0, -1, s[0:1]
	v_cmp_le_u32_e64 s[0:1], s48, v20
	v_cndmask_b32_e64 v20, 0, -1, s[0:1]
	v_cmp_eq_u32_e64 s[0:1], s49, v18
	v_cndmask_b32_e64 v18, v21, v20, s[0:1]
	v_add_co_u32_e64 v20, s[0:1], 2, v14
	v_subb_co_u32_e32 v13, vcc, v19, v13, vcc
	v_addc_co_u32_e64 v21, s[0:1], 0, v15, s[0:1]
	v_cmp_le_u32_e32 vcc, s49, v13
	v_add_co_u32_e64 v22, s[0:1], 1, v14
	v_cndmask_b32_e64 v19, 0, -1, vcc
	v_cmp_le_u32_e32 vcc, s48, v12
	v_addc_co_u32_e64 v23, s[0:1], 0, v15, s[0:1]
	v_cndmask_b32_e64 v12, 0, -1, vcc
	v_cmp_eq_u32_e32 vcc, s49, v13
	v_cmp_ne_u32_e64 s[0:1], 0, v18
	v_cndmask_b32_e32 v12, v19, v12, vcc
	v_cndmask_b32_e64 v18, v23, v21, s[0:1]
	v_cmp_ne_u32_e32 vcc, 0, v12
	v_cndmask_b32_e64 v13, v22, v20, s[0:1]
	v_cndmask_b32_e32 v12, v15, v18, vcc
	v_cndmask_b32_e32 v13, v14, v13, vcc
	v_xor_b32_e32 v14, v12, v5
	v_xor_b32_e32 v12, v13, v5
	v_sub_co_u32_e32 v12, vcc, v12, v5
	v_subb_co_u32_e32 v13, vcc, v14, v5, vcc
.LBB31_15:                              ;   in Loop: Header=BB31_3 Depth=1
	s_andn2_saveexec_b64 s[0:1], s[44:45]
	s_cbranch_execz .LBB31_17
; %bb.16:                               ;   in Loop: Header=BB31_3 Depth=1
	v_cvt_f32_u32_e32 v5, s42
	s_sub_i32 s44, 0, s42
	v_rcp_iflag_f32_e32 v5, v5
	v_mul_f32_e32 v5, 0x4f7ffffe, v5
	v_cvt_u32_f32_e32 v5, v5
	v_mul_lo_u32 v12, s44, v5
	v_mul_hi_u32 v12, v5, v12
	v_add_u32_e32 v5, v5, v12
	v_mul_hi_u32 v5, v2, v5
	v_mul_lo_u32 v12, v5, s42
	v_add_u32_e32 v13, 1, v5
	v_sub_u32_e32 v12, v2, v12
	v_subrev_u32_e32 v14, s42, v12
	v_cmp_le_u32_e32 vcc, s42, v12
	v_cndmask_b32_e32 v12, v12, v14, vcc
	v_cndmask_b32_e32 v5, v5, v13, vcc
	v_add_u32_e32 v13, 1, v5
	v_cmp_le_u32_e32 vcc, s42, v12
	v_cndmask_b32_e32 v12, v5, v13, vcc
	v_mov_b32_e32 v13, v4
.LBB31_17:                              ;   in Loop: Header=BB31_3 Depth=1
	s_or_b64 exec, exec, s[0:1]
	v_mul_lo_u32 v5, v13, s42
	v_mul_lo_u32 v18, v12, s43
	v_mad_u64_u32 v[14:15], s[0:1], v12, s42, 0
	s_load_dwordx2 s[0:1], s[34:35], 0xd0
	s_load_dwordx2 s[42:43], s[36:37], 0xd0
	v_add3_u32 v5, v15, v18, v5
	v_sub_co_u32_e32 v2, vcc, v2, v14
	v_subb_co_u32_e32 v3, vcc, v3, v5, vcc
	s_waitcnt lgkmcnt(0)
	v_mul_lo_u32 v5, s0, v3
	v_mul_lo_u32 v14, s1, v2
	v_mad_u64_u32 v[10:11], s[0:1], s0, v2, v[10:11]
	v_mul_lo_u32 v3, s42, v3
	v_mul_lo_u32 v15, s43, v2
	v_mad_u64_u32 v[8:9], s[0:1], s42, v2, v[8:9]
	v_add3_u32 v11, v14, v11, v5
	s_mov_b64 s[0:1], s[38:39]
	v_add3_u32 v9, v15, v9, v3
	v_mov_b32_e32 v2, v12
	v_mov_b32_e32 v3, v13
	s_andn2_b64 vcc, exec, s[40:41]
	s_cbranch_vccz .LBB31_19
	s_branch .LBB31_29
.LBB31_18:                              ;   in Loop: Header=BB31_3 Depth=1
	s_mov_b64 s[0:1], s[24:25]
	s_andn2_b64 vcc, exec, s[40:41]
	s_cbranch_vccnz .LBB31_29
.LBB31_19:                              ;   in Loop: Header=BB31_3 Depth=1
	s_lshl_b64 s[44:45], s[0:1], 3
	s_add_u32 s42, s64, s44
	s_addc_u32 s43, s65, s45
	s_add_u32 s44, s33, s44
	s_addc_u32 s45, s62, s45
	;; [unrolled: 2-line block ×3, first 2 shown]
	s_branch .LBB31_21
.LBB31_20:                              ;   in Loop: Header=BB31_21 Depth=2
	s_or_b64 exec, exec, s[0:1]
	v_mul_lo_u32 v5, v13, s48
	v_mul_lo_u32 v20, v12, s49
	v_mad_u64_u32 v[18:19], s[0:1], v12, s48, 0
	v_mul_lo_u32 v22, v14, s51
	s_load_dwordx2 s[48:49], s[42:43], 0x0
	v_add3_u32 v5, v19, v20, v5
	v_sub_co_u32_e32 v18, vcc, v2, v18
	v_subb_co_u32_e32 v5, vcc, v3, v5, vcc
	v_mul_lo_u32 v19, s54, v5
	v_mul_lo_u32 v20, s55, v18
	v_mad_u64_u32 v[2:3], s[0:1], s54, v18, v[10:11]
	v_mul_lo_u32 v5, s52, v5
	v_mul_lo_u32 v21, s53, v18
	v_mad_u64_u32 v[8:9], s[0:1], s52, v18, v[8:9]
	v_mul_lo_u32 v18, v15, s50
	v_mad_u64_u32 v[10:11], s[0:1], v14, s50, 0
	s_load_dwordx2 s[0:1], s[44:45], 0xc8
	v_add3_u32 v9, v21, v9, v5
	v_add3_u32 v5, v11, v22, v18
	v_sub_co_u32_e32 v12, vcc, v12, v10
	v_add3_u32 v3, v20, v3, v19
	v_subb_co_u32_e32 v5, vcc, v13, v5, vcc
	s_add_u32 s42, s42, -16
	s_waitcnt lgkmcnt(0)
	v_mad_u64_u32 v[10:11], s[50:51], s0, v12, v[2:3]
	v_mul_lo_u32 v2, s0, v5
	v_mul_lo_u32 v3, s1, v12
	s_addc_u32 s43, s43, -1
	v_mad_u64_u32 v[8:9], s[0:1], s48, v12, v[8:9]
	v_mul_lo_u32 v5, s48, v5
	v_mul_lo_u32 v12, s49, v12
	s_add_u32 s44, s44, -16
	s_addc_u32 s45, s45, -1
	s_add_u32 s46, s46, -2
	v_add3_u32 v11, v3, v11, v2
	s_addc_u32 s47, s47, -1
	v_mov_b32_e32 v2, v14
	v_add3_u32 v9, v12, v9, v5
	s_cmp_eq_u64 s[46:47], 0
	v_mov_b32_e32 v3, v15
	s_cbranch_scc1 .LBB31_29
.LBB31_21:                              ;   Parent Loop BB31_3 Depth=1
                                        ; =>  This Inner Loop Header: Depth=2
	s_load_dwordx2 s[48:49], s[44:45], 0x8
                                        ; implicit-def: $vgpr12_vgpr13
	s_waitcnt lgkmcnt(0)
	v_or_b32_e32 v5, s49, v3
	v_cmp_ne_u64_e32 vcc, 0, v[4:5]
	s_and_saveexec_b64 s[0:1], vcc
	s_xor_b64 s[50:51], exec, s[0:1]
	s_cbranch_execz .LBB31_23
; %bb.22:                               ;   in Loop: Header=BB31_21 Depth=2
	s_ashr_i32 s52, s49, 31
	s_add_u32 s0, s48, s52
	s_mov_b32 s53, s52
	s_addc_u32 s1, s49, s52
	s_xor_b64 s[54:55], s[0:1], s[52:53]
	v_cvt_f32_u32_e32 v5, s54
	v_cvt_f32_u32_e32 v12, s55
	s_sub_u32 s53, 0, s54
	s_subb_u32 s56, 0, s55
	v_mac_f32_e32 v5, 0x4f800000, v12
	v_rcp_f32_e32 v5, v5
	v_mul_f32_e32 v5, 0x5f7ffffc, v5
	v_mul_f32_e32 v12, 0x2f800000, v5
	v_trunc_f32_e32 v12, v12
	v_mac_f32_e32 v5, 0xcf800000, v12
	v_cvt_u32_f32_e32 v12, v12
	v_cvt_u32_f32_e32 v5, v5
	v_readfirstlane_b32 s57, v12
	v_readfirstlane_b32 s0, v5
	s_mul_i32 s1, s53, s57
	s_mul_hi_u32 s59, s53, s0
	s_mul_i32 s58, s56, s0
	s_add_i32 s1, s59, s1
	s_add_i32 s1, s1, s58
	s_mul_i32 s60, s53, s0
	s_mul_i32 s59, s0, s1
	s_mul_hi_u32 s61, s0, s60
	s_mul_hi_u32 s58, s0, s1
	s_add_u32 s59, s61, s59
	s_addc_u32 s58, 0, s58
	s_mul_hi_u32 s66, s57, s60
	s_mul_i32 s60, s57, s60
	s_add_u32 s59, s59, s60
	s_mul_hi_u32 s61, s57, s1
	s_addc_u32 s58, s58, s66
	s_addc_u32 s59, s61, 0
	s_mul_i32 s1, s57, s1
	s_add_u32 s1, s58, s1
	s_addc_u32 s58, 0, s59
	s_add_u32 s59, s0, s1
	s_cselect_b64 s[0:1], -1, 0
	s_cmp_lg_u64 s[0:1], 0
	s_addc_u32 s57, s57, s58
	s_mul_i32 s0, s53, s57
	s_mul_hi_u32 s1, s53, s59
	s_add_i32 s0, s1, s0
	s_mul_i32 s56, s56, s59
	s_add_i32 s0, s0, s56
	s_mul_i32 s53, s53, s59
	s_mul_hi_u32 s56, s57, s53
	s_mul_i32 s58, s57, s53
	s_mul_i32 s61, s59, s0
	s_mul_hi_u32 s53, s59, s53
	s_mul_hi_u32 s60, s59, s0
	s_add_u32 s53, s53, s61
	s_addc_u32 s60, 0, s60
	s_add_u32 s53, s53, s58
	s_mul_hi_u32 s1, s57, s0
	s_addc_u32 s53, s60, s56
	s_addc_u32 s1, s1, 0
	s_mul_i32 s0, s57, s0
	s_add_u32 s0, s53, s0
	s_addc_u32 s53, 0, s1
	s_add_u32 s56, s59, s0
	s_cselect_b64 s[0:1], -1, 0
	v_ashrrev_i32_e32 v5, 31, v3
	s_cmp_lg_u64 s[0:1], 0
	v_add_co_u32_e32 v12, vcc, v2, v5
	s_addc_u32 s53, s57, s53
	v_xor_b32_e32 v18, v12, v5
	v_mad_u64_u32 v[12:13], s[0:1], v18, s53, 0
	v_mul_hi_u32 v15, v18, s56
	v_addc_co_u32_e32 v14, vcc, v3, v5, vcc
	v_xor_b32_e32 v19, v14, v5
	v_add_co_u32_e32 v20, vcc, v15, v12
	v_addc_co_u32_e32 v21, vcc, 0, v13, vcc
	v_mad_u64_u32 v[12:13], s[0:1], v19, s56, 0
	v_mad_u64_u32 v[14:15], s[0:1], v19, s53, 0
	v_add_co_u32_e32 v12, vcc, v20, v12
	v_addc_co_u32_e32 v12, vcc, v21, v13, vcc
	v_addc_co_u32_e32 v13, vcc, 0, v15, vcc
	v_add_co_u32_e32 v14, vcc, v12, v14
	v_addc_co_u32_e32 v15, vcc, 0, v13, vcc
	v_mul_lo_u32 v20, s55, v14
	v_mul_lo_u32 v21, s54, v15
	v_mad_u64_u32 v[12:13], s[0:1], s54, v14, 0
	v_xor_b32_e32 v5, s52, v5
	v_add3_u32 v13, v13, v21, v20
	v_sub_u32_e32 v20, v19, v13
	v_mov_b32_e32 v21, s55
	v_sub_co_u32_e32 v12, vcc, v18, v12
	v_subb_co_u32_e64 v18, s[0:1], v20, v21, vcc
	v_subrev_co_u32_e64 v20, s[0:1], s54, v12
	v_subbrev_co_u32_e64 v18, s[0:1], 0, v18, s[0:1]
	v_cmp_le_u32_e64 s[0:1], s55, v18
	v_cndmask_b32_e64 v21, 0, -1, s[0:1]
	v_cmp_le_u32_e64 s[0:1], s54, v20
	v_cndmask_b32_e64 v20, 0, -1, s[0:1]
	v_cmp_eq_u32_e64 s[0:1], s55, v18
	v_cndmask_b32_e64 v18, v21, v20, s[0:1]
	v_add_co_u32_e64 v20, s[0:1], 2, v14
	v_subb_co_u32_e32 v13, vcc, v19, v13, vcc
	v_addc_co_u32_e64 v21, s[0:1], 0, v15, s[0:1]
	v_cmp_le_u32_e32 vcc, s55, v13
	v_add_co_u32_e64 v22, s[0:1], 1, v14
	v_cndmask_b32_e64 v19, 0, -1, vcc
	v_cmp_le_u32_e32 vcc, s54, v12
	v_addc_co_u32_e64 v23, s[0:1], 0, v15, s[0:1]
	v_cndmask_b32_e64 v12, 0, -1, vcc
	v_cmp_eq_u32_e32 vcc, s55, v13
	v_cmp_ne_u32_e64 s[0:1], 0, v18
	v_cndmask_b32_e32 v12, v19, v12, vcc
	v_cndmask_b32_e64 v18, v23, v21, s[0:1]
	v_cmp_ne_u32_e32 vcc, 0, v12
	v_cndmask_b32_e64 v13, v22, v20, s[0:1]
	v_cndmask_b32_e32 v12, v15, v18, vcc
	v_cndmask_b32_e32 v13, v14, v13, vcc
	v_xor_b32_e32 v14, v12, v5
	v_xor_b32_e32 v12, v13, v5
	v_sub_co_u32_e32 v12, vcc, v12, v5
	v_subb_co_u32_e32 v13, vcc, v14, v5, vcc
.LBB31_23:                              ;   in Loop: Header=BB31_21 Depth=2
	s_andn2_saveexec_b64 s[0:1], s[50:51]
	s_cbranch_execz .LBB31_25
; %bb.24:                               ;   in Loop: Header=BB31_21 Depth=2
	v_cvt_f32_u32_e32 v5, s48
	s_sub_i32 s50, 0, s48
	v_rcp_iflag_f32_e32 v5, v5
	v_mul_f32_e32 v5, 0x4f7ffffe, v5
	v_cvt_u32_f32_e32 v5, v5
	v_mul_lo_u32 v12, s50, v5
	v_mul_hi_u32 v12, v5, v12
	v_add_u32_e32 v5, v5, v12
	v_mul_hi_u32 v5, v2, v5
	v_mul_lo_u32 v12, v5, s48
	v_add_u32_e32 v13, 1, v5
	v_sub_u32_e32 v12, v2, v12
	v_subrev_u32_e32 v14, s48, v12
	v_cmp_le_u32_e32 vcc, s48, v12
	v_cndmask_b32_e32 v12, v12, v14, vcc
	v_cndmask_b32_e32 v5, v5, v13, vcc
	v_add_u32_e32 v13, 1, v5
	v_cmp_le_u32_e32 vcc, s48, v12
	v_cndmask_b32_e32 v12, v5, v13, vcc
	v_mov_b32_e32 v13, v4
.LBB31_25:                              ;   in Loop: Header=BB31_21 Depth=2
	s_or_b64 exec, exec, s[0:1]
	s_load_dwordx2 s[50:51], s[44:45], 0x0
	s_load_dwordx2 s[54:55], s[44:45], 0xd0
	;; [unrolled: 1-line block ×3, first 2 shown]
                                        ; implicit-def: $vgpr14_vgpr15
	s_waitcnt lgkmcnt(0)
	v_or_b32_e32 v5, s51, v13
	v_cmp_ne_u64_e32 vcc, 0, v[4:5]
	s_and_saveexec_b64 s[0:1], vcc
	s_xor_b64 s[56:57], exec, s[0:1]
	s_cbranch_execz .LBB31_27
; %bb.26:                               ;   in Loop: Header=BB31_21 Depth=2
	s_ashr_i32 s58, s51, 31
	s_add_u32 s0, s50, s58
	s_mov_b32 s59, s58
	s_addc_u32 s1, s51, s58
	s_xor_b64 s[60:61], s[0:1], s[58:59]
	v_cvt_f32_u32_e32 v5, s60
	v_cvt_f32_u32_e32 v14, s61
	s_sub_u32 s59, 0, s60
	s_subb_u32 s66, 0, s61
	v_mac_f32_e32 v5, 0x4f800000, v14
	v_rcp_f32_e32 v5, v5
	v_mul_f32_e32 v5, 0x5f7ffffc, v5
	v_mul_f32_e32 v14, 0x2f800000, v5
	v_trunc_f32_e32 v14, v14
	v_mac_f32_e32 v5, 0xcf800000, v14
	v_cvt_u32_f32_e32 v14, v14
	v_cvt_u32_f32_e32 v5, v5
	v_readfirstlane_b32 s67, v14
	v_readfirstlane_b32 s0, v5
	s_mul_i32 s1, s59, s67
	s_mul_hi_u32 s69, s59, s0
	s_mul_i32 s68, s66, s0
	s_add_i32 s1, s69, s1
	s_add_i32 s1, s1, s68
	s_mul_i32 s70, s59, s0
	s_mul_i32 s69, s0, s1
	s_mul_hi_u32 s71, s0, s70
	s_mul_hi_u32 s68, s0, s1
	s_add_u32 s69, s71, s69
	s_addc_u32 s68, 0, s68
	s_mul_hi_u32 s72, s67, s70
	s_mul_i32 s70, s67, s70
	s_add_u32 s69, s69, s70
	s_mul_hi_u32 s71, s67, s1
	s_addc_u32 s68, s68, s72
	s_addc_u32 s69, s71, 0
	s_mul_i32 s1, s67, s1
	s_add_u32 s1, s68, s1
	s_addc_u32 s68, 0, s69
	s_add_u32 s69, s0, s1
	s_cselect_b64 s[0:1], -1, 0
	s_cmp_lg_u64 s[0:1], 0
	s_addc_u32 s67, s67, s68
	s_mul_i32 s0, s59, s67
	s_mul_hi_u32 s1, s59, s69
	s_add_i32 s0, s1, s0
	s_mul_i32 s66, s66, s69
	s_add_i32 s0, s0, s66
	s_mul_i32 s59, s59, s69
	s_mul_hi_u32 s66, s67, s59
	s_mul_i32 s68, s67, s59
	s_mul_i32 s71, s69, s0
	s_mul_hi_u32 s59, s69, s59
	s_mul_hi_u32 s70, s69, s0
	s_add_u32 s59, s59, s71
	s_addc_u32 s70, 0, s70
	s_add_u32 s59, s59, s68
	s_mul_hi_u32 s1, s67, s0
	s_addc_u32 s59, s70, s66
	s_addc_u32 s1, s1, 0
	s_mul_i32 s0, s67, s0
	s_add_u32 s0, s59, s0
	s_addc_u32 s59, 0, s1
	s_add_u32 s66, s69, s0
	s_cselect_b64 s[0:1], -1, 0
	v_ashrrev_i32_e32 v5, 31, v13
	s_cmp_lg_u64 s[0:1], 0
	v_add_co_u32_e32 v14, vcc, v12, v5
	s_addc_u32 s59, s67, s59
	v_xor_b32_e32 v20, v14, v5
	v_mad_u64_u32 v[14:15], s[0:1], v20, s59, 0
	v_mul_hi_u32 v19, v20, s66
	v_addc_co_u32_e32 v18, vcc, v13, v5, vcc
	v_xor_b32_e32 v21, v18, v5
	v_add_co_u32_e32 v22, vcc, v19, v14
	v_addc_co_u32_e32 v23, vcc, 0, v15, vcc
	v_mad_u64_u32 v[14:15], s[0:1], v21, s66, 0
	v_mad_u64_u32 v[18:19], s[0:1], v21, s59, 0
	v_add_co_u32_e32 v14, vcc, v22, v14
	v_addc_co_u32_e32 v14, vcc, v23, v15, vcc
	v_addc_co_u32_e32 v15, vcc, 0, v19, vcc
	v_add_co_u32_e32 v18, vcc, v14, v18
	v_addc_co_u32_e32 v19, vcc, 0, v15, vcc
	v_mul_lo_u32 v22, s61, v18
	v_mul_lo_u32 v23, s60, v19
	v_mad_u64_u32 v[14:15], s[0:1], s60, v18, 0
	v_xor_b32_e32 v5, s58, v5
	v_add3_u32 v15, v15, v23, v22
	v_sub_u32_e32 v22, v21, v15
	v_mov_b32_e32 v23, s61
	v_sub_co_u32_e32 v14, vcc, v20, v14
	v_subb_co_u32_e64 v20, s[0:1], v22, v23, vcc
	v_subrev_co_u32_e64 v22, s[0:1], s60, v14
	v_subbrev_co_u32_e64 v20, s[0:1], 0, v20, s[0:1]
	v_cmp_le_u32_e64 s[0:1], s61, v20
	v_cndmask_b32_e64 v23, 0, -1, s[0:1]
	v_cmp_le_u32_e64 s[0:1], s60, v22
	v_cndmask_b32_e64 v22, 0, -1, s[0:1]
	v_cmp_eq_u32_e64 s[0:1], s61, v20
	v_cndmask_b32_e64 v20, v23, v22, s[0:1]
	v_add_co_u32_e64 v22, s[0:1], 2, v18
	v_subb_co_u32_e32 v15, vcc, v21, v15, vcc
	v_addc_co_u32_e64 v23, s[0:1], 0, v19, s[0:1]
	v_cmp_le_u32_e32 vcc, s61, v15
	v_add_co_u32_e64 v24, s[0:1], 1, v18
	v_cndmask_b32_e64 v21, 0, -1, vcc
	v_cmp_le_u32_e32 vcc, s60, v14
	v_addc_co_u32_e64 v25, s[0:1], 0, v19, s[0:1]
	v_cndmask_b32_e64 v14, 0, -1, vcc
	v_cmp_eq_u32_e32 vcc, s61, v15
	v_cmp_ne_u32_e64 s[0:1], 0, v20
	v_cndmask_b32_e32 v14, v21, v14, vcc
	v_cndmask_b32_e64 v20, v25, v23, s[0:1]
	v_cmp_ne_u32_e32 vcc, 0, v14
	v_cndmask_b32_e64 v15, v24, v22, s[0:1]
	v_cndmask_b32_e32 v14, v19, v20, vcc
	v_cndmask_b32_e32 v15, v18, v15, vcc
	v_xor_b32_e32 v18, v14, v5
	v_xor_b32_e32 v14, v15, v5
	v_sub_co_u32_e32 v14, vcc, v14, v5
	v_subb_co_u32_e32 v15, vcc, v18, v5, vcc
.LBB31_27:                              ;   in Loop: Header=BB31_21 Depth=2
	s_andn2_saveexec_b64 s[0:1], s[56:57]
	s_cbranch_execz .LBB31_20
; %bb.28:                               ;   in Loop: Header=BB31_21 Depth=2
	v_cvt_f32_u32_e32 v5, s50
	s_sub_i32 s56, 0, s50
	v_rcp_iflag_f32_e32 v5, v5
	v_mul_f32_e32 v5, 0x4f7ffffe, v5
	v_cvt_u32_f32_e32 v5, v5
	v_mul_lo_u32 v14, s56, v5
	v_mul_hi_u32 v14, v5, v14
	v_add_u32_e32 v5, v5, v14
	v_mul_hi_u32 v5, v12, v5
	v_mul_lo_u32 v14, v5, s50
	v_add_u32_e32 v15, 1, v5
	v_sub_u32_e32 v14, v12, v14
	v_subrev_u32_e32 v18, s50, v14
	v_cmp_le_u32_e32 vcc, s50, v14
	v_cndmask_b32_e32 v14, v14, v18, vcc
	v_cndmask_b32_e32 v5, v5, v15, vcc
	v_add_u32_e32 v15, 1, v5
	v_cmp_le_u32_e32 vcc, s50, v14
	v_cndmask_b32_e32 v14, v5, v15, vcc
	v_mov_b32_e32 v15, v4
	s_branch .LBB31_20
.LBB31_29:                              ;   in Loop: Header=BB31_3 Depth=1
	v_sub_co_u32_e32 v2, vcc, v0, v16
	v_subb_co_u32_e32 v3, vcc, v1, v17, vcc
	v_cmp_ge_i64_e64 s[0:1], s[8:9], v[2:3]
	v_cmp_gt_i64_e32 vcc, s[14:15], v[0:1]
	v_mov_b32_e32 v0, 0
	v_mov_b32_e32 v2, 0
	;; [unrolled: 1-line block ×4, first 2 shown]
	s_and_b64 s[0:1], s[0:1], vcc
	s_and_saveexec_b64 s[42:43], s[0:1]
	s_cbranch_execz .LBB31_31
; %bb.30:                               ;   in Loop: Header=BB31_3 Depth=1
	v_lshlrev_b64 v[0:1], 4, v[10:11]
	v_mov_b32_e32 v2, s3
	v_add_co_u32_e64 v0, s[0:1], s2, v0
	v_addc_co_u32_e64 v1, s[0:1], v2, v1, s[0:1]
	global_load_dwordx4 v[0:3], v[0:1], off
.LBB31_31:                              ;   in Loop: Header=BB31_3 Depth=1
	s_or_b64 exec, exec, s[42:43]
	s_and_saveexec_b64 s[0:1], vcc
	s_cbranch_execz .LBB31_2
; %bb.32:                               ;   in Loop: Header=BB31_3 Depth=1
	v_lshlrev_b64 v[8:9], 4, v[8:9]
	v_mov_b32_e32 v5, s29
	v_add_co_u32_e32 v8, vcc, s28, v8
	v_addc_co_u32_e32 v9, vcc, v5, v9, vcc
	s_waitcnt vmcnt(0)
	global_store_dwordx4 v[8:9], v[0:3], off
	s_branch .LBB31_2
.LBB31_33:
	s_endpgm
	.section	.rodata,"a",@progbits
	.p2align	6, 0x0
	.amdhsa_kernel _ZN2at6native16triu_tril_kernelIN3c107complexIdEElLb0ELi1ELb0EEEvNS_4cuda6detail10TensorInfoIT_T0_EENS7_IKS8_S9_EEllS9_
		.amdhsa_group_segment_fixed_size 0
		.amdhsa_private_segment_fixed_size 0
		.amdhsa_kernarg_size 1112
		.amdhsa_user_sgpr_count 6
		.amdhsa_user_sgpr_private_segment_buffer 1
		.amdhsa_user_sgpr_dispatch_ptr 0
		.amdhsa_user_sgpr_queue_ptr 0
		.amdhsa_user_sgpr_kernarg_segment_ptr 1
		.amdhsa_user_sgpr_dispatch_id 0
		.amdhsa_user_sgpr_flat_scratch_init 0
		.amdhsa_user_sgpr_private_segment_size 0
		.amdhsa_uses_dynamic_stack 0
		.amdhsa_system_sgpr_private_segment_wavefront_offset 0
		.amdhsa_system_sgpr_workgroup_id_x 1
		.amdhsa_system_sgpr_workgroup_id_y 0
		.amdhsa_system_sgpr_workgroup_id_z 0
		.amdhsa_system_sgpr_workgroup_info 0
		.amdhsa_system_vgpr_workitem_id 0
		.amdhsa_next_free_vgpr 26
		.amdhsa_next_free_sgpr 73
		.amdhsa_reserve_vcc 1
		.amdhsa_reserve_flat_scratch 0
		.amdhsa_float_round_mode_32 0
		.amdhsa_float_round_mode_16_64 0
		.amdhsa_float_denorm_mode_32 3
		.amdhsa_float_denorm_mode_16_64 3
		.amdhsa_dx10_clamp 1
		.amdhsa_ieee_mode 1
		.amdhsa_fp16_overflow 0
		.amdhsa_exception_fp_ieee_invalid_op 0
		.amdhsa_exception_fp_denorm_src 0
		.amdhsa_exception_fp_ieee_div_zero 0
		.amdhsa_exception_fp_ieee_overflow 0
		.amdhsa_exception_fp_ieee_underflow 0
		.amdhsa_exception_fp_ieee_inexact 0
		.amdhsa_exception_int_div_zero 0
	.end_amdhsa_kernel
	.section	.text._ZN2at6native16triu_tril_kernelIN3c107complexIdEElLb0ELi1ELb0EEEvNS_4cuda6detail10TensorInfoIT_T0_EENS7_IKS8_S9_EEllS9_,"axG",@progbits,_ZN2at6native16triu_tril_kernelIN3c107complexIdEElLb0ELi1ELb0EEEvNS_4cuda6detail10TensorInfoIT_T0_EENS7_IKS8_S9_EEllS9_,comdat
.Lfunc_end31:
	.size	_ZN2at6native16triu_tril_kernelIN3c107complexIdEElLb0ELi1ELb0EEEvNS_4cuda6detail10TensorInfoIT_T0_EENS7_IKS8_S9_EEllS9_, .Lfunc_end31-_ZN2at6native16triu_tril_kernelIN3c107complexIdEElLb0ELi1ELb0EEEvNS_4cuda6detail10TensorInfoIT_T0_EENS7_IKS8_S9_EEllS9_
                                        ; -- End function
	.set _ZN2at6native16triu_tril_kernelIN3c107complexIdEElLb0ELi1ELb0EEEvNS_4cuda6detail10TensorInfoIT_T0_EENS7_IKS8_S9_EEllS9_.num_vgpr, 26
	.set _ZN2at6native16triu_tril_kernelIN3c107complexIdEElLb0ELi1ELb0EEEvNS_4cuda6detail10TensorInfoIT_T0_EENS7_IKS8_S9_EEllS9_.num_agpr, 0
	.set _ZN2at6native16triu_tril_kernelIN3c107complexIdEElLb0ELi1ELb0EEEvNS_4cuda6detail10TensorInfoIT_T0_EENS7_IKS8_S9_EEllS9_.numbered_sgpr, 73
	.set _ZN2at6native16triu_tril_kernelIN3c107complexIdEElLb0ELi1ELb0EEEvNS_4cuda6detail10TensorInfoIT_T0_EENS7_IKS8_S9_EEllS9_.num_named_barrier, 0
	.set _ZN2at6native16triu_tril_kernelIN3c107complexIdEElLb0ELi1ELb0EEEvNS_4cuda6detail10TensorInfoIT_T0_EENS7_IKS8_S9_EEllS9_.private_seg_size, 0
	.set _ZN2at6native16triu_tril_kernelIN3c107complexIdEElLb0ELi1ELb0EEEvNS_4cuda6detail10TensorInfoIT_T0_EENS7_IKS8_S9_EEllS9_.uses_vcc, 1
	.set _ZN2at6native16triu_tril_kernelIN3c107complexIdEElLb0ELi1ELb0EEEvNS_4cuda6detail10TensorInfoIT_T0_EENS7_IKS8_S9_EEllS9_.uses_flat_scratch, 0
	.set _ZN2at6native16triu_tril_kernelIN3c107complexIdEElLb0ELi1ELb0EEEvNS_4cuda6detail10TensorInfoIT_T0_EENS7_IKS8_S9_EEllS9_.has_dyn_sized_stack, 0
	.set _ZN2at6native16triu_tril_kernelIN3c107complexIdEElLb0ELi1ELb0EEEvNS_4cuda6detail10TensorInfoIT_T0_EENS7_IKS8_S9_EEllS9_.has_recursion, 0
	.set _ZN2at6native16triu_tril_kernelIN3c107complexIdEElLb0ELi1ELb0EEEvNS_4cuda6detail10TensorInfoIT_T0_EENS7_IKS8_S9_EEllS9_.has_indirect_call, 0
	.section	.AMDGPU.csdata,"",@progbits
; Kernel info:
; codeLenInByte = 4876
; TotalNumSgprs: 77
; NumVgprs: 26
; ScratchSize: 0
; MemoryBound: 1
; FloatMode: 240
; IeeeMode: 1
; LDSByteSize: 0 bytes/workgroup (compile time only)
; SGPRBlocks: 9
; VGPRBlocks: 6
; NumSGPRsForWavesPerEU: 77
; NumVGPRsForWavesPerEU: 26
; Occupancy: 9
; WaveLimiterHint : 0
; COMPUTE_PGM_RSRC2:SCRATCH_EN: 0
; COMPUTE_PGM_RSRC2:USER_SGPR: 6
; COMPUTE_PGM_RSRC2:TRAP_HANDLER: 0
; COMPUTE_PGM_RSRC2:TGID_X_EN: 1
; COMPUTE_PGM_RSRC2:TGID_Y_EN: 0
; COMPUTE_PGM_RSRC2:TGID_Z_EN: 0
; COMPUTE_PGM_RSRC2:TIDIG_COMP_CNT: 0
	.section	.text._ZN2at6native16triu_tril_kernelIN3c107complexIfEEiLb0ELi2ELb1EEEvNS_4cuda6detail10TensorInfoIT_T0_EENS7_IKS8_S9_EEllS9_,"axG",@progbits,_ZN2at6native16triu_tril_kernelIN3c107complexIfEEiLb0ELi2ELb1EEEvNS_4cuda6detail10TensorInfoIT_T0_EENS7_IKS8_S9_EEllS9_,comdat
	.protected	_ZN2at6native16triu_tril_kernelIN3c107complexIfEEiLb0ELi2ELb1EEEvNS_4cuda6detail10TensorInfoIT_T0_EENS7_IKS8_S9_EEllS9_ ; -- Begin function _ZN2at6native16triu_tril_kernelIN3c107complexIfEEiLb0ELi2ELb1EEEvNS_4cuda6detail10TensorInfoIT_T0_EENS7_IKS8_S9_EEllS9_
	.globl	_ZN2at6native16triu_tril_kernelIN3c107complexIfEEiLb0ELi2ELb1EEEvNS_4cuda6detail10TensorInfoIT_T0_EENS7_IKS8_S9_EEllS9_
	.p2align	8
	.type	_ZN2at6native16triu_tril_kernelIN3c107complexIfEEiLb0ELi2ELb1EEEvNS_4cuda6detail10TensorInfoIT_T0_EENS7_IKS8_S9_EEllS9_,@function
_ZN2at6native16triu_tril_kernelIN3c107complexIfEEiLb0ELi2ELb1EEEvNS_4cuda6detail10TensorInfoIT_T0_EENS7_IKS8_S9_EEllS9_: ; @_ZN2at6native16triu_tril_kernelIN3c107complexIfEEiLb0ELi2ELb1EEEvNS_4cuda6detail10TensorInfoIT_T0_EENS7_IKS8_S9_EEllS9_
; %bb.0:
	s_load_dword s2, s[4:5], 0x1d4
	s_load_dwordx4 s[8:11], s[4:5], 0x1b0
	s_add_u32 s0, s4, 0x1c8
	v_mov_b32_e32 v2, 0
	s_addc_u32 s1, s5, 0
	s_waitcnt lgkmcnt(0)
	s_and_b32 s7, s2, 0xffff
	v_mov_b32_e32 v1, v2
	v_mov_b32_e32 v3, s6
	v_mad_u64_u32 v[0:1], s[2:3], s7, v3, v[0:1]
	v_lshlrev_b64 v[0:1], 1, v[0:1]
	v_cmp_gt_i64_e32 vcc, s[10:11], v[0:1]
	s_and_saveexec_b64 s[2:3], vcc
	s_cbranch_execz .LBB32_63
; %bb.1:
	s_load_dword s33, s[4:5], 0x1c0
	s_load_dword s16, s[4:5], 0x1a8
	s_add_u32 s42, s4, 0xd8
	s_addc_u32 s43, s5, 0
	s_load_dword s6, s[0:1], 0x0
	s_waitcnt lgkmcnt(0)
	s_ashr_i32 s44, s33, 31
	s_ashr_i32 s17, s16, 31
	s_lshl_b64 s[0:1], s[16:17], 2
	s_add_u32 s2, s42, s0
	s_addc_u32 s3, s43, s1
	s_load_dword s45, s[2:3], 0x0
	s_load_dwordx2 s[12:13], s[4:5], 0x0
	s_mul_i32 s18, s6, s7
	v_cmp_gt_i64_e64 s[6:7], s[16:17], 2
	s_mov_b32 s17, 0
	s_waitcnt lgkmcnt(0)
	s_ashr_i32 s46, s45, 31
	s_add_u32 s14, s4, s0
	s_addc_u32 s15, s5, s1
	s_add_i32 s0, s16, 6
	s_add_i32 s47, s16, -3
	s_lshl_b32 s48, s18, 1
	s_and_b32 s49, s0, 7
	s_and_b32 s0, s16, 7
	s_cmp_lg_u32 s0, 2
	s_cselect_b64 s[18:19], -1, 0
	s_cmp_gt_u32 s47, 6
	s_cselect_b64 s[20:21], -1, 0
	s_mov_b64 s[22:23], 0
	s_ashr_i32 s24, s44, 31
	s_branch .LBB32_3
.LBB32_2:                               ;   in Loop: Header=BB32_3 Depth=1
	s_or_b64 exec, exec, s[26:27]
	v_add_co_u32_e32 v0, vcc, s48, v0
	v_addc_co_u32_e32 v1, vcc, 0, v1, vcc
	v_cmp_le_i64_e32 vcc, s[10:11], v[0:1]
	s_or_b64 s[22:23], vcc, s[22:23]
	s_andn2_b64 exec, exec, s[22:23]
	s_cbranch_execz .LBB32_63
.LBB32_3:                               ; =>This Loop Header: Depth=1
                                        ;     Child Loop BB32_14 Depth 2
                                        ;     Child Loop BB32_23 Depth 2
	v_or_b32_e32 v3, s44, v1
	v_cmp_ne_u64_e32 vcc, 0, v[2:3]
                                        ; implicit-def: $vgpr4_vgpr5
	s_and_saveexec_b64 s[0:1], vcc
	s_xor_b64 s[26:27], exec, s[0:1]
	s_cbranch_execz .LBB32_5
; %bb.4:                                ;   in Loop: Header=BB32_3 Depth=1
	s_add_u32 s0, s33, s24
	s_mov_b32 s25, s24
	s_addc_u32 s1, s44, s24
	s_xor_b64 s[28:29], s[0:1], s[24:25]
	v_cvt_f32_u32_e32 v3, s28
	v_cvt_f32_u32_e32 v4, s29
	s_sub_u32 s16, 0, s28
	s_subb_u32 s25, 0, s29
	v_ashrrev_i32_e32 v7, 31, v1
	v_mac_f32_e32 v3, 0x4f800000, v4
	v_rcp_f32_e32 v3, v3
	v_mul_f32_e32 v3, 0x5f7ffffc, v3
	v_mul_f32_e32 v4, 0x2f800000, v3
	v_trunc_f32_e32 v4, v4
	v_mac_f32_e32 v3, 0xcf800000, v4
	v_cvt_u32_f32_e32 v4, v4
	v_cvt_u32_f32_e32 v3, v3
	v_readfirstlane_b32 s30, v4
	v_readfirstlane_b32 s0, v3
	s_mul_i32 s1, s16, s30
	s_mul_hi_u32 s34, s16, s0
	s_mul_i32 s31, s25, s0
	s_add_i32 s1, s34, s1
	s_add_i32 s1, s1, s31
	s_mul_i32 s35, s16, s0
	s_mul_i32 s34, s0, s1
	s_mul_hi_u32 s36, s0, s35
	s_mul_hi_u32 s31, s0, s1
	s_add_u32 s34, s36, s34
	s_addc_u32 s31, 0, s31
	s_mul_hi_u32 s37, s30, s35
	s_mul_i32 s35, s30, s35
	s_add_u32 s34, s34, s35
	s_mul_hi_u32 s36, s30, s1
	s_addc_u32 s31, s31, s37
	s_addc_u32 s34, s36, 0
	s_mul_i32 s1, s30, s1
	s_add_u32 s1, s31, s1
	s_addc_u32 s31, 0, s34
	s_add_u32 s34, s0, s1
	s_cselect_b64 s[0:1], -1, 0
	s_cmp_lg_u64 s[0:1], 0
	s_addc_u32 s30, s30, s31
	s_mul_i32 s0, s16, s30
	s_mul_hi_u32 s1, s16, s34
	s_add_i32 s0, s1, s0
	s_mul_i32 s25, s25, s34
	s_add_i32 s0, s0, s25
	s_mul_i32 s16, s16, s34
	s_mul_hi_u32 s25, s30, s16
	s_mul_i32 s31, s30, s16
	s_mul_i32 s36, s34, s0
	s_mul_hi_u32 s16, s34, s16
	s_mul_hi_u32 s35, s34, s0
	s_add_u32 s16, s16, s36
	s_addc_u32 s35, 0, s35
	s_add_u32 s16, s16, s31
	s_mul_hi_u32 s1, s30, s0
	s_addc_u32 s16, s35, s25
	s_addc_u32 s1, s1, 0
	s_mul_i32 s0, s30, s0
	s_add_u32 s0, s16, s0
	s_addc_u32 s16, 0, s1
	s_add_u32 s25, s34, s0
	s_cselect_b64 s[0:1], -1, 0
	s_cmp_lg_u64 s[0:1], 0
	v_add_co_u32_e32 v3, vcc, v0, v7
	s_addc_u32 s16, s30, s16
	v_xor_b32_e32 v8, v3, v7
	v_mad_u64_u32 v[3:4], s[0:1], v8, s16, 0
	v_mul_hi_u32 v6, v8, s25
	v_addc_co_u32_e32 v5, vcc, v1, v7, vcc
	v_xor_b32_e32 v9, v5, v7
	v_add_co_u32_e32 v10, vcc, v6, v3
	v_addc_co_u32_e32 v11, vcc, 0, v4, vcc
	v_mad_u64_u32 v[3:4], s[0:1], v9, s25, 0
	v_mad_u64_u32 v[5:6], s[0:1], v9, s16, 0
	v_add_co_u32_e32 v3, vcc, v10, v3
	v_addc_co_u32_e32 v3, vcc, v11, v4, vcc
	v_addc_co_u32_e32 v4, vcc, 0, v6, vcc
	v_add_co_u32_e32 v5, vcc, v3, v5
	v_addc_co_u32_e32 v6, vcc, 0, v4, vcc
	v_mul_lo_u32 v10, s29, v5
	v_mul_lo_u32 v11, s28, v6
	v_mad_u64_u32 v[3:4], s[0:1], s28, v5, 0
	v_add3_u32 v4, v4, v11, v10
	v_sub_u32_e32 v10, v9, v4
	v_mov_b32_e32 v11, s29
	v_sub_co_u32_e32 v3, vcc, v8, v3
	v_subb_co_u32_e64 v8, s[0:1], v10, v11, vcc
	v_subrev_co_u32_e64 v10, s[0:1], s28, v3
	v_subbrev_co_u32_e64 v8, s[0:1], 0, v8, s[0:1]
	v_cmp_le_u32_e64 s[0:1], s29, v8
	v_cndmask_b32_e64 v11, 0, -1, s[0:1]
	v_cmp_le_u32_e64 s[0:1], s28, v10
	v_cndmask_b32_e64 v10, 0, -1, s[0:1]
	v_cmp_eq_u32_e64 s[0:1], s29, v8
	v_cndmask_b32_e64 v8, v11, v10, s[0:1]
	v_add_co_u32_e64 v10, s[0:1], 2, v5
	v_subb_co_u32_e32 v4, vcc, v9, v4, vcc
	v_addc_co_u32_e64 v11, s[0:1], 0, v6, s[0:1]
	v_cmp_le_u32_e32 vcc, s29, v4
	v_add_co_u32_e64 v12, s[0:1], 1, v5
	v_cndmask_b32_e64 v9, 0, -1, vcc
	v_cmp_le_u32_e32 vcc, s28, v3
	v_addc_co_u32_e64 v13, s[0:1], 0, v6, s[0:1]
	v_cndmask_b32_e64 v3, 0, -1, vcc
	v_cmp_eq_u32_e32 vcc, s29, v4
	v_cmp_ne_u32_e64 s[0:1], 0, v8
	v_cndmask_b32_e32 v3, v9, v3, vcc
	v_cmp_ne_u32_e32 vcc, 0, v3
	v_cndmask_b32_e64 v4, v12, v10, s[0:1]
	v_cndmask_b32_e64 v8, v13, v11, s[0:1]
	v_cndmask_b32_e32 v4, v5, v4, vcc
	v_xor_b32_e32 v5, s24, v7
	v_cndmask_b32_e32 v3, v6, v8, vcc
	v_xor_b32_e32 v4, v4, v5
	v_xor_b32_e32 v3, v3, v5
	v_sub_co_u32_e32 v4, vcc, v4, v5
	v_subb_co_u32_e32 v5, vcc, v3, v5, vcc
.LBB32_5:                               ;   in Loop: Header=BB32_3 Depth=1
	s_andn2_saveexec_b64 s[0:1], s[26:27]
	s_cbranch_execz .LBB32_7
; %bb.6:                                ;   in Loop: Header=BB32_3 Depth=1
	v_cvt_f32_u32_e32 v3, s33
	s_sub_i32 s16, 0, s33
	v_rcp_iflag_f32_e32 v3, v3
	v_mul_f32_e32 v3, 0x4f7ffffe, v3
	v_cvt_u32_f32_e32 v3, v3
	v_mul_lo_u32 v4, s16, v3
	v_mul_hi_u32 v4, v3, v4
	v_add_u32_e32 v3, v3, v4
	v_mul_hi_u32 v3, v0, v3
	v_mul_lo_u32 v4, v3, s33
	v_add_u32_e32 v5, 1, v3
	v_sub_u32_e32 v4, v0, v4
	v_subrev_u32_e32 v6, s33, v4
	v_cmp_le_u32_e32 vcc, s33, v4
	v_cndmask_b32_e32 v4, v4, v6, vcc
	v_cndmask_b32_e32 v3, v3, v5, vcc
	v_add_u32_e32 v5, 1, v3
	v_cmp_le_u32_e32 vcc, s33, v4
	v_cndmask_b32_e32 v4, v3, v5, vcc
	v_mov_b32_e32 v5, v2
.LBB32_7:                               ;   in Loop: Header=BB32_3 Depth=1
	s_or_b64 exec, exec, s[0:1]
	v_or_b32_e32 v3, s46, v5
	v_cmp_ne_u64_e32 vcc, 0, v[2:3]
                                        ; implicit-def: $vgpr8_vgpr9
	s_and_saveexec_b64 s[0:1], vcc
	s_xor_b64 s[26:27], exec, s[0:1]
	s_cbranch_execz .LBB32_9
; %bb.8:                                ;   in Loop: Header=BB32_3 Depth=1
	s_ashr_i32 s28, s46, 31
	s_add_u32 s0, s45, s28
	s_mov_b32 s29, s28
	s_addc_u32 s1, s46, s28
	s_xor_b64 s[30:31], s[0:1], s[28:29]
	v_cvt_f32_u32_e32 v3, s30
	v_cvt_f32_u32_e32 v6, s31
	s_sub_u32 s16, 0, s30
	s_subb_u32 s25, 0, s31
	v_mac_f32_e32 v3, 0x4f800000, v6
	v_rcp_f32_e32 v3, v3
	v_mul_f32_e32 v3, 0x5f7ffffc, v3
	v_mul_f32_e32 v6, 0x2f800000, v3
	v_trunc_f32_e32 v6, v6
	v_mac_f32_e32 v3, 0xcf800000, v6
	v_cvt_u32_f32_e32 v6, v6
	v_cvt_u32_f32_e32 v3, v3
	v_readfirstlane_b32 s29, v6
	v_readfirstlane_b32 s0, v3
	s_mul_i32 s1, s16, s29
	s_mul_hi_u32 s35, s16, s0
	s_mul_i32 s34, s25, s0
	s_add_i32 s1, s35, s1
	s_add_i32 s1, s1, s34
	s_mul_i32 s36, s16, s0
	s_mul_i32 s35, s0, s1
	s_mul_hi_u32 s37, s0, s36
	s_mul_hi_u32 s34, s0, s1
	s_add_u32 s35, s37, s35
	s_addc_u32 s34, 0, s34
	s_mul_hi_u32 s38, s29, s36
	s_mul_i32 s36, s29, s36
	s_add_u32 s35, s35, s36
	s_mul_hi_u32 s37, s29, s1
	s_addc_u32 s34, s34, s38
	s_addc_u32 s35, s37, 0
	s_mul_i32 s1, s29, s1
	s_add_u32 s1, s34, s1
	s_addc_u32 s34, 0, s35
	s_add_u32 s35, s0, s1
	s_cselect_b64 s[0:1], -1, 0
	s_cmp_lg_u64 s[0:1], 0
	s_addc_u32 s29, s29, s34
	s_mul_i32 s0, s16, s29
	s_mul_hi_u32 s1, s16, s35
	s_add_i32 s0, s1, s0
	s_mul_i32 s25, s25, s35
	s_add_i32 s0, s0, s25
	s_mul_i32 s16, s16, s35
	s_mul_hi_u32 s25, s29, s16
	s_mul_i32 s34, s29, s16
	s_mul_i32 s37, s35, s0
	s_mul_hi_u32 s16, s35, s16
	s_mul_hi_u32 s36, s35, s0
	s_add_u32 s16, s16, s37
	s_addc_u32 s36, 0, s36
	s_add_u32 s16, s16, s34
	s_mul_hi_u32 s1, s29, s0
	s_addc_u32 s16, s36, s25
	s_addc_u32 s1, s1, 0
	s_mul_i32 s0, s29, s0
	s_add_u32 s0, s16, s0
	s_addc_u32 s16, 0, s1
	s_add_u32 s25, s35, s0
	s_cselect_b64 s[0:1], -1, 0
	v_ashrrev_i32_e32 v3, 31, v5
	s_cmp_lg_u64 s[0:1], 0
	v_add_co_u32_e32 v6, vcc, v4, v3
	s_addc_u32 s16, s29, s16
	v_xor_b32_e32 v9, v6, v3
	v_addc_co_u32_e32 v7, vcc, v5, v3, vcc
	v_mad_u64_u32 v[5:6], s[0:1], v9, s16, 0
	v_mul_hi_u32 v8, v9, s25
	v_xor_b32_e32 v10, v7, v3
	v_xor_b32_e32 v3, s28, v3
	v_add_co_u32_e32 v11, vcc, v8, v5
	v_addc_co_u32_e32 v12, vcc, 0, v6, vcc
	v_mad_u64_u32 v[5:6], s[0:1], v10, s25, 0
	v_mad_u64_u32 v[7:8], s[0:1], v10, s16, 0
	v_add_co_u32_e32 v5, vcc, v11, v5
	v_addc_co_u32_e32 v5, vcc, v12, v6, vcc
	v_addc_co_u32_e32 v6, vcc, 0, v8, vcc
	v_add_co_u32_e32 v7, vcc, v5, v7
	v_addc_co_u32_e32 v8, vcc, 0, v6, vcc
	v_mul_lo_u32 v11, s31, v7
	v_mul_lo_u32 v12, s30, v8
	v_mad_u64_u32 v[5:6], s[0:1], s30, v7, 0
	v_add3_u32 v6, v6, v12, v11
	v_sub_u32_e32 v11, v10, v6
	v_mov_b32_e32 v12, s31
	v_sub_co_u32_e32 v5, vcc, v9, v5
	v_subb_co_u32_e64 v9, s[0:1], v11, v12, vcc
	v_subrev_co_u32_e64 v11, s[0:1], s30, v5
	v_subbrev_co_u32_e64 v9, s[0:1], 0, v9, s[0:1]
	v_cmp_le_u32_e64 s[0:1], s31, v9
	v_cndmask_b32_e64 v12, 0, -1, s[0:1]
	v_cmp_le_u32_e64 s[0:1], s30, v11
	v_cndmask_b32_e64 v11, 0, -1, s[0:1]
	v_cmp_eq_u32_e64 s[0:1], s31, v9
	v_cndmask_b32_e64 v9, v12, v11, s[0:1]
	v_add_co_u32_e64 v11, s[0:1], 2, v7
	v_subb_co_u32_e32 v6, vcc, v10, v6, vcc
	v_addc_co_u32_e64 v12, s[0:1], 0, v8, s[0:1]
	v_cmp_le_u32_e32 vcc, s31, v6
	v_add_co_u32_e64 v13, s[0:1], 1, v7
	v_cndmask_b32_e64 v10, 0, -1, vcc
	v_cmp_le_u32_e32 vcc, s30, v5
	v_addc_co_u32_e64 v14, s[0:1], 0, v8, s[0:1]
	v_cndmask_b32_e64 v5, 0, -1, vcc
	v_cmp_eq_u32_e32 vcc, s31, v6
	v_cmp_ne_u32_e64 s[0:1], 0, v9
	v_cndmask_b32_e32 v5, v10, v5, vcc
	v_cmp_ne_u32_e32 vcc, 0, v5
	v_cndmask_b32_e64 v6, v13, v11, s[0:1]
	v_cndmask_b32_e64 v9, v14, v12, s[0:1]
	v_cndmask_b32_e32 v6, v7, v6, vcc
	v_cndmask_b32_e32 v5, v8, v9, vcc
	v_xor_b32_e32 v6, v6, v3
	v_xor_b32_e32 v5, v5, v3
	v_sub_co_u32_e32 v8, vcc, v6, v3
	v_subb_co_u32_e32 v9, vcc, v5, v3, vcc
.LBB32_9:                               ;   in Loop: Header=BB32_3 Depth=1
	s_andn2_saveexec_b64 s[0:1], s[26:27]
	s_cbranch_execz .LBB32_11
; %bb.10:                               ;   in Loop: Header=BB32_3 Depth=1
	v_cvt_f32_u32_e32 v3, s45
	s_sub_i32 s16, 0, s45
	v_mov_b32_e32 v9, v2
	v_rcp_iflag_f32_e32 v3, v3
	v_mul_f32_e32 v3, 0x4f7ffffe, v3
	v_cvt_u32_f32_e32 v3, v3
	v_mul_lo_u32 v5, s16, v3
	v_mul_hi_u32 v5, v3, v5
	v_add_u32_e32 v3, v3, v5
	v_mul_hi_u32 v3, v4, v3
	v_mul_lo_u32 v5, v3, s45
	v_add_u32_e32 v6, 1, v3
	v_sub_u32_e32 v5, v4, v5
	v_subrev_u32_e32 v7, s45, v5
	v_cmp_le_u32_e32 vcc, s45, v5
	v_cndmask_b32_e32 v5, v5, v7, vcc
	v_cndmask_b32_e32 v3, v3, v6, vcc
	v_add_u32_e32 v6, 1, v3
	v_cmp_le_u32_e32 vcc, s45, v5
	v_cndmask_b32_e32 v8, v3, v6, vcc
.LBB32_11:                              ;   in Loop: Header=BB32_3 Depth=1
	s_or_b64 exec, exec, s[0:1]
	v_mad_u64_u32 v[5:6], s[0:1], v4, s33, 0
	v_mad_u64_u32 v[6:7], s[0:1], v8, s45, 0
	v_sub_co_u32_e32 v27, vcc, v0, v5
	v_sub_co_u32_e32 v26, vcc, v4, v6
	v_sub_u32_e32 v4, v27, v26
	v_add_u32_e32 v5, 2, v4
	v_ashrrev_i32_e32 v6, 31, v5
	v_cmp_lt_i64_e32 vcc, s[8:9], v[5:6]
	s_and_saveexec_b64 s[26:27], vcc
	s_cbranch_execz .LBB32_2
; %bb.12:                               ;   in Loop: Header=BB32_3 Depth=1
	s_load_dwordx2 s[28:29], s[14:15], 0x64
	s_andn2_b64 vcc, exec, s[6:7]
	s_waitcnt lgkmcnt(0)
	v_mul_lo_u32 v3, s29, v27
	v_mad_u64_u32 v[6:7], s[0:1], s28, v26, v[3:4]
	s_cbranch_vccnz .LBB32_57
; %bb.13:                               ;   in Loop: Header=BB32_3 Depth=1
	s_andn2_b64 vcc, exec, s[18:19]
	s_mov_b32 s25, s49
	s_mov_b32 s16, s47
	;; [unrolled: 1-line block ×3, first 2 shown]
	s_cbranch_vccnz .LBB32_21
.LBB32_14:                              ;   Parent Loop BB32_3 Depth=1
                                        ; =>  This Inner Loop Header: Depth=2
	s_lshl_b64 s[30:31], s[16:17], 2
	s_add_u32 s0, s42, s30
	s_addc_u32 s1, s43, s31
	s_load_dword s28, s[0:1], 0x8
                                        ; implicit-def: $vgpr10_vgpr11
	s_waitcnt lgkmcnt(0)
	s_ashr_i32 s0, s28, 31
	v_or_b32_e32 v3, s0, v9
	v_cmp_ne_u64_e32 vcc, 0, v[2:3]
	s_and_saveexec_b64 s[34:35], vcc
	s_xor_b64 s[34:35], exec, s[34:35]
	s_cbranch_execz .LBB32_16
; %bb.15:                               ;   in Loop: Header=BB32_14 Depth=2
	s_ashr_i32 s36, s0, 31
	s_add_u32 s38, s28, s36
	s_mov_b32 s37, s36
	s_addc_u32 s39, s0, s36
	s_xor_b64 s[38:39], s[38:39], s[36:37]
	v_cvt_f32_u32_e32 v3, s38
	v_cvt_f32_u32_e32 v5, s39
	s_sub_u32 s37, 0, s38
	s_subb_u32 s40, 0, s39
	v_mac_f32_e32 v3, 0x4f800000, v5
	v_rcp_f32_e32 v3, v3
	v_mul_f32_e32 v3, 0x5f7ffffc, v3
	v_mul_f32_e32 v5, 0x2f800000, v3
	v_trunc_f32_e32 v5, v5
	v_mac_f32_e32 v3, 0xcf800000, v5
	v_cvt_u32_f32_e32 v5, v5
	v_cvt_u32_f32_e32 v3, v3
	v_readfirstlane_b32 s41, v5
	v_readfirstlane_b32 s0, v3
	s_mul_i32 s1, s37, s41
	s_mul_hi_u32 s51, s37, s0
	s_mul_i32 s50, s40, s0
	s_add_i32 s1, s51, s1
	s_add_i32 s1, s1, s50
	s_mul_i32 s52, s37, s0
	s_mul_i32 s51, s0, s1
	s_mul_hi_u32 s53, s0, s52
	s_mul_hi_u32 s50, s0, s1
	s_add_u32 s51, s53, s51
	s_addc_u32 s50, 0, s50
	s_mul_hi_u32 s54, s41, s52
	s_mul_i32 s52, s41, s52
	s_add_u32 s51, s51, s52
	s_mul_hi_u32 s53, s41, s1
	s_addc_u32 s50, s50, s54
	s_addc_u32 s51, s53, 0
	s_mul_i32 s1, s41, s1
	s_add_u32 s1, s50, s1
	s_addc_u32 s50, 0, s51
	s_add_u32 s51, s0, s1
	s_cselect_b64 s[0:1], -1, 0
	s_cmp_lg_u64 s[0:1], 0
	s_addc_u32 s41, s41, s50
	s_mul_i32 s0, s37, s41
	s_mul_hi_u32 s1, s37, s51
	s_add_i32 s0, s1, s0
	s_mul_i32 s40, s40, s51
	s_add_i32 s0, s0, s40
	s_mul_i32 s37, s37, s51
	s_mul_hi_u32 s40, s41, s37
	s_mul_i32 s50, s41, s37
	s_mul_i32 s53, s51, s0
	s_mul_hi_u32 s37, s51, s37
	s_mul_hi_u32 s52, s51, s0
	s_add_u32 s37, s37, s53
	s_addc_u32 s52, 0, s52
	s_add_u32 s37, s37, s50
	s_mul_hi_u32 s1, s41, s0
	s_addc_u32 s37, s52, s40
	s_addc_u32 s1, s1, 0
	s_mul_i32 s0, s41, s0
	s_add_u32 s0, s37, s0
	s_addc_u32 s37, 0, s1
	s_add_u32 s40, s51, s0
	s_cselect_b64 s[0:1], -1, 0
	v_ashrrev_i32_e32 v3, 31, v9
	s_cmp_lg_u64 s[0:1], 0
	v_add_co_u32_e32 v5, vcc, v8, v3
	s_addc_u32 s37, s41, s37
	v_xor_b32_e32 v5, v5, v3
	v_addc_co_u32_e32 v7, vcc, v9, v3, vcc
	v_mad_u64_u32 v[9:10], s[0:1], v5, s37, 0
	v_mul_hi_u32 v11, v5, s40
	v_xor_b32_e32 v7, v7, v3
	v_xor_b32_e32 v3, s36, v3
	v_add_co_u32_e32 v13, vcc, v11, v9
	v_addc_co_u32_e32 v14, vcc, 0, v10, vcc
	v_mad_u64_u32 v[9:10], s[0:1], v7, s40, 0
	v_mad_u64_u32 v[11:12], s[0:1], v7, s37, 0
	v_add_co_u32_e32 v9, vcc, v13, v9
	v_addc_co_u32_e32 v9, vcc, v14, v10, vcc
	v_addc_co_u32_e32 v10, vcc, 0, v12, vcc
	v_add_co_u32_e32 v11, vcc, v9, v11
	v_addc_co_u32_e32 v12, vcc, 0, v10, vcc
	v_mul_lo_u32 v13, s39, v11
	v_mul_lo_u32 v14, s38, v12
	v_mad_u64_u32 v[9:10], s[0:1], s38, v11, 0
	v_add3_u32 v10, v10, v14, v13
	v_sub_u32_e32 v13, v7, v10
	v_mov_b32_e32 v14, s39
	v_sub_co_u32_e32 v5, vcc, v5, v9
	v_subb_co_u32_e64 v9, s[0:1], v13, v14, vcc
	v_subrev_co_u32_e64 v13, s[0:1], s38, v5
	v_subbrev_co_u32_e64 v9, s[0:1], 0, v9, s[0:1]
	v_cmp_le_u32_e64 s[0:1], s39, v9
	v_cndmask_b32_e64 v14, 0, -1, s[0:1]
	v_cmp_le_u32_e64 s[0:1], s38, v13
	v_cndmask_b32_e64 v13, 0, -1, s[0:1]
	v_cmp_eq_u32_e64 s[0:1], s39, v9
	v_cndmask_b32_e64 v9, v14, v13, s[0:1]
	v_add_co_u32_e64 v13, s[0:1], 2, v11
	v_subb_co_u32_e32 v7, vcc, v7, v10, vcc
	v_addc_co_u32_e64 v14, s[0:1], 0, v12, s[0:1]
	v_cmp_le_u32_e32 vcc, s39, v7
	v_add_co_u32_e64 v15, s[0:1], 1, v11
	v_cndmask_b32_e64 v10, 0, -1, vcc
	v_cmp_le_u32_e32 vcc, s38, v5
	v_addc_co_u32_e64 v16, s[0:1], 0, v12, s[0:1]
	v_cndmask_b32_e64 v5, 0, -1, vcc
	v_cmp_eq_u32_e32 vcc, s39, v7
	v_cmp_ne_u32_e64 s[0:1], 0, v9
	v_cndmask_b32_e32 v5, v10, v5, vcc
	v_cmp_ne_u32_e32 vcc, 0, v5
	v_cndmask_b32_e64 v7, v15, v13, s[0:1]
	v_cndmask_b32_e64 v9, v16, v14, s[0:1]
	v_cndmask_b32_e32 v7, v11, v7, vcc
	v_cndmask_b32_e32 v5, v12, v9, vcc
	v_xor_b32_e32 v7, v7, v3
	v_xor_b32_e32 v5, v5, v3
	v_sub_co_u32_e32 v10, vcc, v7, v3
	v_subb_co_u32_e32 v11, vcc, v5, v3, vcc
.LBB32_16:                              ;   in Loop: Header=BB32_14 Depth=2
	s_andn2_saveexec_b64 s[0:1], s[34:35]
	s_cbranch_execz .LBB32_18
; %bb.17:                               ;   in Loop: Header=BB32_14 Depth=2
	v_cvt_f32_u32_e32 v3, s28
	s_sub_i32 s34, 0, s28
	v_mov_b32_e32 v11, v2
	v_rcp_iflag_f32_e32 v3, v3
	v_mul_f32_e32 v3, 0x4f7ffffe, v3
	v_cvt_u32_f32_e32 v3, v3
	v_mul_lo_u32 v5, s34, v3
	v_mul_hi_u32 v5, v3, v5
	v_add_u32_e32 v3, v3, v5
	v_mul_hi_u32 v3, v8, v3
	v_mul_lo_u32 v5, v3, s28
	v_add_u32_e32 v7, 1, v3
	v_sub_u32_e32 v5, v8, v5
	v_subrev_u32_e32 v9, s28, v5
	v_cmp_le_u32_e32 vcc, s28, v5
	v_cndmask_b32_e32 v5, v5, v9, vcc
	v_cndmask_b32_e32 v3, v3, v7, vcc
	v_add_u32_e32 v7, 1, v3
	v_cmp_le_u32_e32 vcc, s28, v5
	v_cndmask_b32_e32 v10, v3, v7, vcc
.LBB32_18:                              ;   in Loop: Header=BB32_14 Depth=2
	s_or_b64 exec, exec, s[0:1]
	s_add_u32 s0, s4, s30
	s_addc_u32 s1, s5, s31
	v_mul_lo_u32 v3, v10, s28
	s_load_dword s0, s[0:1], 0x6c
	s_add_i32 s16, s16, -1
	s_add_i32 s25, s25, -1
	v_sub_u32_e32 v3, v8, v3
	s_cmp_lg_u32 s25, 0
	s_waitcnt lgkmcnt(0)
	v_mad_u64_u32 v[6:7], s[0:1], s0, v3, v[6:7]
	s_cbranch_scc0 .LBB32_20
; %bb.19:                               ;   in Loop: Header=BB32_14 Depth=2
	v_mov_b32_e32 v8, v10
	v_mov_b32_e32 v9, v11
	s_branch .LBB32_14
.LBB32_20:                              ;   in Loop: Header=BB32_3 Depth=1
	v_mov_b32_e32 v8, v10
	s_mov_b32 s0, s16
	v_mov_b32_e32 v9, v11
.LBB32_21:                              ;   in Loop: Header=BB32_3 Depth=1
	s_andn2_b64 vcc, exec, s[20:21]
	s_cbranch_vccnz .LBB32_57
; %bb.22:                               ;   in Loop: Header=BB32_3 Depth=1
	s_add_i32 s30, s0, -7
.LBB32_23:                              ;   Parent Loop BB32_3 Depth=1
                                        ; =>  This Inner Loop Header: Depth=2
	s_add_i32 s16, s30, 7
	s_lshl_b64 s[34:35], s[16:17], 2
	s_add_u32 s0, s42, s34
	s_addc_u32 s1, s43, s35
	s_load_dword s25, s[0:1], 0x8
                                        ; implicit-def: $vgpr10_vgpr11
	s_waitcnt lgkmcnt(0)
	s_ashr_i32 s0, s25, 31
	v_or_b32_e32 v3, s0, v9
	v_cmp_ne_u64_e32 vcc, 0, v[2:3]
	s_and_saveexec_b64 s[36:37], vcc
	s_xor_b64 s[36:37], exec, s[36:37]
	s_cbranch_execz .LBB32_25
; %bb.24:                               ;   in Loop: Header=BB32_23 Depth=2
	s_ashr_i32 s38, s0, 31
	s_add_u32 s40, s25, s38
	s_mov_b32 s39, s38
	s_addc_u32 s41, s0, s38
	s_xor_b64 s[40:41], s[40:41], s[38:39]
	v_cvt_f32_u32_e32 v3, s40
	v_cvt_f32_u32_e32 v5, s41
	s_sub_u32 s16, 0, s40
	s_subb_u32 s28, 0, s41
	v_mac_f32_e32 v3, 0x4f800000, v5
	v_rcp_f32_e32 v3, v3
	v_mul_f32_e32 v3, 0x5f7ffffc, v3
	v_mul_f32_e32 v5, 0x2f800000, v3
	v_trunc_f32_e32 v5, v5
	v_mac_f32_e32 v3, 0xcf800000, v5
	v_cvt_u32_f32_e32 v5, v5
	v_cvt_u32_f32_e32 v3, v3
	v_readfirstlane_b32 s31, v5
	v_readfirstlane_b32 s0, v3
	s_mul_i32 s1, s16, s31
	s_mul_hi_u32 s50, s16, s0
	s_mul_i32 s39, s28, s0
	s_add_i32 s1, s50, s1
	s_add_i32 s1, s1, s39
	s_mul_i32 s51, s16, s0
	s_mul_i32 s50, s0, s1
	s_mul_hi_u32 s52, s0, s51
	s_mul_hi_u32 s39, s0, s1
	s_add_u32 s50, s52, s50
	s_addc_u32 s39, 0, s39
	s_mul_hi_u32 s53, s31, s51
	s_mul_i32 s51, s31, s51
	s_add_u32 s50, s50, s51
	s_mul_hi_u32 s52, s31, s1
	s_addc_u32 s39, s39, s53
	s_addc_u32 s50, s52, 0
	s_mul_i32 s1, s31, s1
	s_add_u32 s1, s39, s1
	s_addc_u32 s39, 0, s50
	s_add_u32 s50, s0, s1
	s_cselect_b64 s[0:1], -1, 0
	s_cmp_lg_u64 s[0:1], 0
	s_addc_u32 s31, s31, s39
	s_mul_i32 s0, s16, s31
	s_mul_hi_u32 s1, s16, s50
	s_add_i32 s0, s1, s0
	s_mul_i32 s28, s28, s50
	s_add_i32 s0, s0, s28
	s_mul_i32 s16, s16, s50
	s_mul_hi_u32 s28, s31, s16
	s_mul_i32 s39, s31, s16
	s_mul_i32 s52, s50, s0
	s_mul_hi_u32 s16, s50, s16
	s_mul_hi_u32 s51, s50, s0
	s_add_u32 s16, s16, s52
	s_addc_u32 s51, 0, s51
	s_add_u32 s16, s16, s39
	s_mul_hi_u32 s1, s31, s0
	s_addc_u32 s16, s51, s28
	s_addc_u32 s1, s1, 0
	s_mul_i32 s0, s31, s0
	s_add_u32 s0, s16, s0
	s_addc_u32 s16, 0, s1
	s_add_u32 s28, s50, s0
	s_cselect_b64 s[0:1], -1, 0
	v_ashrrev_i32_e32 v3, 31, v9
	s_cmp_lg_u64 s[0:1], 0
	v_add_co_u32_e32 v5, vcc, v8, v3
	s_addc_u32 s16, s31, s16
	v_xor_b32_e32 v5, v5, v3
	v_addc_co_u32_e32 v7, vcc, v9, v3, vcc
	v_mad_u64_u32 v[9:10], s[0:1], v5, s16, 0
	v_mul_hi_u32 v11, v5, s28
	v_xor_b32_e32 v7, v7, v3
	v_xor_b32_e32 v3, s38, v3
	v_add_co_u32_e32 v13, vcc, v11, v9
	v_addc_co_u32_e32 v14, vcc, 0, v10, vcc
	v_mad_u64_u32 v[9:10], s[0:1], v7, s28, 0
	v_mad_u64_u32 v[11:12], s[0:1], v7, s16, 0
	v_add_co_u32_e32 v9, vcc, v13, v9
	v_addc_co_u32_e32 v9, vcc, v14, v10, vcc
	v_addc_co_u32_e32 v10, vcc, 0, v12, vcc
	v_add_co_u32_e32 v11, vcc, v9, v11
	v_addc_co_u32_e32 v12, vcc, 0, v10, vcc
	v_mul_lo_u32 v13, s41, v11
	v_mul_lo_u32 v14, s40, v12
	v_mad_u64_u32 v[9:10], s[0:1], s40, v11, 0
	v_add3_u32 v10, v10, v14, v13
	v_sub_u32_e32 v13, v7, v10
	v_mov_b32_e32 v14, s41
	v_sub_co_u32_e32 v5, vcc, v5, v9
	v_subb_co_u32_e64 v9, s[0:1], v13, v14, vcc
	v_subrev_co_u32_e64 v13, s[0:1], s40, v5
	v_subbrev_co_u32_e64 v9, s[0:1], 0, v9, s[0:1]
	v_cmp_le_u32_e64 s[0:1], s41, v9
	v_cndmask_b32_e64 v14, 0, -1, s[0:1]
	v_cmp_le_u32_e64 s[0:1], s40, v13
	v_cndmask_b32_e64 v13, 0, -1, s[0:1]
	v_cmp_eq_u32_e64 s[0:1], s41, v9
	v_cndmask_b32_e64 v9, v14, v13, s[0:1]
	v_add_co_u32_e64 v13, s[0:1], 2, v11
	v_subb_co_u32_e32 v7, vcc, v7, v10, vcc
	v_addc_co_u32_e64 v14, s[0:1], 0, v12, s[0:1]
	v_cmp_le_u32_e32 vcc, s41, v7
	v_add_co_u32_e64 v15, s[0:1], 1, v11
	v_cndmask_b32_e64 v10, 0, -1, vcc
	v_cmp_le_u32_e32 vcc, s40, v5
	v_addc_co_u32_e64 v16, s[0:1], 0, v12, s[0:1]
	v_cndmask_b32_e64 v5, 0, -1, vcc
	v_cmp_eq_u32_e32 vcc, s41, v7
	v_cmp_ne_u32_e64 s[0:1], 0, v9
	v_cndmask_b32_e32 v5, v10, v5, vcc
	v_cmp_ne_u32_e32 vcc, 0, v5
	v_cndmask_b32_e64 v7, v15, v13, s[0:1]
	v_cndmask_b32_e64 v9, v16, v14, s[0:1]
	v_cndmask_b32_e32 v7, v11, v7, vcc
	v_cndmask_b32_e32 v5, v12, v9, vcc
	v_xor_b32_e32 v7, v7, v3
	v_xor_b32_e32 v5, v5, v3
	v_sub_co_u32_e32 v10, vcc, v7, v3
	v_subb_co_u32_e32 v11, vcc, v5, v3, vcc
.LBB32_25:                              ;   in Loop: Header=BB32_23 Depth=2
	s_andn2_saveexec_b64 s[0:1], s[36:37]
	s_cbranch_execz .LBB32_27
; %bb.26:                               ;   in Loop: Header=BB32_23 Depth=2
	v_cvt_f32_u32_e32 v3, s25
	s_sub_i32 s16, 0, s25
	v_mov_b32_e32 v11, v2
	v_rcp_iflag_f32_e32 v3, v3
	v_mul_f32_e32 v3, 0x4f7ffffe, v3
	v_cvt_u32_f32_e32 v3, v3
	v_mul_lo_u32 v5, s16, v3
	v_mul_hi_u32 v5, v3, v5
	v_add_u32_e32 v3, v3, v5
	v_mul_hi_u32 v3, v8, v3
	v_mul_lo_u32 v5, v3, s25
	v_add_u32_e32 v7, 1, v3
	v_sub_u32_e32 v5, v8, v5
	v_subrev_u32_e32 v9, s25, v5
	v_cmp_le_u32_e32 vcc, s25, v5
	v_cndmask_b32_e32 v5, v5, v9, vcc
	v_cndmask_b32_e32 v3, v3, v7, vcc
	v_add_u32_e32 v7, 1, v3
	v_cmp_le_u32_e32 vcc, s25, v5
	v_cndmask_b32_e32 v10, v3, v7, vcc
.LBB32_27:                              ;   in Loop: Header=BB32_23 Depth=2
	s_or_b64 exec, exec, s[0:1]
	s_add_u32 s0, s4, s34
	s_addc_u32 s1, s5, s35
	s_add_i32 s16, s30, 6
	s_lshl_b64 s[34:35], s[16:17], 2
	s_add_u32 s36, s42, s34
	s_addc_u32 s37, s43, s35
	s_load_dword s50, s[36:37], 0x8
	s_load_dword s28, s[0:1], 0x6c
                                        ; implicit-def: $vgpr12_vgpr13
	s_waitcnt lgkmcnt(0)
	s_ashr_i32 s0, s50, 31
	v_or_b32_e32 v3, s0, v11
	v_cmp_ne_u64_e32 vcc, 0, v[2:3]
	s_and_saveexec_b64 s[36:37], vcc
	s_xor_b64 s[36:37], exec, s[36:37]
	s_cbranch_execz .LBB32_29
; %bb.28:                               ;   in Loop: Header=BB32_23 Depth=2
	s_ashr_i32 s38, s0, 31
	s_add_u32 s40, s50, s38
	s_mov_b32 s39, s38
	s_addc_u32 s41, s0, s38
	s_xor_b64 s[40:41], s[40:41], s[38:39]
	v_cvt_f32_u32_e32 v3, s40
	v_cvt_f32_u32_e32 v5, s41
	s_sub_u32 s16, 0, s40
	s_subb_u32 s31, 0, s41
	v_mac_f32_e32 v3, 0x4f800000, v5
	v_rcp_f32_e32 v3, v3
	v_mul_f32_e32 v3, 0x5f7ffffc, v3
	v_mul_f32_e32 v5, 0x2f800000, v3
	v_trunc_f32_e32 v5, v5
	v_mac_f32_e32 v3, 0xcf800000, v5
	v_cvt_u32_f32_e32 v5, v5
	v_cvt_u32_f32_e32 v3, v3
	v_readfirstlane_b32 s39, v5
	v_readfirstlane_b32 s0, v3
	s_mul_i32 s1, s16, s39
	s_mul_hi_u32 s52, s16, s0
	s_mul_i32 s51, s31, s0
	s_add_i32 s1, s52, s1
	s_add_i32 s1, s1, s51
	s_mul_i32 s53, s16, s0
	s_mul_i32 s52, s0, s1
	s_mul_hi_u32 s54, s0, s53
	s_mul_hi_u32 s51, s0, s1
	s_add_u32 s52, s54, s52
	s_addc_u32 s51, 0, s51
	s_mul_hi_u32 s55, s39, s53
	s_mul_i32 s53, s39, s53
	s_add_u32 s52, s52, s53
	s_mul_hi_u32 s54, s39, s1
	s_addc_u32 s51, s51, s55
	s_addc_u32 s52, s54, 0
	s_mul_i32 s1, s39, s1
	s_add_u32 s1, s51, s1
	s_addc_u32 s51, 0, s52
	s_add_u32 s52, s0, s1
	s_cselect_b64 s[0:1], -1, 0
	s_cmp_lg_u64 s[0:1], 0
	s_addc_u32 s39, s39, s51
	s_mul_i32 s0, s16, s39
	s_mul_hi_u32 s1, s16, s52
	s_add_i32 s0, s1, s0
	s_mul_i32 s31, s31, s52
	s_add_i32 s0, s0, s31
	s_mul_i32 s16, s16, s52
	s_mul_hi_u32 s31, s39, s16
	s_mul_i32 s51, s39, s16
	s_mul_i32 s54, s52, s0
	s_mul_hi_u32 s16, s52, s16
	s_mul_hi_u32 s53, s52, s0
	s_add_u32 s16, s16, s54
	s_addc_u32 s53, 0, s53
	s_add_u32 s16, s16, s51
	s_mul_hi_u32 s1, s39, s0
	s_addc_u32 s16, s53, s31
	s_addc_u32 s1, s1, 0
	s_mul_i32 s0, s39, s0
	s_add_u32 s0, s16, s0
	s_addc_u32 s16, 0, s1
	s_add_u32 s31, s52, s0
	s_cselect_b64 s[0:1], -1, 0
	v_ashrrev_i32_e32 v3, 31, v11
	s_cmp_lg_u64 s[0:1], 0
	v_add_co_u32_e32 v5, vcc, v10, v3
	s_addc_u32 s16, s39, s16
	v_xor_b32_e32 v5, v5, v3
	v_addc_co_u32_e32 v7, vcc, v11, v3, vcc
	v_mad_u64_u32 v[11:12], s[0:1], v5, s16, 0
	v_mul_hi_u32 v9, v5, s31
	v_xor_b32_e32 v7, v7, v3
	v_mad_u64_u32 v[13:14], s[0:1], v7, s16, 0
	v_add_co_u32_e32 v9, vcc, v9, v11
	v_addc_co_u32_e32 v15, vcc, 0, v12, vcc
	v_mad_u64_u32 v[11:12], s[0:1], v7, s31, 0
	v_xor_b32_e32 v3, s38, v3
	v_add_co_u32_e32 v9, vcc, v9, v11
	v_addc_co_u32_e32 v9, vcc, v15, v12, vcc
	v_addc_co_u32_e32 v11, vcc, 0, v14, vcc
	v_add_co_u32_e32 v9, vcc, v9, v13
	v_addc_co_u32_e32 v13, vcc, 0, v11, vcc
	v_mul_lo_u32 v14, s41, v9
	v_mul_lo_u32 v15, s40, v13
	v_mad_u64_u32 v[11:12], s[0:1], s40, v9, 0
	v_add3_u32 v12, v12, v15, v14
	v_sub_u32_e32 v14, v7, v12
	v_mov_b32_e32 v15, s41
	v_sub_co_u32_e32 v5, vcc, v5, v11
	v_subb_co_u32_e64 v11, s[0:1], v14, v15, vcc
	v_subrev_co_u32_e64 v14, s[0:1], s40, v5
	v_subbrev_co_u32_e64 v11, s[0:1], 0, v11, s[0:1]
	v_cmp_le_u32_e64 s[0:1], s41, v11
	v_cndmask_b32_e64 v15, 0, -1, s[0:1]
	v_cmp_le_u32_e64 s[0:1], s40, v14
	v_cndmask_b32_e64 v14, 0, -1, s[0:1]
	v_cmp_eq_u32_e64 s[0:1], s41, v11
	v_cndmask_b32_e64 v11, v15, v14, s[0:1]
	v_add_co_u32_e64 v14, s[0:1], 2, v9
	v_subb_co_u32_e32 v7, vcc, v7, v12, vcc
	v_addc_co_u32_e64 v15, s[0:1], 0, v13, s[0:1]
	v_cmp_le_u32_e32 vcc, s41, v7
	v_add_co_u32_e64 v16, s[0:1], 1, v9
	v_cndmask_b32_e64 v12, 0, -1, vcc
	v_cmp_le_u32_e32 vcc, s40, v5
	v_addc_co_u32_e64 v17, s[0:1], 0, v13, s[0:1]
	v_cndmask_b32_e64 v5, 0, -1, vcc
	v_cmp_eq_u32_e32 vcc, s41, v7
	v_cmp_ne_u32_e64 s[0:1], 0, v11
	v_cndmask_b32_e32 v5, v12, v5, vcc
	v_cmp_ne_u32_e32 vcc, 0, v5
	v_cndmask_b32_e64 v7, v16, v14, s[0:1]
	v_cndmask_b32_e64 v11, v17, v15, s[0:1]
	v_cndmask_b32_e32 v7, v9, v7, vcc
	v_cndmask_b32_e32 v5, v13, v11, vcc
	v_xor_b32_e32 v7, v7, v3
	v_xor_b32_e32 v5, v5, v3
	v_sub_co_u32_e32 v12, vcc, v7, v3
	v_subb_co_u32_e32 v13, vcc, v5, v3, vcc
.LBB32_29:                              ;   in Loop: Header=BB32_23 Depth=2
	s_andn2_saveexec_b64 s[0:1], s[36:37]
	s_cbranch_execz .LBB32_31
; %bb.30:                               ;   in Loop: Header=BB32_23 Depth=2
	v_cvt_f32_u32_e32 v3, s50
	s_sub_i32 s16, 0, s50
	v_mov_b32_e32 v13, v2
	v_rcp_iflag_f32_e32 v3, v3
	v_mul_f32_e32 v3, 0x4f7ffffe, v3
	v_cvt_u32_f32_e32 v3, v3
	v_mul_lo_u32 v5, s16, v3
	v_mul_hi_u32 v5, v3, v5
	v_add_u32_e32 v3, v3, v5
	v_mul_hi_u32 v3, v10, v3
	v_mul_lo_u32 v5, v3, s50
	v_add_u32_e32 v7, 1, v3
	v_sub_u32_e32 v5, v10, v5
	v_subrev_u32_e32 v9, s50, v5
	v_cmp_le_u32_e32 vcc, s50, v5
	v_cndmask_b32_e32 v5, v5, v9, vcc
	v_cndmask_b32_e32 v3, v3, v7, vcc
	v_add_u32_e32 v7, 1, v3
	v_cmp_le_u32_e32 vcc, s50, v5
	v_cndmask_b32_e32 v12, v3, v7, vcc
.LBB32_31:                              ;   in Loop: Header=BB32_23 Depth=2
	s_or_b64 exec, exec, s[0:1]
	s_add_u32 s0, s4, s34
	s_addc_u32 s1, s5, s35
	s_add_i32 s16, s30, 5
	s_lshl_b64 s[34:35], s[16:17], 2
	s_add_u32 s36, s42, s34
	s_addc_u32 s37, s43, s35
	s_load_dword s52, s[36:37], 0x8
	s_load_dword s51, s[0:1], 0x6c
                                        ; implicit-def: $vgpr14_vgpr15
	s_waitcnt lgkmcnt(0)
	s_ashr_i32 s0, s52, 31
	v_or_b32_e32 v3, s0, v13
	v_cmp_ne_u64_e32 vcc, 0, v[2:3]
	s_and_saveexec_b64 s[36:37], vcc
	s_xor_b64 s[36:37], exec, s[36:37]
	s_cbranch_execz .LBB32_33
; %bb.32:                               ;   in Loop: Header=BB32_23 Depth=2
	s_ashr_i32 s38, s0, 31
	s_add_u32 s40, s52, s38
	s_mov_b32 s39, s38
	s_addc_u32 s41, s0, s38
	s_xor_b64 s[40:41], s[40:41], s[38:39]
	v_cvt_f32_u32_e32 v3, s40
	v_cvt_f32_u32_e32 v5, s41
	s_sub_u32 s16, 0, s40
	s_subb_u32 s31, 0, s41
	v_mac_f32_e32 v3, 0x4f800000, v5
	v_rcp_f32_e32 v3, v3
	v_mul_f32_e32 v3, 0x5f7ffffc, v3
	v_mul_f32_e32 v5, 0x2f800000, v3
	v_trunc_f32_e32 v5, v5
	v_mac_f32_e32 v3, 0xcf800000, v5
	v_cvt_u32_f32_e32 v5, v5
	v_cvt_u32_f32_e32 v3, v3
	v_readfirstlane_b32 s39, v5
	v_readfirstlane_b32 s0, v3
	s_mul_i32 s1, s16, s39
	s_mul_hi_u32 s54, s16, s0
	s_mul_i32 s53, s31, s0
	s_add_i32 s1, s54, s1
	s_add_i32 s1, s1, s53
	s_mul_i32 s55, s16, s0
	s_mul_i32 s54, s0, s1
	s_mul_hi_u32 s56, s0, s55
	s_mul_hi_u32 s53, s0, s1
	s_add_u32 s54, s56, s54
	s_addc_u32 s53, 0, s53
	s_mul_hi_u32 s57, s39, s55
	s_mul_i32 s55, s39, s55
	s_add_u32 s54, s54, s55
	s_mul_hi_u32 s56, s39, s1
	s_addc_u32 s53, s53, s57
	s_addc_u32 s54, s56, 0
	s_mul_i32 s1, s39, s1
	s_add_u32 s1, s53, s1
	s_addc_u32 s53, 0, s54
	s_add_u32 s54, s0, s1
	s_cselect_b64 s[0:1], -1, 0
	s_cmp_lg_u64 s[0:1], 0
	s_addc_u32 s39, s39, s53
	s_mul_i32 s0, s16, s39
	s_mul_hi_u32 s1, s16, s54
	s_add_i32 s0, s1, s0
	s_mul_i32 s31, s31, s54
	s_add_i32 s0, s0, s31
	s_mul_i32 s16, s16, s54
	s_mul_hi_u32 s31, s39, s16
	s_mul_i32 s53, s39, s16
	s_mul_i32 s56, s54, s0
	s_mul_hi_u32 s16, s54, s16
	s_mul_hi_u32 s55, s54, s0
	s_add_u32 s16, s16, s56
	s_addc_u32 s55, 0, s55
	s_add_u32 s16, s16, s53
	s_mul_hi_u32 s1, s39, s0
	s_addc_u32 s16, s55, s31
	s_addc_u32 s1, s1, 0
	s_mul_i32 s0, s39, s0
	s_add_u32 s0, s16, s0
	s_addc_u32 s16, 0, s1
	s_add_u32 s31, s54, s0
	s_cselect_b64 s[0:1], -1, 0
	v_ashrrev_i32_e32 v3, 31, v13
	s_cmp_lg_u64 s[0:1], 0
	v_add_co_u32_e32 v5, vcc, v12, v3
	s_addc_u32 s16, s39, s16
	v_xor_b32_e32 v5, v5, v3
	v_addc_co_u32_e32 v7, vcc, v13, v3, vcc
	v_mad_u64_u32 v[13:14], s[0:1], v5, s16, 0
	v_mul_hi_u32 v9, v5, s31
	v_xor_b32_e32 v7, v7, v3
	v_mad_u64_u32 v[15:16], s[0:1], v7, s16, 0
	v_add_co_u32_e32 v9, vcc, v9, v13
	v_addc_co_u32_e32 v11, vcc, 0, v14, vcc
	v_mad_u64_u32 v[13:14], s[0:1], v7, s31, 0
	v_xor_b32_e32 v3, s38, v3
	v_add_co_u32_e32 v9, vcc, v9, v13
	v_addc_co_u32_e32 v9, vcc, v11, v14, vcc
	v_addc_co_u32_e32 v11, vcc, 0, v16, vcc
	v_add_co_u32_e32 v9, vcc, v9, v15
	v_addc_co_u32_e32 v11, vcc, 0, v11, vcc
	v_mul_lo_u32 v15, s41, v9
	v_mul_lo_u32 v16, s40, v11
	v_mad_u64_u32 v[13:14], s[0:1], s40, v9, 0
	v_add3_u32 v14, v14, v16, v15
	v_sub_u32_e32 v15, v7, v14
	v_mov_b32_e32 v16, s41
	v_sub_co_u32_e32 v5, vcc, v5, v13
	v_subb_co_u32_e64 v13, s[0:1], v15, v16, vcc
	v_subrev_co_u32_e64 v15, s[0:1], s40, v5
	v_subbrev_co_u32_e64 v13, s[0:1], 0, v13, s[0:1]
	v_cmp_le_u32_e64 s[0:1], s41, v13
	v_cndmask_b32_e64 v16, 0, -1, s[0:1]
	v_cmp_le_u32_e64 s[0:1], s40, v15
	v_cndmask_b32_e64 v15, 0, -1, s[0:1]
	v_cmp_eq_u32_e64 s[0:1], s41, v13
	v_cndmask_b32_e64 v13, v16, v15, s[0:1]
	v_add_co_u32_e64 v15, s[0:1], 2, v9
	v_subb_co_u32_e32 v7, vcc, v7, v14, vcc
	v_addc_co_u32_e64 v16, s[0:1], 0, v11, s[0:1]
	v_cmp_le_u32_e32 vcc, s41, v7
	v_add_co_u32_e64 v17, s[0:1], 1, v9
	v_cndmask_b32_e64 v14, 0, -1, vcc
	v_cmp_le_u32_e32 vcc, s40, v5
	v_addc_co_u32_e64 v18, s[0:1], 0, v11, s[0:1]
	v_cndmask_b32_e64 v5, 0, -1, vcc
	v_cmp_eq_u32_e32 vcc, s41, v7
	v_cmp_ne_u32_e64 s[0:1], 0, v13
	v_cndmask_b32_e32 v5, v14, v5, vcc
	v_cmp_ne_u32_e32 vcc, 0, v5
	v_cndmask_b32_e64 v7, v17, v15, s[0:1]
	v_cndmask_b32_e64 v13, v18, v16, s[0:1]
	v_cndmask_b32_e32 v7, v9, v7, vcc
	v_cndmask_b32_e32 v5, v11, v13, vcc
	v_xor_b32_e32 v7, v7, v3
	v_xor_b32_e32 v5, v5, v3
	v_sub_co_u32_e32 v14, vcc, v7, v3
	v_subb_co_u32_e32 v15, vcc, v5, v3, vcc
.LBB32_33:                              ;   in Loop: Header=BB32_23 Depth=2
	s_andn2_saveexec_b64 s[0:1], s[36:37]
	s_cbranch_execz .LBB32_35
; %bb.34:                               ;   in Loop: Header=BB32_23 Depth=2
	v_cvt_f32_u32_e32 v3, s52
	s_sub_i32 s16, 0, s52
	v_mov_b32_e32 v15, v2
	v_rcp_iflag_f32_e32 v3, v3
	v_mul_f32_e32 v3, 0x4f7ffffe, v3
	v_cvt_u32_f32_e32 v3, v3
	v_mul_lo_u32 v5, s16, v3
	v_mul_hi_u32 v5, v3, v5
	v_add_u32_e32 v3, v3, v5
	v_mul_hi_u32 v3, v12, v3
	v_mul_lo_u32 v5, v3, s52
	v_add_u32_e32 v7, 1, v3
	v_sub_u32_e32 v5, v12, v5
	v_subrev_u32_e32 v9, s52, v5
	v_cmp_le_u32_e32 vcc, s52, v5
	v_cndmask_b32_e32 v5, v5, v9, vcc
	v_cndmask_b32_e32 v3, v3, v7, vcc
	v_add_u32_e32 v7, 1, v3
	v_cmp_le_u32_e32 vcc, s52, v5
	v_cndmask_b32_e32 v14, v3, v7, vcc
.LBB32_35:                              ;   in Loop: Header=BB32_23 Depth=2
	s_or_b64 exec, exec, s[0:1]
	s_add_u32 s0, s4, s34
	s_addc_u32 s1, s5, s35
	s_add_i32 s16, s30, 4
	s_lshl_b64 s[34:35], s[16:17], 2
	s_add_u32 s36, s42, s34
	s_addc_u32 s37, s43, s35
	s_load_dword s54, s[36:37], 0x8
	s_load_dword s53, s[0:1], 0x6c
                                        ; implicit-def: $vgpr16_vgpr17
	s_waitcnt lgkmcnt(0)
	s_ashr_i32 s0, s54, 31
	v_or_b32_e32 v3, s0, v15
	v_cmp_ne_u64_e32 vcc, 0, v[2:3]
	s_and_saveexec_b64 s[36:37], vcc
	s_xor_b64 s[36:37], exec, s[36:37]
	s_cbranch_execz .LBB32_37
; %bb.36:                               ;   in Loop: Header=BB32_23 Depth=2
	s_ashr_i32 s38, s0, 31
	s_add_u32 s40, s54, s38
	s_mov_b32 s39, s38
	s_addc_u32 s41, s0, s38
	s_xor_b64 s[40:41], s[40:41], s[38:39]
	v_cvt_f32_u32_e32 v3, s40
	v_cvt_f32_u32_e32 v5, s41
	s_sub_u32 s16, 0, s40
	s_subb_u32 s31, 0, s41
	v_mac_f32_e32 v3, 0x4f800000, v5
	v_rcp_f32_e32 v3, v3
	v_mul_f32_e32 v3, 0x5f7ffffc, v3
	v_mul_f32_e32 v5, 0x2f800000, v3
	v_trunc_f32_e32 v5, v5
	v_mac_f32_e32 v3, 0xcf800000, v5
	v_cvt_u32_f32_e32 v5, v5
	v_cvt_u32_f32_e32 v3, v3
	v_readfirstlane_b32 s39, v5
	v_readfirstlane_b32 s0, v3
	s_mul_i32 s1, s16, s39
	s_mul_hi_u32 s56, s16, s0
	s_mul_i32 s55, s31, s0
	s_add_i32 s1, s56, s1
	s_add_i32 s1, s1, s55
	s_mul_i32 s57, s16, s0
	s_mul_i32 s56, s0, s1
	s_mul_hi_u32 s58, s0, s57
	s_mul_hi_u32 s55, s0, s1
	s_add_u32 s56, s58, s56
	s_addc_u32 s55, 0, s55
	s_mul_hi_u32 s59, s39, s57
	s_mul_i32 s57, s39, s57
	s_add_u32 s56, s56, s57
	s_mul_hi_u32 s58, s39, s1
	s_addc_u32 s55, s55, s59
	s_addc_u32 s56, s58, 0
	s_mul_i32 s1, s39, s1
	s_add_u32 s1, s55, s1
	s_addc_u32 s55, 0, s56
	s_add_u32 s56, s0, s1
	s_cselect_b64 s[0:1], -1, 0
	s_cmp_lg_u64 s[0:1], 0
	s_addc_u32 s39, s39, s55
	s_mul_i32 s0, s16, s39
	s_mul_hi_u32 s1, s16, s56
	s_add_i32 s0, s1, s0
	s_mul_i32 s31, s31, s56
	s_add_i32 s0, s0, s31
	s_mul_i32 s16, s16, s56
	s_mul_hi_u32 s31, s39, s16
	s_mul_i32 s55, s39, s16
	s_mul_i32 s58, s56, s0
	s_mul_hi_u32 s16, s56, s16
	s_mul_hi_u32 s57, s56, s0
	s_add_u32 s16, s16, s58
	s_addc_u32 s57, 0, s57
	s_add_u32 s16, s16, s55
	s_mul_hi_u32 s1, s39, s0
	s_addc_u32 s16, s57, s31
	s_addc_u32 s1, s1, 0
	s_mul_i32 s0, s39, s0
	s_add_u32 s0, s16, s0
	s_addc_u32 s16, 0, s1
	s_add_u32 s31, s56, s0
	s_cselect_b64 s[0:1], -1, 0
	v_ashrrev_i32_e32 v3, 31, v15
	s_cmp_lg_u64 s[0:1], 0
	v_add_co_u32_e32 v5, vcc, v14, v3
	s_addc_u32 s16, s39, s16
	v_xor_b32_e32 v5, v5, v3
	v_addc_co_u32_e32 v7, vcc, v15, v3, vcc
	v_mad_u64_u32 v[15:16], s[0:1], v5, s16, 0
	v_mul_hi_u32 v9, v5, s31
	v_xor_b32_e32 v7, v7, v3
	v_mad_u64_u32 v[17:18], s[0:1], v7, s16, 0
	v_add_co_u32_e32 v9, vcc, v9, v15
	v_addc_co_u32_e32 v11, vcc, 0, v16, vcc
	v_mad_u64_u32 v[15:16], s[0:1], v7, s31, 0
	v_xor_b32_e32 v3, s38, v3
	v_add_co_u32_e32 v9, vcc, v9, v15
	v_addc_co_u32_e32 v9, vcc, v11, v16, vcc
	v_addc_co_u32_e32 v11, vcc, 0, v18, vcc
	v_add_co_u32_e32 v9, vcc, v9, v17
	v_addc_co_u32_e32 v11, vcc, 0, v11, vcc
	v_mul_lo_u32 v13, s41, v9
	v_mul_lo_u32 v17, s40, v11
	v_mad_u64_u32 v[15:16], s[0:1], s40, v9, 0
	v_add3_u32 v13, v16, v17, v13
	v_sub_u32_e32 v16, v7, v13
	v_mov_b32_e32 v17, s41
	v_sub_co_u32_e32 v5, vcc, v5, v15
	v_subb_co_u32_e64 v15, s[0:1], v16, v17, vcc
	v_subrev_co_u32_e64 v16, s[0:1], s40, v5
	v_subbrev_co_u32_e64 v15, s[0:1], 0, v15, s[0:1]
	v_cmp_le_u32_e64 s[0:1], s41, v15
	v_cndmask_b32_e64 v17, 0, -1, s[0:1]
	v_cmp_le_u32_e64 s[0:1], s40, v16
	v_cndmask_b32_e64 v16, 0, -1, s[0:1]
	v_cmp_eq_u32_e64 s[0:1], s41, v15
	v_cndmask_b32_e64 v15, v17, v16, s[0:1]
	v_add_co_u32_e64 v16, s[0:1], 2, v9
	v_subb_co_u32_e32 v7, vcc, v7, v13, vcc
	v_addc_co_u32_e64 v17, s[0:1], 0, v11, s[0:1]
	v_cmp_le_u32_e32 vcc, s41, v7
	v_add_co_u32_e64 v18, s[0:1], 1, v9
	v_cndmask_b32_e64 v13, 0, -1, vcc
	v_cmp_le_u32_e32 vcc, s40, v5
	v_addc_co_u32_e64 v19, s[0:1], 0, v11, s[0:1]
	v_cndmask_b32_e64 v5, 0, -1, vcc
	v_cmp_eq_u32_e32 vcc, s41, v7
	v_cmp_ne_u32_e64 s[0:1], 0, v15
	v_cndmask_b32_e32 v5, v13, v5, vcc
	v_cmp_ne_u32_e32 vcc, 0, v5
	v_cndmask_b32_e64 v7, v18, v16, s[0:1]
	v_cndmask_b32_e64 v15, v19, v17, s[0:1]
	v_cndmask_b32_e32 v7, v9, v7, vcc
	v_cndmask_b32_e32 v5, v11, v15, vcc
	v_xor_b32_e32 v7, v7, v3
	v_xor_b32_e32 v5, v5, v3
	v_sub_co_u32_e32 v16, vcc, v7, v3
	v_subb_co_u32_e32 v17, vcc, v5, v3, vcc
.LBB32_37:                              ;   in Loop: Header=BB32_23 Depth=2
	s_andn2_saveexec_b64 s[0:1], s[36:37]
	s_cbranch_execz .LBB32_39
; %bb.38:                               ;   in Loop: Header=BB32_23 Depth=2
	v_cvt_f32_u32_e32 v3, s54
	s_sub_i32 s16, 0, s54
	v_mov_b32_e32 v17, v2
	v_rcp_iflag_f32_e32 v3, v3
	v_mul_f32_e32 v3, 0x4f7ffffe, v3
	v_cvt_u32_f32_e32 v3, v3
	v_mul_lo_u32 v5, s16, v3
	v_mul_hi_u32 v5, v3, v5
	v_add_u32_e32 v3, v3, v5
	v_mul_hi_u32 v3, v14, v3
	v_mul_lo_u32 v5, v3, s54
	v_add_u32_e32 v7, 1, v3
	v_sub_u32_e32 v5, v14, v5
	v_subrev_u32_e32 v9, s54, v5
	v_cmp_le_u32_e32 vcc, s54, v5
	v_cndmask_b32_e32 v5, v5, v9, vcc
	v_cndmask_b32_e32 v3, v3, v7, vcc
	v_add_u32_e32 v7, 1, v3
	v_cmp_le_u32_e32 vcc, s54, v5
	v_cndmask_b32_e32 v16, v3, v7, vcc
.LBB32_39:                              ;   in Loop: Header=BB32_23 Depth=2
	s_or_b64 exec, exec, s[0:1]
	s_add_u32 s0, s4, s34
	s_addc_u32 s1, s5, s35
	s_add_i32 s16, s30, 3
	s_lshl_b64 s[34:35], s[16:17], 2
	s_add_u32 s36, s42, s34
	s_addc_u32 s37, s43, s35
	s_load_dword s55, s[36:37], 0x8
	s_load_dword s56, s[0:1], 0x6c
                                        ; implicit-def: $vgpr18_vgpr19
	s_waitcnt lgkmcnt(0)
	s_ashr_i32 s0, s55, 31
	v_or_b32_e32 v3, s0, v17
	v_cmp_ne_u64_e32 vcc, 0, v[2:3]
	s_and_saveexec_b64 s[36:37], vcc
	s_xor_b64 s[36:37], exec, s[36:37]
	s_cbranch_execz .LBB32_41
; %bb.40:                               ;   in Loop: Header=BB32_23 Depth=2
	s_ashr_i32 s38, s0, 31
	s_add_u32 s40, s55, s38
	s_mov_b32 s39, s38
	s_addc_u32 s41, s0, s38
	s_xor_b64 s[40:41], s[40:41], s[38:39]
	v_cvt_f32_u32_e32 v3, s40
	v_cvt_f32_u32_e32 v5, s41
	s_sub_u32 s16, 0, s40
	s_subb_u32 s31, 0, s41
	v_mac_f32_e32 v3, 0x4f800000, v5
	v_rcp_f32_e32 v3, v3
	v_mul_f32_e32 v3, 0x5f7ffffc, v3
	v_mul_f32_e32 v5, 0x2f800000, v3
	v_trunc_f32_e32 v5, v5
	v_mac_f32_e32 v3, 0xcf800000, v5
	v_cvt_u32_f32_e32 v5, v5
	v_cvt_u32_f32_e32 v3, v3
	v_readfirstlane_b32 s39, v5
	v_readfirstlane_b32 s0, v3
	s_mul_i32 s1, s16, s39
	s_mul_hi_u32 s58, s16, s0
	s_mul_i32 s57, s31, s0
	s_add_i32 s1, s58, s1
	s_add_i32 s1, s1, s57
	s_mul_i32 s59, s16, s0
	s_mul_i32 s58, s0, s1
	s_mul_hi_u32 s60, s0, s59
	s_mul_hi_u32 s57, s0, s1
	s_add_u32 s58, s60, s58
	s_addc_u32 s57, 0, s57
	s_mul_hi_u32 s61, s39, s59
	s_mul_i32 s59, s39, s59
	s_add_u32 s58, s58, s59
	s_mul_hi_u32 s60, s39, s1
	s_addc_u32 s57, s57, s61
	s_addc_u32 s58, s60, 0
	s_mul_i32 s1, s39, s1
	s_add_u32 s1, s57, s1
	s_addc_u32 s57, 0, s58
	s_add_u32 s58, s0, s1
	s_cselect_b64 s[0:1], -1, 0
	s_cmp_lg_u64 s[0:1], 0
	s_addc_u32 s39, s39, s57
	s_mul_i32 s0, s16, s39
	s_mul_hi_u32 s1, s16, s58
	s_add_i32 s0, s1, s0
	s_mul_i32 s31, s31, s58
	s_add_i32 s0, s0, s31
	s_mul_i32 s16, s16, s58
	s_mul_hi_u32 s31, s39, s16
	s_mul_i32 s57, s39, s16
	s_mul_i32 s60, s58, s0
	s_mul_hi_u32 s16, s58, s16
	s_mul_hi_u32 s59, s58, s0
	s_add_u32 s16, s16, s60
	s_addc_u32 s59, 0, s59
	s_add_u32 s16, s16, s57
	s_mul_hi_u32 s1, s39, s0
	s_addc_u32 s16, s59, s31
	s_addc_u32 s1, s1, 0
	s_mul_i32 s0, s39, s0
	s_add_u32 s0, s16, s0
	s_addc_u32 s16, 0, s1
	s_add_u32 s31, s58, s0
	s_cselect_b64 s[0:1], -1, 0
	v_ashrrev_i32_e32 v3, 31, v17
	s_cmp_lg_u64 s[0:1], 0
	v_add_co_u32_e32 v5, vcc, v16, v3
	s_addc_u32 s16, s39, s16
	v_xor_b32_e32 v5, v5, v3
	v_addc_co_u32_e32 v7, vcc, v17, v3, vcc
	v_mad_u64_u32 v[17:18], s[0:1], v5, s16, 0
	v_mul_hi_u32 v9, v5, s31
	v_xor_b32_e32 v7, v7, v3
	v_mad_u64_u32 v[19:20], s[0:1], v7, s16, 0
	v_add_co_u32_e32 v9, vcc, v9, v17
	v_addc_co_u32_e32 v11, vcc, 0, v18, vcc
	v_mad_u64_u32 v[17:18], s[0:1], v7, s31, 0
	v_xor_b32_e32 v3, s38, v3
	v_add_co_u32_e32 v9, vcc, v9, v17
	v_addc_co_u32_e32 v9, vcc, v11, v18, vcc
	v_addc_co_u32_e32 v11, vcc, 0, v20, vcc
	v_add_co_u32_e32 v9, vcc, v9, v19
	v_addc_co_u32_e32 v11, vcc, 0, v11, vcc
	v_mul_lo_u32 v13, s41, v9
	v_mul_lo_u32 v15, s40, v11
	v_mad_u64_u32 v[17:18], s[0:1], s40, v9, 0
	v_add3_u32 v13, v18, v15, v13
	v_sub_u32_e32 v15, v7, v13
	v_mov_b32_e32 v18, s41
	v_sub_co_u32_e32 v5, vcc, v5, v17
	v_subb_co_u32_e64 v15, s[0:1], v15, v18, vcc
	v_subrev_co_u32_e64 v17, s[0:1], s40, v5
	v_subbrev_co_u32_e64 v15, s[0:1], 0, v15, s[0:1]
	v_cmp_le_u32_e64 s[0:1], s41, v15
	v_cndmask_b32_e64 v18, 0, -1, s[0:1]
	v_cmp_le_u32_e64 s[0:1], s40, v17
	v_cndmask_b32_e64 v17, 0, -1, s[0:1]
	v_cmp_eq_u32_e64 s[0:1], s41, v15
	v_cndmask_b32_e64 v15, v18, v17, s[0:1]
	v_add_co_u32_e64 v17, s[0:1], 2, v9
	v_subb_co_u32_e32 v7, vcc, v7, v13, vcc
	v_addc_co_u32_e64 v18, s[0:1], 0, v11, s[0:1]
	v_cmp_le_u32_e32 vcc, s41, v7
	v_add_co_u32_e64 v19, s[0:1], 1, v9
	v_cndmask_b32_e64 v13, 0, -1, vcc
	v_cmp_le_u32_e32 vcc, s40, v5
	v_addc_co_u32_e64 v20, s[0:1], 0, v11, s[0:1]
	v_cndmask_b32_e64 v5, 0, -1, vcc
	v_cmp_eq_u32_e32 vcc, s41, v7
	v_cmp_ne_u32_e64 s[0:1], 0, v15
	v_cndmask_b32_e32 v5, v13, v5, vcc
	v_cmp_ne_u32_e32 vcc, 0, v5
	v_cndmask_b32_e64 v7, v19, v17, s[0:1]
	v_cndmask_b32_e64 v15, v20, v18, s[0:1]
	v_cndmask_b32_e32 v7, v9, v7, vcc
	v_cndmask_b32_e32 v5, v11, v15, vcc
	v_xor_b32_e32 v7, v7, v3
	v_xor_b32_e32 v5, v5, v3
	v_sub_co_u32_e32 v18, vcc, v7, v3
	v_subb_co_u32_e32 v19, vcc, v5, v3, vcc
.LBB32_41:                              ;   in Loop: Header=BB32_23 Depth=2
	s_andn2_saveexec_b64 s[0:1], s[36:37]
	s_cbranch_execz .LBB32_43
; %bb.42:                               ;   in Loop: Header=BB32_23 Depth=2
	v_cvt_f32_u32_e32 v3, s55
	s_sub_i32 s16, 0, s55
	v_mov_b32_e32 v19, v2
	v_rcp_iflag_f32_e32 v3, v3
	v_mul_f32_e32 v3, 0x4f7ffffe, v3
	v_cvt_u32_f32_e32 v3, v3
	v_mul_lo_u32 v5, s16, v3
	v_mul_hi_u32 v5, v3, v5
	v_add_u32_e32 v3, v3, v5
	v_mul_hi_u32 v3, v16, v3
	v_mul_lo_u32 v5, v3, s55
	v_add_u32_e32 v7, 1, v3
	v_sub_u32_e32 v5, v16, v5
	v_subrev_u32_e32 v9, s55, v5
	v_cmp_le_u32_e32 vcc, s55, v5
	v_cndmask_b32_e32 v5, v5, v9, vcc
	v_cndmask_b32_e32 v3, v3, v7, vcc
	v_add_u32_e32 v7, 1, v3
	v_cmp_le_u32_e32 vcc, s55, v5
	v_cndmask_b32_e32 v18, v3, v7, vcc
.LBB32_43:                              ;   in Loop: Header=BB32_23 Depth=2
	s_or_b64 exec, exec, s[0:1]
	s_add_u32 s0, s4, s34
	s_addc_u32 s1, s5, s35
	s_add_i32 s16, s30, 2
	s_lshl_b64 s[34:35], s[16:17], 2
	s_add_u32 s36, s42, s34
	s_addc_u32 s37, s43, s35
	s_load_dword s58, s[36:37], 0x8
	s_load_dword s57, s[0:1], 0x6c
                                        ; implicit-def: $vgpr20_vgpr21
	s_waitcnt lgkmcnt(0)
	s_ashr_i32 s0, s58, 31
	v_or_b32_e32 v3, s0, v19
	v_cmp_ne_u64_e32 vcc, 0, v[2:3]
	s_and_saveexec_b64 s[36:37], vcc
	s_xor_b64 s[36:37], exec, s[36:37]
	s_cbranch_execz .LBB32_45
; %bb.44:                               ;   in Loop: Header=BB32_23 Depth=2
	s_ashr_i32 s38, s0, 31
	s_add_u32 s40, s58, s38
	s_mov_b32 s39, s38
	s_addc_u32 s41, s0, s38
	s_xor_b64 s[40:41], s[40:41], s[38:39]
	v_cvt_f32_u32_e32 v3, s40
	v_cvt_f32_u32_e32 v5, s41
	s_sub_u32 s16, 0, s40
	s_subb_u32 s31, 0, s41
	v_mov_b32_e32 v17, s41
	v_mac_f32_e32 v3, 0x4f800000, v5
	v_rcp_f32_e32 v3, v3
	v_mul_f32_e32 v3, 0x5f7ffffc, v3
	v_mul_f32_e32 v5, 0x2f800000, v3
	v_trunc_f32_e32 v5, v5
	v_mac_f32_e32 v3, 0xcf800000, v5
	v_cvt_u32_f32_e32 v5, v5
	v_cvt_u32_f32_e32 v3, v3
	v_readfirstlane_b32 s39, v5
	v_readfirstlane_b32 s0, v3
	s_mul_i32 s1, s16, s39
	s_mul_hi_u32 s60, s16, s0
	s_mul_i32 s59, s31, s0
	s_add_i32 s1, s60, s1
	s_add_i32 s1, s1, s59
	s_mul_i32 s61, s16, s0
	s_mul_i32 s60, s0, s1
	s_mul_hi_u32 s62, s0, s61
	s_mul_hi_u32 s59, s0, s1
	s_add_u32 s60, s62, s60
	s_addc_u32 s59, 0, s59
	s_mul_hi_u32 s63, s39, s61
	s_mul_i32 s61, s39, s61
	s_add_u32 s60, s60, s61
	s_mul_hi_u32 s62, s39, s1
	s_addc_u32 s59, s59, s63
	s_addc_u32 s60, s62, 0
	s_mul_i32 s1, s39, s1
	s_add_u32 s1, s59, s1
	s_addc_u32 s59, 0, s60
	s_add_u32 s60, s0, s1
	s_cselect_b64 s[0:1], -1, 0
	s_cmp_lg_u64 s[0:1], 0
	s_addc_u32 s39, s39, s59
	s_mul_i32 s0, s16, s39
	s_mul_hi_u32 s1, s16, s60
	s_add_i32 s0, s1, s0
	s_mul_i32 s31, s31, s60
	s_add_i32 s0, s0, s31
	s_mul_i32 s16, s16, s60
	s_mul_hi_u32 s31, s39, s16
	s_mul_i32 s59, s39, s16
	s_mul_i32 s62, s60, s0
	s_mul_hi_u32 s16, s60, s16
	s_mul_hi_u32 s61, s60, s0
	s_add_u32 s16, s16, s62
	s_addc_u32 s61, 0, s61
	s_add_u32 s16, s16, s59
	s_mul_hi_u32 s1, s39, s0
	s_addc_u32 s16, s61, s31
	s_addc_u32 s1, s1, 0
	s_mul_i32 s0, s39, s0
	s_add_u32 s0, s16, s0
	s_addc_u32 s16, 0, s1
	s_add_u32 s31, s60, s0
	s_cselect_b64 s[0:1], -1, 0
	v_ashrrev_i32_e32 v3, 31, v19
	s_cmp_lg_u64 s[0:1], 0
	v_add_co_u32_e32 v5, vcc, v18, v3
	s_addc_u32 s16, s39, s16
	v_xor_b32_e32 v5, v5, v3
	v_addc_co_u32_e32 v7, vcc, v19, v3, vcc
	v_mad_u64_u32 v[19:20], s[0:1], v5, s16, 0
	v_mul_hi_u32 v9, v5, s31
	v_xor_b32_e32 v7, v7, v3
	v_mad_u64_u32 v[21:22], s[0:1], v7, s16, 0
	v_add_co_u32_e32 v9, vcc, v9, v19
	v_addc_co_u32_e32 v11, vcc, 0, v20, vcc
	v_mad_u64_u32 v[19:20], s[0:1], v7, s31, 0
	v_xor_b32_e32 v3, s38, v3
	v_add_co_u32_e32 v9, vcc, v9, v19
	v_addc_co_u32_e32 v9, vcc, v11, v20, vcc
	v_addc_co_u32_e32 v11, vcc, 0, v22, vcc
	v_add_co_u32_e32 v9, vcc, v9, v21
	v_addc_co_u32_e32 v11, vcc, 0, v11, vcc
	v_mul_lo_u32 v13, s41, v9
	v_mul_lo_u32 v15, s40, v11
	v_mad_u64_u32 v[19:20], s[0:1], s40, v9, 0
	v_add3_u32 v13, v20, v15, v13
	v_sub_u32_e32 v15, v7, v13
	v_sub_co_u32_e32 v5, vcc, v5, v19
	v_subb_co_u32_e64 v15, s[0:1], v15, v17, vcc
	v_subrev_co_u32_e64 v17, s[0:1], s40, v5
	v_subbrev_co_u32_e64 v15, s[0:1], 0, v15, s[0:1]
	v_cmp_le_u32_e64 s[0:1], s41, v15
	v_cndmask_b32_e64 v19, 0, -1, s[0:1]
	v_cmp_le_u32_e64 s[0:1], s40, v17
	v_cndmask_b32_e64 v17, 0, -1, s[0:1]
	v_cmp_eq_u32_e64 s[0:1], s41, v15
	v_cndmask_b32_e64 v15, v19, v17, s[0:1]
	v_add_co_u32_e64 v17, s[0:1], 2, v9
	v_subb_co_u32_e32 v7, vcc, v7, v13, vcc
	v_addc_co_u32_e64 v19, s[0:1], 0, v11, s[0:1]
	v_cmp_le_u32_e32 vcc, s41, v7
	v_add_co_u32_e64 v20, s[0:1], 1, v9
	v_cndmask_b32_e64 v13, 0, -1, vcc
	v_cmp_le_u32_e32 vcc, s40, v5
	v_addc_co_u32_e64 v21, s[0:1], 0, v11, s[0:1]
	v_cndmask_b32_e64 v5, 0, -1, vcc
	v_cmp_eq_u32_e32 vcc, s41, v7
	v_cmp_ne_u32_e64 s[0:1], 0, v15
	v_cndmask_b32_e32 v5, v13, v5, vcc
	v_cmp_ne_u32_e32 vcc, 0, v5
	v_cndmask_b32_e64 v7, v20, v17, s[0:1]
	v_cndmask_b32_e64 v15, v21, v19, s[0:1]
	v_cndmask_b32_e32 v7, v9, v7, vcc
	v_cndmask_b32_e32 v5, v11, v15, vcc
	v_xor_b32_e32 v7, v7, v3
	v_xor_b32_e32 v5, v5, v3
	v_sub_co_u32_e32 v20, vcc, v7, v3
	v_subb_co_u32_e32 v21, vcc, v5, v3, vcc
.LBB32_45:                              ;   in Loop: Header=BB32_23 Depth=2
	s_andn2_saveexec_b64 s[0:1], s[36:37]
	s_cbranch_execz .LBB32_47
; %bb.46:                               ;   in Loop: Header=BB32_23 Depth=2
	v_cvt_f32_u32_e32 v3, s58
	s_sub_i32 s16, 0, s58
	v_mov_b32_e32 v21, v2
	v_rcp_iflag_f32_e32 v3, v3
	v_mul_f32_e32 v3, 0x4f7ffffe, v3
	v_cvt_u32_f32_e32 v3, v3
	v_mul_lo_u32 v5, s16, v3
	v_mul_hi_u32 v5, v3, v5
	v_add_u32_e32 v3, v3, v5
	v_mul_hi_u32 v3, v18, v3
	v_mul_lo_u32 v5, v3, s58
	v_add_u32_e32 v7, 1, v3
	v_sub_u32_e32 v5, v18, v5
	v_subrev_u32_e32 v9, s58, v5
	v_cmp_le_u32_e32 vcc, s58, v5
	v_cndmask_b32_e32 v5, v5, v9, vcc
	v_cndmask_b32_e32 v3, v3, v7, vcc
	v_add_u32_e32 v7, 1, v3
	v_cmp_le_u32_e32 vcc, s58, v5
	v_cndmask_b32_e32 v20, v3, v7, vcc
.LBB32_47:                              ;   in Loop: Header=BB32_23 Depth=2
	s_or_b64 exec, exec, s[0:1]
	s_add_u32 s0, s4, s34
	s_addc_u32 s1, s5, s35
	s_add_i32 s16, s30, 1
	s_lshl_b64 s[34:35], s[16:17], 2
	s_add_u32 s36, s42, s34
	s_addc_u32 s37, s43, s35
	s_load_dword s59, s[36:37], 0x8
	s_load_dword s16, s[0:1], 0x6c
                                        ; implicit-def: $vgpr22_vgpr23
	s_waitcnt lgkmcnt(0)
	s_ashr_i32 s0, s59, 31
	v_or_b32_e32 v3, s0, v21
	v_cmp_ne_u64_e32 vcc, 0, v[2:3]
	s_and_saveexec_b64 s[36:37], vcc
	s_xor_b64 s[36:37], exec, s[36:37]
	s_cbranch_execz .LBB32_49
; %bb.48:                               ;   in Loop: Header=BB32_23 Depth=2
	s_ashr_i32 s38, s0, 31
	s_add_u32 s40, s59, s38
	s_mov_b32 s39, s38
	s_addc_u32 s41, s0, s38
	s_xor_b64 s[40:41], s[40:41], s[38:39]
	v_cvt_f32_u32_e32 v3, s40
	v_cvt_f32_u32_e32 v5, s41
	s_sub_u32 s31, 0, s40
	s_subb_u32 s39, 0, s41
	v_mov_b32_e32 v17, s41
	v_mac_f32_e32 v3, 0x4f800000, v5
	v_rcp_f32_e32 v3, v3
	v_mul_f32_e32 v3, 0x5f7ffffc, v3
	v_mul_f32_e32 v5, 0x2f800000, v3
	v_trunc_f32_e32 v5, v5
	v_mac_f32_e32 v3, 0xcf800000, v5
	v_cvt_u32_f32_e32 v5, v5
	v_cvt_u32_f32_e32 v3, v3
	v_readfirstlane_b32 s60, v5
	v_readfirstlane_b32 s0, v3
	s_mul_i32 s1, s31, s60
	s_mul_hi_u32 s62, s31, s0
	s_mul_i32 s61, s39, s0
	s_add_i32 s1, s62, s1
	s_add_i32 s1, s1, s61
	s_mul_i32 s63, s31, s0
	s_mul_i32 s62, s0, s1
	s_mul_hi_u32 s64, s0, s63
	s_mul_hi_u32 s61, s0, s1
	s_add_u32 s62, s64, s62
	s_addc_u32 s61, 0, s61
	s_mul_hi_u32 s65, s60, s63
	s_mul_i32 s63, s60, s63
	s_add_u32 s62, s62, s63
	s_mul_hi_u32 s64, s60, s1
	s_addc_u32 s61, s61, s65
	s_addc_u32 s62, s64, 0
	s_mul_i32 s1, s60, s1
	s_add_u32 s1, s61, s1
	s_addc_u32 s61, 0, s62
	s_add_u32 s62, s0, s1
	s_cselect_b64 s[0:1], -1, 0
	s_cmp_lg_u64 s[0:1], 0
	s_addc_u32 s60, s60, s61
	s_mul_i32 s0, s31, s60
	s_mul_hi_u32 s1, s31, s62
	s_add_i32 s0, s1, s0
	s_mul_i32 s39, s39, s62
	s_add_i32 s0, s0, s39
	s_mul_i32 s31, s31, s62
	s_mul_hi_u32 s39, s60, s31
	s_mul_i32 s61, s60, s31
	s_mul_i32 s64, s62, s0
	s_mul_hi_u32 s31, s62, s31
	s_mul_hi_u32 s63, s62, s0
	s_add_u32 s31, s31, s64
	s_addc_u32 s63, 0, s63
	s_add_u32 s31, s31, s61
	s_mul_hi_u32 s1, s60, s0
	s_addc_u32 s31, s63, s39
	s_addc_u32 s1, s1, 0
	s_mul_i32 s0, s60, s0
	s_add_u32 s0, s31, s0
	s_addc_u32 s31, 0, s1
	s_add_u32 s39, s62, s0
	s_cselect_b64 s[0:1], -1, 0
	v_ashrrev_i32_e32 v3, 31, v21
	s_cmp_lg_u64 s[0:1], 0
	v_add_co_u32_e32 v5, vcc, v20, v3
	s_addc_u32 s31, s60, s31
	v_xor_b32_e32 v5, v5, v3
	v_addc_co_u32_e32 v7, vcc, v21, v3, vcc
	v_mad_u64_u32 v[21:22], s[0:1], v5, s31, 0
	v_mul_hi_u32 v9, v5, s39
	v_xor_b32_e32 v7, v7, v3
	v_mad_u64_u32 v[23:24], s[0:1], v7, s31, 0
	v_add_co_u32_e32 v9, vcc, v9, v21
	v_addc_co_u32_e32 v11, vcc, 0, v22, vcc
	v_mad_u64_u32 v[21:22], s[0:1], v7, s39, 0
	v_xor_b32_e32 v3, s38, v3
	v_add_co_u32_e32 v9, vcc, v9, v21
	v_addc_co_u32_e32 v9, vcc, v11, v22, vcc
	v_addc_co_u32_e32 v11, vcc, 0, v24, vcc
	v_add_co_u32_e32 v9, vcc, v9, v23
	v_addc_co_u32_e32 v11, vcc, 0, v11, vcc
	v_mul_lo_u32 v13, s41, v9
	v_mul_lo_u32 v15, s40, v11
	v_mad_u64_u32 v[21:22], s[0:1], s40, v9, 0
	v_add3_u32 v13, v22, v15, v13
	v_sub_u32_e32 v15, v7, v13
	v_sub_co_u32_e32 v5, vcc, v5, v21
	v_subb_co_u32_e64 v15, s[0:1], v15, v17, vcc
	v_subrev_co_u32_e64 v17, s[0:1], s40, v5
	v_subbrev_co_u32_e64 v15, s[0:1], 0, v15, s[0:1]
	v_cmp_le_u32_e64 s[0:1], s41, v15
	v_cndmask_b32_e64 v19, 0, -1, s[0:1]
	v_cmp_le_u32_e64 s[0:1], s40, v17
	v_cndmask_b32_e64 v17, 0, -1, s[0:1]
	v_cmp_eq_u32_e64 s[0:1], s41, v15
	v_cndmask_b32_e64 v15, v19, v17, s[0:1]
	v_add_co_u32_e64 v17, s[0:1], 2, v9
	v_subb_co_u32_e32 v7, vcc, v7, v13, vcc
	v_addc_co_u32_e64 v19, s[0:1], 0, v11, s[0:1]
	v_cmp_le_u32_e32 vcc, s41, v7
	v_add_co_u32_e64 v21, s[0:1], 1, v9
	v_cndmask_b32_e64 v13, 0, -1, vcc
	v_cmp_le_u32_e32 vcc, s40, v5
	v_addc_co_u32_e64 v22, s[0:1], 0, v11, s[0:1]
	v_cndmask_b32_e64 v5, 0, -1, vcc
	v_cmp_eq_u32_e32 vcc, s41, v7
	v_cmp_ne_u32_e64 s[0:1], 0, v15
	v_cndmask_b32_e32 v5, v13, v5, vcc
	v_cmp_ne_u32_e32 vcc, 0, v5
	v_cndmask_b32_e64 v7, v21, v17, s[0:1]
	v_cndmask_b32_e64 v15, v22, v19, s[0:1]
	v_cndmask_b32_e32 v7, v9, v7, vcc
	v_cndmask_b32_e32 v5, v11, v15, vcc
	v_xor_b32_e32 v7, v7, v3
	v_xor_b32_e32 v5, v5, v3
	v_sub_co_u32_e32 v22, vcc, v7, v3
	v_subb_co_u32_e32 v23, vcc, v5, v3, vcc
.LBB32_49:                              ;   in Loop: Header=BB32_23 Depth=2
	s_andn2_saveexec_b64 s[0:1], s[36:37]
	s_cbranch_execz .LBB32_51
; %bb.50:                               ;   in Loop: Header=BB32_23 Depth=2
	v_cvt_f32_u32_e32 v3, s59
	s_sub_i32 s31, 0, s59
	v_mov_b32_e32 v23, v2
	v_rcp_iflag_f32_e32 v3, v3
	v_mul_f32_e32 v3, 0x4f7ffffe, v3
	v_cvt_u32_f32_e32 v3, v3
	v_mul_lo_u32 v5, s31, v3
	v_mul_hi_u32 v5, v3, v5
	v_add_u32_e32 v3, v3, v5
	v_mul_hi_u32 v3, v20, v3
	v_mul_lo_u32 v5, v3, s59
	v_add_u32_e32 v7, 1, v3
	v_sub_u32_e32 v5, v20, v5
	v_subrev_u32_e32 v9, s59, v5
	v_cmp_le_u32_e32 vcc, s59, v5
	v_cndmask_b32_e32 v5, v5, v9, vcc
	v_cndmask_b32_e32 v3, v3, v7, vcc
	v_add_u32_e32 v7, 1, v3
	v_cmp_le_u32_e32 vcc, s59, v5
	v_cndmask_b32_e32 v22, v3, v7, vcc
.LBB32_51:                              ;   in Loop: Header=BB32_23 Depth=2
	s_or_b64 exec, exec, s[0:1]
	s_add_u32 s0, s4, s34
	s_mov_b32 s31, s17
	s_addc_u32 s1, s5, s35
	s_lshl_b64 s[34:35], s[30:31], 2
	s_add_u32 s36, s42, s34
	s_addc_u32 s37, s43, s35
	s_load_dword s60, s[36:37], 0x8
	s_load_dword s31, s[0:1], 0x6c
                                        ; implicit-def: $vgpr24_vgpr25
	s_waitcnt lgkmcnt(0)
	s_ashr_i32 s0, s60, 31
	v_or_b32_e32 v3, s0, v23
	v_cmp_ne_u64_e32 vcc, 0, v[2:3]
	s_and_saveexec_b64 s[36:37], vcc
	s_xor_b64 s[36:37], exec, s[36:37]
	s_cbranch_execz .LBB32_53
; %bb.52:                               ;   in Loop: Header=BB32_23 Depth=2
	s_ashr_i32 s38, s0, 31
	s_add_u32 s40, s60, s38
	s_mov_b32 s39, s38
	s_addc_u32 s41, s0, s38
	s_xor_b64 s[40:41], s[40:41], s[38:39]
	v_cvt_f32_u32_e32 v3, s40
	v_cvt_f32_u32_e32 v5, s41
	s_sub_u32 s39, 0, s40
	s_subb_u32 s61, 0, s41
	v_mov_b32_e32 v17, s41
	v_mac_f32_e32 v3, 0x4f800000, v5
	v_rcp_f32_e32 v3, v3
	v_mul_f32_e32 v3, 0x5f7ffffc, v3
	v_mul_f32_e32 v5, 0x2f800000, v3
	v_trunc_f32_e32 v5, v5
	v_mac_f32_e32 v3, 0xcf800000, v5
	v_cvt_u32_f32_e32 v5, v5
	v_cvt_u32_f32_e32 v3, v3
	v_readfirstlane_b32 s62, v5
	v_readfirstlane_b32 s0, v3
	s_mul_i32 s1, s39, s62
	s_mul_hi_u32 s64, s39, s0
	s_mul_i32 s63, s61, s0
	s_add_i32 s1, s64, s1
	s_add_i32 s1, s1, s63
	s_mul_i32 s65, s39, s0
	s_mul_i32 s64, s0, s1
	s_mul_hi_u32 s66, s0, s65
	s_mul_hi_u32 s63, s0, s1
	s_add_u32 s64, s66, s64
	s_addc_u32 s63, 0, s63
	s_mul_hi_u32 s67, s62, s65
	s_mul_i32 s65, s62, s65
	s_add_u32 s64, s64, s65
	s_mul_hi_u32 s66, s62, s1
	s_addc_u32 s63, s63, s67
	s_addc_u32 s64, s66, 0
	s_mul_i32 s1, s62, s1
	s_add_u32 s1, s63, s1
	s_addc_u32 s63, 0, s64
	s_add_u32 s64, s0, s1
	s_cselect_b64 s[0:1], -1, 0
	s_cmp_lg_u64 s[0:1], 0
	s_addc_u32 s62, s62, s63
	s_mul_i32 s0, s39, s62
	s_mul_hi_u32 s1, s39, s64
	s_add_i32 s0, s1, s0
	s_mul_i32 s61, s61, s64
	s_add_i32 s0, s0, s61
	s_mul_i32 s39, s39, s64
	s_mul_hi_u32 s61, s62, s39
	s_mul_i32 s63, s62, s39
	s_mul_i32 s66, s64, s0
	s_mul_hi_u32 s39, s64, s39
	s_mul_hi_u32 s65, s64, s0
	s_add_u32 s39, s39, s66
	s_addc_u32 s65, 0, s65
	s_add_u32 s39, s39, s63
	s_mul_hi_u32 s1, s62, s0
	s_addc_u32 s39, s65, s61
	s_addc_u32 s1, s1, 0
	s_mul_i32 s0, s62, s0
	s_add_u32 s0, s39, s0
	s_addc_u32 s39, 0, s1
	s_add_u32 s61, s64, s0
	s_cselect_b64 s[0:1], -1, 0
	v_ashrrev_i32_e32 v3, 31, v23
	s_cmp_lg_u64 s[0:1], 0
	v_add_co_u32_e32 v5, vcc, v22, v3
	s_addc_u32 s39, s62, s39
	v_xor_b32_e32 v5, v5, v3
	v_addc_co_u32_e32 v7, vcc, v23, v3, vcc
	v_mad_u64_u32 v[23:24], s[0:1], v5, s39, 0
	v_mul_hi_u32 v9, v5, s61
	v_xor_b32_e32 v7, v7, v3
	v_mad_u64_u32 v[28:29], s[0:1], v7, s39, 0
	v_add_co_u32_e32 v9, vcc, v9, v23
	v_addc_co_u32_e32 v11, vcc, 0, v24, vcc
	v_mad_u64_u32 v[23:24], s[0:1], v7, s61, 0
	v_xor_b32_e32 v3, s38, v3
	v_add_co_u32_e32 v9, vcc, v9, v23
	v_addc_co_u32_e32 v9, vcc, v11, v24, vcc
	v_addc_co_u32_e32 v11, vcc, 0, v29, vcc
	v_add_co_u32_e32 v9, vcc, v9, v28
	v_addc_co_u32_e32 v11, vcc, 0, v11, vcc
	v_mul_lo_u32 v13, s41, v9
	v_mul_lo_u32 v15, s40, v11
	v_mad_u64_u32 v[23:24], s[0:1], s40, v9, 0
	v_add3_u32 v13, v24, v15, v13
	v_sub_u32_e32 v15, v7, v13
	v_sub_co_u32_e32 v5, vcc, v5, v23
	v_subb_co_u32_e64 v15, s[0:1], v15, v17, vcc
	v_subrev_co_u32_e64 v17, s[0:1], s40, v5
	v_subbrev_co_u32_e64 v15, s[0:1], 0, v15, s[0:1]
	v_cmp_le_u32_e64 s[0:1], s41, v15
	v_cndmask_b32_e64 v19, 0, -1, s[0:1]
	v_cmp_le_u32_e64 s[0:1], s40, v17
	v_cndmask_b32_e64 v17, 0, -1, s[0:1]
	v_cmp_eq_u32_e64 s[0:1], s41, v15
	v_cndmask_b32_e64 v15, v19, v17, s[0:1]
	v_add_co_u32_e64 v17, s[0:1], 2, v9
	v_subb_co_u32_e32 v7, vcc, v7, v13, vcc
	v_addc_co_u32_e64 v19, s[0:1], 0, v11, s[0:1]
	v_cmp_le_u32_e32 vcc, s41, v7
	v_add_co_u32_e64 v21, s[0:1], 1, v9
	v_cndmask_b32_e64 v13, 0, -1, vcc
	v_cmp_le_u32_e32 vcc, s40, v5
	v_addc_co_u32_e64 v23, s[0:1], 0, v11, s[0:1]
	v_cndmask_b32_e64 v5, 0, -1, vcc
	v_cmp_eq_u32_e32 vcc, s41, v7
	v_cmp_ne_u32_e64 s[0:1], 0, v15
	v_cndmask_b32_e32 v5, v13, v5, vcc
	v_cmp_ne_u32_e32 vcc, 0, v5
	v_cndmask_b32_e64 v7, v21, v17, s[0:1]
	v_cndmask_b32_e64 v15, v23, v19, s[0:1]
	v_cndmask_b32_e32 v7, v9, v7, vcc
	v_cndmask_b32_e32 v5, v11, v15, vcc
	v_xor_b32_e32 v7, v7, v3
	v_xor_b32_e32 v5, v5, v3
	v_sub_co_u32_e32 v24, vcc, v7, v3
	v_subb_co_u32_e32 v25, vcc, v5, v3, vcc
.LBB32_53:                              ;   in Loop: Header=BB32_23 Depth=2
	s_andn2_saveexec_b64 s[0:1], s[36:37]
	s_cbranch_execz .LBB32_55
; %bb.54:                               ;   in Loop: Header=BB32_23 Depth=2
	v_cvt_f32_u32_e32 v3, s60
	s_sub_i32 s36, 0, s60
	v_mov_b32_e32 v25, v2
	v_rcp_iflag_f32_e32 v3, v3
	v_mul_f32_e32 v3, 0x4f7ffffe, v3
	v_cvt_u32_f32_e32 v3, v3
	v_mul_lo_u32 v5, s36, v3
	v_mul_hi_u32 v5, v3, v5
	v_add_u32_e32 v3, v3, v5
	v_mul_hi_u32 v3, v22, v3
	v_mul_lo_u32 v5, v3, s60
	v_add_u32_e32 v7, 1, v3
	v_sub_u32_e32 v5, v22, v5
	v_subrev_u32_e32 v9, s60, v5
	v_cmp_le_u32_e32 vcc, s60, v5
	v_cndmask_b32_e32 v5, v5, v9, vcc
	v_cndmask_b32_e32 v3, v3, v7, vcc
	v_add_u32_e32 v7, 1, v3
	v_cmp_le_u32_e32 vcc, s60, v5
	v_cndmask_b32_e32 v24, v3, v7, vcc
.LBB32_55:                              ;   in Loop: Header=BB32_23 Depth=2
	s_or_b64 exec, exec, s[0:1]
	v_mul_lo_u32 v3, v10, s25
	v_mul_lo_u32 v5, v12, s50
	;; [unrolled: 1-line block ×3, first 2 shown]
	s_add_u32 s0, s4, s34
	v_sub_u32_e32 v3, v8, v3
	v_mul_lo_u32 v8, v16, s54
	v_sub_u32_e32 v5, v10, v5
	v_mul_lo_u32 v3, s28, v3
	v_mul_lo_u32 v5, s51, v5
	v_sub_u32_e32 v7, v12, v7
	v_sub_u32_e32 v8, v14, v8
	v_mul_lo_u32 v7, s53, v7
	v_mul_lo_u32 v8, s56, v8
	;; [unrolled: 1-line block ×3, first 2 shown]
	v_add3_u32 v3, v3, v6, v5
	v_mul_lo_u32 v5, v20, s58
	s_addc_u32 s1, s5, s35
	v_add3_u32 v3, v7, v3, v8
	v_mul_lo_u32 v7, v22, s59
	v_mul_lo_u32 v8, v24, s60
	s_load_dword s0, s[0:1], 0x6c
	v_sub_u32_e32 v6, v16, v9
	v_sub_u32_e32 v5, v18, v5
	v_mul_lo_u32 v6, s57, v6
	v_mul_lo_u32 v5, s16, v5
	v_sub_u32_e32 v7, v20, v7
	v_sub_u32_e32 v8, v22, v8
	v_mul_lo_u32 v7, s31, v7
	s_waitcnt lgkmcnt(0)
	v_mul_lo_u32 v8, s0, v8
	v_add3_u32 v3, v6, v3, v5
	s_add_i32 s30, s30, -8
	s_cmp_eq_u32 s30, -8
	v_add3_u32 v6, v7, v3, v8
	s_cbranch_scc1 .LBB32_57
; %bb.56:                               ;   in Loop: Header=BB32_23 Depth=2
	v_mov_b32_e32 v8, v24
	v_mov_b32_e32 v9, v25
	s_branch .LBB32_23
.LBB32_57:                              ;   in Loop: Header=BB32_3 Depth=1
	s_load_dword s16, s[2:3], 0x4
	s_waitcnt lgkmcnt(0)
	v_cmp_gt_i32_e32 vcc, s16, v27
	s_and_b64 exec, exec, vcc
	s_cbranch_execz .LBB32_2
; %bb.58:                               ;   in Loop: Header=BB32_3 Depth=1
	v_ashrrev_i32_e32 v5, 31, v4
	v_cmp_lt_i64_e32 vcc, s[8:9], v[4:5]
	s_and_saveexec_b64 s[0:1], vcc
	s_cbranch_execz .LBB32_60
; %bb.59:                               ;   in Loop: Header=BB32_3 Depth=1
	v_ashrrev_i32_e32 v7, 31, v6
	v_lshlrev_b64 v[3:4], 3, v[6:7]
	v_mov_b32_e32 v5, s13
	v_add_co_u32_e32 v7, vcc, s12, v3
	v_addc_co_u32_e32 v8, vcc, v5, v4, vcc
	v_mov_b32_e32 v3, v2
	global_store_dwordx2 v[7:8], v[2:3], off
.LBB32_60:                              ;   in Loop: Header=BB32_3 Depth=1
	s_or_b64 exec, exec, s[0:1]
	v_add_u32_e32 v3, 1, v27
	v_cmp_gt_i32_e32 vcc, s16, v3
	s_and_b64 exec, exec, vcc
	s_cbranch_execz .LBB32_2
; %bb.61:                               ;   in Loop: Header=BB32_3 Depth=1
	v_sub_u32_e32 v3, v3, v26
	v_ashrrev_i32_e32 v4, 31, v3
	v_cmp_lt_i64_e32 vcc, s[8:9], v[3:4]
	s_and_b64 exec, exec, vcc
	s_cbranch_execz .LBB32_2
; %bb.62:                               ;   in Loop: Header=BB32_3 Depth=1
	v_add_u32_e32 v3, s29, v6
	v_ashrrev_i32_e32 v4, 31, v3
	v_lshlrev_b64 v[3:4], 3, v[3:4]
	v_mov_b32_e32 v6, s13
	v_add_co_u32_e32 v5, vcc, s12, v3
	v_addc_co_u32_e32 v6, vcc, v6, v4, vcc
	v_mov_b32_e32 v3, v2
	global_store_dwordx2 v[5:6], v[2:3], off
	s_branch .LBB32_2
.LBB32_63:
	s_endpgm
	.section	.rodata,"a",@progbits
	.p2align	6, 0x0
	.amdhsa_kernel _ZN2at6native16triu_tril_kernelIN3c107complexIfEEiLb0ELi2ELb1EEEvNS_4cuda6detail10TensorInfoIT_T0_EENS7_IKS8_S9_EEllS9_
		.amdhsa_group_segment_fixed_size 0
		.amdhsa_private_segment_fixed_size 0
		.amdhsa_kernarg_size 712
		.amdhsa_user_sgpr_count 6
		.amdhsa_user_sgpr_private_segment_buffer 1
		.amdhsa_user_sgpr_dispatch_ptr 0
		.amdhsa_user_sgpr_queue_ptr 0
		.amdhsa_user_sgpr_kernarg_segment_ptr 1
		.amdhsa_user_sgpr_dispatch_id 0
		.amdhsa_user_sgpr_flat_scratch_init 0
		.amdhsa_user_sgpr_private_segment_size 0
		.amdhsa_uses_dynamic_stack 0
		.amdhsa_system_sgpr_private_segment_wavefront_offset 0
		.amdhsa_system_sgpr_workgroup_id_x 1
		.amdhsa_system_sgpr_workgroup_id_y 0
		.amdhsa_system_sgpr_workgroup_id_z 0
		.amdhsa_system_sgpr_workgroup_info 0
		.amdhsa_system_vgpr_workitem_id 0
		.amdhsa_next_free_vgpr 30
		.amdhsa_next_free_sgpr 68
		.amdhsa_reserve_vcc 1
		.amdhsa_reserve_flat_scratch 0
		.amdhsa_float_round_mode_32 0
		.amdhsa_float_round_mode_16_64 0
		.amdhsa_float_denorm_mode_32 3
		.amdhsa_float_denorm_mode_16_64 3
		.amdhsa_dx10_clamp 1
		.amdhsa_ieee_mode 1
		.amdhsa_fp16_overflow 0
		.amdhsa_exception_fp_ieee_invalid_op 0
		.amdhsa_exception_fp_denorm_src 0
		.amdhsa_exception_fp_ieee_div_zero 0
		.amdhsa_exception_fp_ieee_overflow 0
		.amdhsa_exception_fp_ieee_underflow 0
		.amdhsa_exception_fp_ieee_inexact 0
		.amdhsa_exception_int_div_zero 0
	.end_amdhsa_kernel
	.section	.text._ZN2at6native16triu_tril_kernelIN3c107complexIfEEiLb0ELi2ELb1EEEvNS_4cuda6detail10TensorInfoIT_T0_EENS7_IKS8_S9_EEllS9_,"axG",@progbits,_ZN2at6native16triu_tril_kernelIN3c107complexIfEEiLb0ELi2ELb1EEEvNS_4cuda6detail10TensorInfoIT_T0_EENS7_IKS8_S9_EEllS9_,comdat
.Lfunc_end32:
	.size	_ZN2at6native16triu_tril_kernelIN3c107complexIfEEiLb0ELi2ELb1EEEvNS_4cuda6detail10TensorInfoIT_T0_EENS7_IKS8_S9_EEllS9_, .Lfunc_end32-_ZN2at6native16triu_tril_kernelIN3c107complexIfEEiLb0ELi2ELb1EEEvNS_4cuda6detail10TensorInfoIT_T0_EENS7_IKS8_S9_EEllS9_
                                        ; -- End function
	.set _ZN2at6native16triu_tril_kernelIN3c107complexIfEEiLb0ELi2ELb1EEEvNS_4cuda6detail10TensorInfoIT_T0_EENS7_IKS8_S9_EEllS9_.num_vgpr, 30
	.set _ZN2at6native16triu_tril_kernelIN3c107complexIfEEiLb0ELi2ELb1EEEvNS_4cuda6detail10TensorInfoIT_T0_EENS7_IKS8_S9_EEllS9_.num_agpr, 0
	.set _ZN2at6native16triu_tril_kernelIN3c107complexIfEEiLb0ELi2ELb1EEEvNS_4cuda6detail10TensorInfoIT_T0_EENS7_IKS8_S9_EEllS9_.numbered_sgpr, 68
	.set _ZN2at6native16triu_tril_kernelIN3c107complexIfEEiLb0ELi2ELb1EEEvNS_4cuda6detail10TensorInfoIT_T0_EENS7_IKS8_S9_EEllS9_.num_named_barrier, 0
	.set _ZN2at6native16triu_tril_kernelIN3c107complexIfEEiLb0ELi2ELb1EEEvNS_4cuda6detail10TensorInfoIT_T0_EENS7_IKS8_S9_EEllS9_.private_seg_size, 0
	.set _ZN2at6native16triu_tril_kernelIN3c107complexIfEEiLb0ELi2ELb1EEEvNS_4cuda6detail10TensorInfoIT_T0_EENS7_IKS8_S9_EEllS9_.uses_vcc, 1
	.set _ZN2at6native16triu_tril_kernelIN3c107complexIfEEiLb0ELi2ELb1EEEvNS_4cuda6detail10TensorInfoIT_T0_EENS7_IKS8_S9_EEllS9_.uses_flat_scratch, 0
	.set _ZN2at6native16triu_tril_kernelIN3c107complexIfEEiLb0ELi2ELb1EEEvNS_4cuda6detail10TensorInfoIT_T0_EENS7_IKS8_S9_EEllS9_.has_dyn_sized_stack, 0
	.set _ZN2at6native16triu_tril_kernelIN3c107complexIfEEiLb0ELi2ELb1EEEvNS_4cuda6detail10TensorInfoIT_T0_EENS7_IKS8_S9_EEllS9_.has_recursion, 0
	.set _ZN2at6native16triu_tril_kernelIN3c107complexIfEEiLb0ELi2ELb1EEEvNS_4cuda6detail10TensorInfoIT_T0_EENS7_IKS8_S9_EEllS9_.has_indirect_call, 0
	.section	.AMDGPU.csdata,"",@progbits
; Kernel info:
; codeLenInByte = 9348
; TotalNumSgprs: 72
; NumVgprs: 30
; ScratchSize: 0
; MemoryBound: 0
; FloatMode: 240
; IeeeMode: 1
; LDSByteSize: 0 bytes/workgroup (compile time only)
; SGPRBlocks: 8
; VGPRBlocks: 7
; NumSGPRsForWavesPerEU: 72
; NumVGPRsForWavesPerEU: 30
; Occupancy: 8
; WaveLimiterHint : 0
; COMPUTE_PGM_RSRC2:SCRATCH_EN: 0
; COMPUTE_PGM_RSRC2:USER_SGPR: 6
; COMPUTE_PGM_RSRC2:TRAP_HANDLER: 0
; COMPUTE_PGM_RSRC2:TGID_X_EN: 1
; COMPUTE_PGM_RSRC2:TGID_Y_EN: 0
; COMPUTE_PGM_RSRC2:TGID_Z_EN: 0
; COMPUTE_PGM_RSRC2:TIDIG_COMP_CNT: 0
	.section	.text._ZN2at6native16triu_tril_kernelIN3c107complexIfEEiLb0ELi2ELb0EEEvNS_4cuda6detail10TensorInfoIT_T0_EENS7_IKS8_S9_EEllS9_,"axG",@progbits,_ZN2at6native16triu_tril_kernelIN3c107complexIfEEiLb0ELi2ELb0EEEvNS_4cuda6detail10TensorInfoIT_T0_EENS7_IKS8_S9_EEllS9_,comdat
	.protected	_ZN2at6native16triu_tril_kernelIN3c107complexIfEEiLb0ELi2ELb0EEEvNS_4cuda6detail10TensorInfoIT_T0_EENS7_IKS8_S9_EEllS9_ ; -- Begin function _ZN2at6native16triu_tril_kernelIN3c107complexIfEEiLb0ELi2ELb0EEEvNS_4cuda6detail10TensorInfoIT_T0_EENS7_IKS8_S9_EEllS9_
	.globl	_ZN2at6native16triu_tril_kernelIN3c107complexIfEEiLb0ELi2ELb0EEEvNS_4cuda6detail10TensorInfoIT_T0_EENS7_IKS8_S9_EEllS9_
	.p2align	8
	.type	_ZN2at6native16triu_tril_kernelIN3c107complexIfEEiLb0ELi2ELb0EEEvNS_4cuda6detail10TensorInfoIT_T0_EENS7_IKS8_S9_EEllS9_,@function
_ZN2at6native16triu_tril_kernelIN3c107complexIfEEiLb0ELi2ELb0EEEvNS_4cuda6detail10TensorInfoIT_T0_EENS7_IKS8_S9_EEllS9_: ; @_ZN2at6native16triu_tril_kernelIN3c107complexIfEEiLb0ELi2ELb0EEEvNS_4cuda6detail10TensorInfoIT_T0_EENS7_IKS8_S9_EEllS9_
; %bb.0:
	s_load_dword s2, s[4:5], 0x1d4
	s_load_dwordx4 s[8:11], s[4:5], 0x1b0
	s_add_u32 s0, s4, 0x1c8
	v_mov_b32_e32 v2, 0
	s_addc_u32 s1, s5, 0
	s_waitcnt lgkmcnt(0)
	s_and_b32 s12, s2, 0xffff
	v_mov_b32_e32 v1, v2
	v_mov_b32_e32 v3, s6
	v_mad_u64_u32 v[0:1], s[2:3], s12, v3, v[0:1]
	v_lshlrev_b64 v[0:1], 1, v[0:1]
	v_cmp_gt_i64_e32 vcc, s[10:11], v[0:1]
	s_and_saveexec_b64 s[2:3], vcc
	s_cbranch_execz .LBB33_48
; %bb.1:
	s_load_dword s33, s[4:5], 0x1c0
	s_load_dwordx2 s[2:3], s[4:5], 0xd8
	s_load_dwordx2 s[18:19], s[4:5], 0x0
	s_load_dword s20, s[4:5], 0x1a8
	s_load_dword s13, s[0:1], 0x0
	s_add_u32 s46, s4, 0xd8
	s_addc_u32 s47, s5, 0
	s_waitcnt lgkmcnt(0)
	s_ashr_i32 s48, s33, 31
	s_ashr_i32 s21, s20, 31
	s_lshl_b64 s[0:1], s[20:21], 2
	s_add_u32 s16, s46, s0
	s_addc_u32 s17, s47, s1
	s_load_dwordx2 s[6:7], s[16:17], 0x0
	s_load_dwordx2 s[14:15], s[16:17], 0x64
	s_mul_i32 s22, s13, s12
	v_cmp_gt_i64_e64 s[12:13], s[20:21], 2
	s_mov_b32 s21, 0
	s_waitcnt lgkmcnt(0)
	s_ashr_i32 s49, s6, 31
	s_add_u32 s0, s4, s0
	s_addc_u32 s1, s5, s1
	s_load_dwordx2 s[16:17], s[0:1], 0x64
	s_add_i32 s50, s20, -3
	s_lshl_b32 s51, s22, 1
	s_and_b32 s52, s20, 3
	s_cmp_lg_u32 s52, 2
	s_cselect_b64 s[22:23], -1, 0
	s_cmp_gt_u32 s50, 2
	s_cselect_b64 s[24:25], -1, 0
	s_ashr_i32 s27, s15, 31
	s_mov_b32 s26, s15
	s_waitcnt lgkmcnt(0)
	s_ashr_i32 s29, s17, 31
	s_mov_b32 s28, s17
	s_mov_b64 s[30:31], 0
	s_ashr_i32 s34, s48, 31
	s_branch .LBB33_3
.LBB33_2:                               ;   in Loop: Header=BB33_3 Depth=1
	s_or_b64 exec, exec, s[0:1]
	v_add_co_u32_e32 v0, vcc, s51, v0
	v_addc_co_u32_e32 v1, vcc, 0, v1, vcc
	v_cmp_le_i64_e32 vcc, s[10:11], v[0:1]
	s_or_b64 s[30:31], vcc, s[30:31]
	s_andn2_b64 exec, exec, s[30:31]
	s_cbranch_execz .LBB33_48
.LBB33_3:                               ; =>This Loop Header: Depth=1
                                        ;     Child Loop BB33_13 Depth 2
                                        ;     Child Loop BB33_21 Depth 2
	v_or_b32_e32 v3, s48, v1
	v_cmp_ne_u64_e32 vcc, 0, v[2:3]
                                        ; implicit-def: $vgpr4_vgpr5
	s_and_saveexec_b64 s[0:1], vcc
	s_xor_b64 s[36:37], exec, s[0:1]
	s_cbranch_execz .LBB33_5
; %bb.4:                                ;   in Loop: Header=BB33_3 Depth=1
	s_add_u32 s0, s33, s34
	s_mov_b32 s35, s34
	s_addc_u32 s1, s48, s34
	s_xor_b64 s[38:39], s[0:1], s[34:35]
	v_cvt_f32_u32_e32 v3, s38
	v_cvt_f32_u32_e32 v4, s39
	s_sub_u32 s15, 0, s38
	s_subb_u32 s17, 0, s39
	v_ashrrev_i32_e32 v7, 31, v1
	v_mac_f32_e32 v3, 0x4f800000, v4
	v_rcp_f32_e32 v3, v3
	v_mul_f32_e32 v3, 0x5f7ffffc, v3
	v_mul_f32_e32 v4, 0x2f800000, v3
	v_trunc_f32_e32 v4, v4
	v_mac_f32_e32 v3, 0xcf800000, v4
	v_cvt_u32_f32_e32 v4, v4
	v_cvt_u32_f32_e32 v3, v3
	v_readfirstlane_b32 s20, v4
	v_readfirstlane_b32 s0, v3
	s_mul_i32 s1, s15, s20
	s_mul_hi_u32 s40, s15, s0
	s_mul_i32 s35, s17, s0
	s_add_i32 s1, s40, s1
	s_add_i32 s1, s1, s35
	s_mul_i32 s41, s15, s0
	s_mul_i32 s40, s0, s1
	s_mul_hi_u32 s42, s0, s41
	s_mul_hi_u32 s35, s0, s1
	s_add_u32 s40, s42, s40
	s_addc_u32 s35, 0, s35
	s_mul_hi_u32 s43, s20, s41
	s_mul_i32 s41, s20, s41
	s_add_u32 s40, s40, s41
	s_mul_hi_u32 s42, s20, s1
	s_addc_u32 s35, s35, s43
	s_addc_u32 s40, s42, 0
	s_mul_i32 s1, s20, s1
	s_add_u32 s1, s35, s1
	s_addc_u32 s35, 0, s40
	s_add_u32 s40, s0, s1
	s_cselect_b64 s[0:1], -1, 0
	s_cmp_lg_u64 s[0:1], 0
	s_addc_u32 s20, s20, s35
	s_mul_i32 s0, s15, s20
	s_mul_hi_u32 s1, s15, s40
	s_add_i32 s0, s1, s0
	s_mul_i32 s17, s17, s40
	s_add_i32 s0, s0, s17
	s_mul_i32 s15, s15, s40
	s_mul_hi_u32 s17, s20, s15
	s_mul_i32 s35, s20, s15
	s_mul_i32 s42, s40, s0
	s_mul_hi_u32 s15, s40, s15
	s_mul_hi_u32 s41, s40, s0
	s_add_u32 s15, s15, s42
	s_addc_u32 s41, 0, s41
	s_add_u32 s15, s15, s35
	s_mul_hi_u32 s1, s20, s0
	s_addc_u32 s15, s41, s17
	s_addc_u32 s1, s1, 0
	s_mul_i32 s0, s20, s0
	s_add_u32 s0, s15, s0
	s_addc_u32 s15, 0, s1
	s_add_u32 s17, s40, s0
	s_cselect_b64 s[0:1], -1, 0
	s_cmp_lg_u64 s[0:1], 0
	v_add_co_u32_e32 v3, vcc, v0, v7
	s_addc_u32 s15, s20, s15
	v_xor_b32_e32 v8, v3, v7
	v_mad_u64_u32 v[3:4], s[0:1], v8, s15, 0
	v_mul_hi_u32 v6, v8, s17
	v_addc_co_u32_e32 v5, vcc, v1, v7, vcc
	v_xor_b32_e32 v9, v5, v7
	v_add_co_u32_e32 v10, vcc, v6, v3
	v_addc_co_u32_e32 v11, vcc, 0, v4, vcc
	v_mad_u64_u32 v[3:4], s[0:1], v9, s17, 0
	v_mad_u64_u32 v[5:6], s[0:1], v9, s15, 0
	v_add_co_u32_e32 v3, vcc, v10, v3
	v_addc_co_u32_e32 v3, vcc, v11, v4, vcc
	v_addc_co_u32_e32 v4, vcc, 0, v6, vcc
	v_add_co_u32_e32 v5, vcc, v3, v5
	v_addc_co_u32_e32 v6, vcc, 0, v4, vcc
	v_mul_lo_u32 v10, s39, v5
	v_mul_lo_u32 v11, s38, v6
	v_mad_u64_u32 v[3:4], s[0:1], s38, v5, 0
	v_add3_u32 v4, v4, v11, v10
	v_sub_u32_e32 v10, v9, v4
	v_mov_b32_e32 v11, s39
	v_sub_co_u32_e32 v3, vcc, v8, v3
	v_subb_co_u32_e64 v8, s[0:1], v10, v11, vcc
	v_subrev_co_u32_e64 v10, s[0:1], s38, v3
	v_subbrev_co_u32_e64 v8, s[0:1], 0, v8, s[0:1]
	v_cmp_le_u32_e64 s[0:1], s39, v8
	v_cndmask_b32_e64 v11, 0, -1, s[0:1]
	v_cmp_le_u32_e64 s[0:1], s38, v10
	v_cndmask_b32_e64 v10, 0, -1, s[0:1]
	v_cmp_eq_u32_e64 s[0:1], s39, v8
	v_cndmask_b32_e64 v8, v11, v10, s[0:1]
	v_add_co_u32_e64 v10, s[0:1], 2, v5
	v_subb_co_u32_e32 v4, vcc, v9, v4, vcc
	v_addc_co_u32_e64 v11, s[0:1], 0, v6, s[0:1]
	v_cmp_le_u32_e32 vcc, s39, v4
	v_add_co_u32_e64 v12, s[0:1], 1, v5
	v_cndmask_b32_e64 v9, 0, -1, vcc
	v_cmp_le_u32_e32 vcc, s38, v3
	v_addc_co_u32_e64 v13, s[0:1], 0, v6, s[0:1]
	v_cndmask_b32_e64 v3, 0, -1, vcc
	v_cmp_eq_u32_e32 vcc, s39, v4
	v_cmp_ne_u32_e64 s[0:1], 0, v8
	v_cndmask_b32_e32 v3, v9, v3, vcc
	v_cmp_ne_u32_e32 vcc, 0, v3
	v_cndmask_b32_e64 v4, v12, v10, s[0:1]
	v_cndmask_b32_e64 v8, v13, v11, s[0:1]
	v_cndmask_b32_e32 v4, v5, v4, vcc
	v_xor_b32_e32 v5, s34, v7
	v_cndmask_b32_e32 v3, v6, v8, vcc
	v_xor_b32_e32 v4, v4, v5
	v_xor_b32_e32 v3, v3, v5
	v_sub_co_u32_e32 v4, vcc, v4, v5
	v_subb_co_u32_e32 v5, vcc, v3, v5, vcc
.LBB33_5:                               ;   in Loop: Header=BB33_3 Depth=1
	s_andn2_saveexec_b64 s[0:1], s[36:37]
	s_cbranch_execz .LBB33_7
; %bb.6:                                ;   in Loop: Header=BB33_3 Depth=1
	v_cvt_f32_u32_e32 v3, s33
	s_sub_i32 s15, 0, s33
	v_rcp_iflag_f32_e32 v3, v3
	v_mul_f32_e32 v3, 0x4f7ffffe, v3
	v_cvt_u32_f32_e32 v3, v3
	v_mul_lo_u32 v4, s15, v3
	v_mul_hi_u32 v4, v3, v4
	v_add_u32_e32 v3, v3, v4
	v_mul_hi_u32 v3, v0, v3
	v_mul_lo_u32 v4, v3, s33
	v_add_u32_e32 v5, 1, v3
	v_sub_u32_e32 v4, v0, v4
	v_subrev_u32_e32 v6, s33, v4
	v_cmp_le_u32_e32 vcc, s33, v4
	v_cndmask_b32_e32 v4, v4, v6, vcc
	v_cndmask_b32_e32 v3, v3, v5, vcc
	v_add_u32_e32 v5, 1, v3
	v_cmp_le_u32_e32 vcc, s33, v4
	v_cndmask_b32_e32 v4, v3, v5, vcc
	v_mov_b32_e32 v5, v2
.LBB33_7:                               ;   in Loop: Header=BB33_3 Depth=1
	s_or_b64 exec, exec, s[0:1]
	v_or_b32_e32 v3, s49, v5
	v_cmp_ne_u64_e32 vcc, 0, v[2:3]
                                        ; implicit-def: $vgpr8_vgpr9
	s_and_saveexec_b64 s[0:1], vcc
	s_xor_b64 s[36:37], exec, s[0:1]
	s_cbranch_execz .LBB33_9
; %bb.8:                                ;   in Loop: Header=BB33_3 Depth=1
	s_ashr_i32 s38, s49, 31
	s_add_u32 s0, s6, s38
	s_mov_b32 s39, s38
	s_addc_u32 s1, s49, s38
	s_xor_b64 s[40:41], s[0:1], s[38:39]
	v_cvt_f32_u32_e32 v3, s40
	v_cvt_f32_u32_e32 v6, s41
	s_sub_u32 s15, 0, s40
	s_subb_u32 s17, 0, s41
	v_mac_f32_e32 v3, 0x4f800000, v6
	v_rcp_f32_e32 v3, v3
	v_mul_f32_e32 v3, 0x5f7ffffc, v3
	v_mul_f32_e32 v6, 0x2f800000, v3
	v_trunc_f32_e32 v6, v6
	v_mac_f32_e32 v3, 0xcf800000, v6
	v_cvt_u32_f32_e32 v6, v6
	v_cvt_u32_f32_e32 v3, v3
	v_readfirstlane_b32 s20, v6
	v_readfirstlane_b32 s0, v3
	s_mul_i32 s1, s15, s20
	s_mul_hi_u32 s39, s15, s0
	s_mul_i32 s35, s17, s0
	s_add_i32 s1, s39, s1
	s_add_i32 s1, s1, s35
	s_mul_i32 s42, s15, s0
	s_mul_i32 s39, s0, s1
	s_mul_hi_u32 s43, s0, s42
	s_mul_hi_u32 s35, s0, s1
	s_add_u32 s39, s43, s39
	s_addc_u32 s35, 0, s35
	s_mul_hi_u32 s44, s20, s42
	s_mul_i32 s42, s20, s42
	s_add_u32 s39, s39, s42
	s_mul_hi_u32 s43, s20, s1
	s_addc_u32 s35, s35, s44
	s_addc_u32 s39, s43, 0
	s_mul_i32 s1, s20, s1
	s_add_u32 s1, s35, s1
	s_addc_u32 s35, 0, s39
	s_add_u32 s39, s0, s1
	s_cselect_b64 s[0:1], -1, 0
	s_cmp_lg_u64 s[0:1], 0
	s_addc_u32 s20, s20, s35
	s_mul_i32 s0, s15, s20
	s_mul_hi_u32 s1, s15, s39
	s_add_i32 s0, s1, s0
	s_mul_i32 s17, s17, s39
	s_add_i32 s0, s0, s17
	s_mul_i32 s15, s15, s39
	s_mul_hi_u32 s17, s20, s15
	s_mul_i32 s35, s20, s15
	s_mul_i32 s43, s39, s0
	s_mul_hi_u32 s15, s39, s15
	s_mul_hi_u32 s42, s39, s0
	s_add_u32 s15, s15, s43
	s_addc_u32 s42, 0, s42
	s_add_u32 s15, s15, s35
	s_mul_hi_u32 s1, s20, s0
	s_addc_u32 s15, s42, s17
	s_addc_u32 s1, s1, 0
	s_mul_i32 s0, s20, s0
	s_add_u32 s0, s15, s0
	s_addc_u32 s15, 0, s1
	s_add_u32 s17, s39, s0
	s_cselect_b64 s[0:1], -1, 0
	v_ashrrev_i32_e32 v3, 31, v5
	s_cmp_lg_u64 s[0:1], 0
	v_add_co_u32_e32 v6, vcc, v4, v3
	s_addc_u32 s15, s20, s15
	v_xor_b32_e32 v9, v6, v3
	v_addc_co_u32_e32 v7, vcc, v5, v3, vcc
	v_mad_u64_u32 v[5:6], s[0:1], v9, s15, 0
	v_mul_hi_u32 v8, v9, s17
	v_xor_b32_e32 v10, v7, v3
	v_xor_b32_e32 v3, s38, v3
	v_add_co_u32_e32 v11, vcc, v8, v5
	v_addc_co_u32_e32 v12, vcc, 0, v6, vcc
	v_mad_u64_u32 v[5:6], s[0:1], v10, s17, 0
	v_mad_u64_u32 v[7:8], s[0:1], v10, s15, 0
	v_add_co_u32_e32 v5, vcc, v11, v5
	v_addc_co_u32_e32 v5, vcc, v12, v6, vcc
	v_addc_co_u32_e32 v6, vcc, 0, v8, vcc
	v_add_co_u32_e32 v7, vcc, v5, v7
	v_addc_co_u32_e32 v8, vcc, 0, v6, vcc
	v_mul_lo_u32 v11, s41, v7
	v_mul_lo_u32 v12, s40, v8
	v_mad_u64_u32 v[5:6], s[0:1], s40, v7, 0
	v_add3_u32 v6, v6, v12, v11
	v_sub_u32_e32 v11, v10, v6
	v_mov_b32_e32 v12, s41
	v_sub_co_u32_e32 v5, vcc, v9, v5
	v_subb_co_u32_e64 v9, s[0:1], v11, v12, vcc
	v_subrev_co_u32_e64 v11, s[0:1], s40, v5
	v_subbrev_co_u32_e64 v9, s[0:1], 0, v9, s[0:1]
	v_cmp_le_u32_e64 s[0:1], s41, v9
	v_cndmask_b32_e64 v12, 0, -1, s[0:1]
	v_cmp_le_u32_e64 s[0:1], s40, v11
	v_cndmask_b32_e64 v11, 0, -1, s[0:1]
	v_cmp_eq_u32_e64 s[0:1], s41, v9
	v_cndmask_b32_e64 v9, v12, v11, s[0:1]
	v_add_co_u32_e64 v11, s[0:1], 2, v7
	v_subb_co_u32_e32 v6, vcc, v10, v6, vcc
	v_addc_co_u32_e64 v12, s[0:1], 0, v8, s[0:1]
	v_cmp_le_u32_e32 vcc, s41, v6
	v_add_co_u32_e64 v13, s[0:1], 1, v7
	v_cndmask_b32_e64 v10, 0, -1, vcc
	v_cmp_le_u32_e32 vcc, s40, v5
	v_addc_co_u32_e64 v14, s[0:1], 0, v8, s[0:1]
	v_cndmask_b32_e64 v5, 0, -1, vcc
	v_cmp_eq_u32_e32 vcc, s41, v6
	v_cmp_ne_u32_e64 s[0:1], 0, v9
	v_cndmask_b32_e32 v5, v10, v5, vcc
	v_cmp_ne_u32_e32 vcc, 0, v5
	v_cndmask_b32_e64 v6, v13, v11, s[0:1]
	v_cndmask_b32_e64 v9, v14, v12, s[0:1]
	v_cndmask_b32_e32 v6, v7, v6, vcc
	v_cndmask_b32_e32 v5, v8, v9, vcc
	v_xor_b32_e32 v6, v6, v3
	v_xor_b32_e32 v5, v5, v3
	v_sub_co_u32_e32 v8, vcc, v6, v3
	v_subb_co_u32_e32 v9, vcc, v5, v3, vcc
.LBB33_9:                               ;   in Loop: Header=BB33_3 Depth=1
	s_andn2_saveexec_b64 s[0:1], s[36:37]
	s_cbranch_execz .LBB33_11
; %bb.10:                               ;   in Loop: Header=BB33_3 Depth=1
	v_cvt_f32_u32_e32 v3, s6
	s_sub_i32 s15, 0, s6
	v_mov_b32_e32 v9, v2
	v_rcp_iflag_f32_e32 v3, v3
	v_mul_f32_e32 v3, 0x4f7ffffe, v3
	v_cvt_u32_f32_e32 v3, v3
	v_mul_lo_u32 v5, s15, v3
	v_mul_hi_u32 v5, v3, v5
	v_add_u32_e32 v3, v3, v5
	v_mul_hi_u32 v3, v4, v3
	v_mul_lo_u32 v5, v3, s6
	v_add_u32_e32 v6, 1, v3
	v_sub_u32_e32 v5, v4, v5
	v_subrev_u32_e32 v7, s6, v5
	v_cmp_le_u32_e32 vcc, s6, v5
	v_cndmask_b32_e32 v5, v5, v7, vcc
	v_cndmask_b32_e32 v3, v3, v6, vcc
	v_add_u32_e32 v6, 1, v3
	v_cmp_le_u32_e32 vcc, s6, v5
	v_cndmask_b32_e32 v8, v3, v6, vcc
.LBB33_11:                              ;   in Loop: Header=BB33_3 Depth=1
	s_or_b64 exec, exec, s[0:1]
	v_mad_u64_u32 v[5:6], s[0:1], v4, s33, 0
	v_mad_u64_u32 v[6:7], s[0:1], v8, s6, 0
	v_sub_co_u32_e32 v18, vcc, v0, v5
	v_mul_lo_u32 v3, s26, v18
	v_sub_co_u32_e32 v19, vcc, v4, v6
	v_mul_lo_u32 v4, s28, v18
	s_andn2_b64 vcc, exec, s[12:13]
	v_mad_u64_u32 v[6:7], s[0:1], s14, v19, v[3:4]
	v_mad_u64_u32 v[4:5], s[0:1], s16, v19, v[4:5]
	s_cbranch_vccnz .LBB33_39
; %bb.12:                               ;   in Loop: Header=BB33_3 Depth=1
	s_mov_b32 s15, 1
	s_andn2_b64 vcc, exec, s[22:23]
	s_mov_b32 s20, s50
	s_mov_b32 s0, s50
	s_cbranch_vccnz .LBB33_20
.LBB33_13:                              ;   Parent Loop BB33_3 Depth=1
                                        ; =>  This Inner Loop Header: Depth=2
	s_lshl_b64 s[36:37], s[20:21], 2
	s_add_u32 s38, s46, s36
	s_addc_u32 s39, s47, s37
	s_load_dword s17, s[38:39], 0x8
                                        ; implicit-def: $vgpr10_vgpr11
	s_waitcnt lgkmcnt(0)
	s_ashr_i32 s0, s17, 31
	v_or_b32_e32 v3, s0, v9
	v_cmp_ne_u64_e32 vcc, 0, v[2:3]
	s_and_saveexec_b64 s[40:41], vcc
	s_xor_b64 s[40:41], exec, s[40:41]
	s_cbranch_execz .LBB33_15
; %bb.14:                               ;   in Loop: Header=BB33_13 Depth=2
	s_ashr_i32 s42, s0, 31
	s_add_u32 s44, s17, s42
	s_mov_b32 s43, s42
	s_addc_u32 s45, s0, s42
	s_xor_b64 s[44:45], s[44:45], s[42:43]
	v_cvt_f32_u32_e32 v3, s44
	v_cvt_f32_u32_e32 v5, s45
	s_sub_u32 s35, 0, s44
	s_subb_u32 s43, 0, s45
	v_mac_f32_e32 v3, 0x4f800000, v5
	v_rcp_f32_e32 v3, v3
	v_mul_f32_e32 v3, 0x5f7ffffc, v3
	v_mul_f32_e32 v5, 0x2f800000, v3
	v_trunc_f32_e32 v5, v5
	v_mac_f32_e32 v3, 0xcf800000, v5
	v_cvt_u32_f32_e32 v5, v5
	v_cvt_u32_f32_e32 v3, v3
	v_readfirstlane_b32 s53, v5
	v_readfirstlane_b32 s0, v3
	s_mul_i32 s1, s35, s53
	s_mul_hi_u32 s55, s35, s0
	s_mul_i32 s54, s43, s0
	s_add_i32 s1, s55, s1
	s_add_i32 s1, s1, s54
	s_mul_i32 s56, s35, s0
	s_mul_i32 s55, s0, s1
	s_mul_hi_u32 s57, s0, s56
	s_mul_hi_u32 s54, s0, s1
	s_add_u32 s55, s57, s55
	s_addc_u32 s54, 0, s54
	s_mul_hi_u32 s58, s53, s56
	s_mul_i32 s56, s53, s56
	s_add_u32 s55, s55, s56
	s_mul_hi_u32 s57, s53, s1
	s_addc_u32 s54, s54, s58
	s_addc_u32 s55, s57, 0
	s_mul_i32 s1, s53, s1
	s_add_u32 s1, s54, s1
	s_addc_u32 s54, 0, s55
	s_add_u32 s55, s0, s1
	s_cselect_b64 s[0:1], -1, 0
	s_cmp_lg_u64 s[0:1], 0
	s_addc_u32 s53, s53, s54
	s_mul_i32 s0, s35, s53
	s_mul_hi_u32 s1, s35, s55
	s_add_i32 s0, s1, s0
	s_mul_i32 s43, s43, s55
	s_add_i32 s0, s0, s43
	s_mul_i32 s35, s35, s55
	s_mul_hi_u32 s43, s53, s35
	s_mul_i32 s54, s53, s35
	s_mul_i32 s57, s55, s0
	s_mul_hi_u32 s35, s55, s35
	s_mul_hi_u32 s56, s55, s0
	s_add_u32 s35, s35, s57
	s_addc_u32 s56, 0, s56
	s_add_u32 s35, s35, s54
	s_mul_hi_u32 s1, s53, s0
	s_addc_u32 s35, s56, s43
	s_addc_u32 s1, s1, 0
	s_mul_i32 s0, s53, s0
	s_add_u32 s0, s35, s0
	s_addc_u32 s35, 0, s1
	s_add_u32 s43, s55, s0
	s_cselect_b64 s[0:1], -1, 0
	v_ashrrev_i32_e32 v3, 31, v9
	s_cmp_lg_u64 s[0:1], 0
	v_add_co_u32_e32 v5, vcc, v8, v3
	s_addc_u32 s35, s53, s35
	v_xor_b32_e32 v5, v5, v3
	v_addc_co_u32_e32 v7, vcc, v9, v3, vcc
	v_mad_u64_u32 v[9:10], s[0:1], v5, s35, 0
	v_mul_hi_u32 v11, v5, s43
	v_xor_b32_e32 v7, v7, v3
	v_xor_b32_e32 v3, s42, v3
	v_add_co_u32_e32 v13, vcc, v11, v9
	v_addc_co_u32_e32 v14, vcc, 0, v10, vcc
	v_mad_u64_u32 v[9:10], s[0:1], v7, s43, 0
	v_mad_u64_u32 v[11:12], s[0:1], v7, s35, 0
	v_add_co_u32_e32 v9, vcc, v13, v9
	v_addc_co_u32_e32 v9, vcc, v14, v10, vcc
	v_addc_co_u32_e32 v10, vcc, 0, v12, vcc
	v_add_co_u32_e32 v11, vcc, v9, v11
	v_addc_co_u32_e32 v12, vcc, 0, v10, vcc
	v_mul_lo_u32 v13, s45, v11
	v_mul_lo_u32 v14, s44, v12
	v_mad_u64_u32 v[9:10], s[0:1], s44, v11, 0
	v_add3_u32 v10, v10, v14, v13
	v_sub_u32_e32 v13, v7, v10
	v_mov_b32_e32 v14, s45
	v_sub_co_u32_e32 v5, vcc, v5, v9
	v_subb_co_u32_e64 v9, s[0:1], v13, v14, vcc
	v_subrev_co_u32_e64 v13, s[0:1], s44, v5
	v_subbrev_co_u32_e64 v9, s[0:1], 0, v9, s[0:1]
	v_cmp_le_u32_e64 s[0:1], s45, v9
	v_cndmask_b32_e64 v14, 0, -1, s[0:1]
	v_cmp_le_u32_e64 s[0:1], s44, v13
	v_cndmask_b32_e64 v13, 0, -1, s[0:1]
	v_cmp_eq_u32_e64 s[0:1], s45, v9
	v_cndmask_b32_e64 v9, v14, v13, s[0:1]
	v_add_co_u32_e64 v13, s[0:1], 2, v11
	v_subb_co_u32_e32 v7, vcc, v7, v10, vcc
	v_addc_co_u32_e64 v14, s[0:1], 0, v12, s[0:1]
	v_cmp_le_u32_e32 vcc, s45, v7
	v_add_co_u32_e64 v15, s[0:1], 1, v11
	v_cndmask_b32_e64 v10, 0, -1, vcc
	v_cmp_le_u32_e32 vcc, s44, v5
	v_addc_co_u32_e64 v16, s[0:1], 0, v12, s[0:1]
	v_cndmask_b32_e64 v5, 0, -1, vcc
	v_cmp_eq_u32_e32 vcc, s45, v7
	v_cmp_ne_u32_e64 s[0:1], 0, v9
	v_cndmask_b32_e32 v5, v10, v5, vcc
	v_cmp_ne_u32_e32 vcc, 0, v5
	v_cndmask_b32_e64 v7, v15, v13, s[0:1]
	v_cndmask_b32_e64 v9, v16, v14, s[0:1]
	v_cndmask_b32_e32 v7, v11, v7, vcc
	v_cndmask_b32_e32 v5, v12, v9, vcc
	v_xor_b32_e32 v7, v7, v3
	v_xor_b32_e32 v5, v5, v3
	v_sub_co_u32_e32 v10, vcc, v7, v3
	v_subb_co_u32_e32 v11, vcc, v5, v3, vcc
.LBB33_15:                              ;   in Loop: Header=BB33_13 Depth=2
	s_andn2_saveexec_b64 s[0:1], s[40:41]
	s_cbranch_execz .LBB33_17
; %bb.16:                               ;   in Loop: Header=BB33_13 Depth=2
	v_cvt_f32_u32_e32 v3, s17
	s_sub_i32 s35, 0, s17
	v_mov_b32_e32 v11, v2
	v_rcp_iflag_f32_e32 v3, v3
	v_mul_f32_e32 v3, 0x4f7ffffe, v3
	v_cvt_u32_f32_e32 v3, v3
	v_mul_lo_u32 v5, s35, v3
	v_mul_hi_u32 v5, v3, v5
	v_add_u32_e32 v3, v3, v5
	v_mul_hi_u32 v3, v8, v3
	v_mul_lo_u32 v5, v3, s17
	v_add_u32_e32 v7, 1, v3
	v_sub_u32_e32 v5, v8, v5
	v_subrev_u32_e32 v9, s17, v5
	v_cmp_le_u32_e32 vcc, s17, v5
	v_cndmask_b32_e32 v5, v5, v9, vcc
	v_cndmask_b32_e32 v3, v3, v7, vcc
	v_add_u32_e32 v7, 1, v3
	v_cmp_le_u32_e32 vcc, s17, v5
	v_cndmask_b32_e32 v10, v3, v7, vcc
.LBB33_17:                              ;   in Loop: Header=BB33_13 Depth=2
	s_or_b64 exec, exec, s[0:1]
	s_add_u32 s0, s4, s36
	s_addc_u32 s1, s5, s37
	v_mul_lo_u32 v3, v10, s17
	s_load_dword s17, s[38:39], 0x6c
	s_load_dword s35, s[0:1], 0x6c
	s_add_i32 s20, s20, -1
	v_sub_u32_e32 v3, v8, v3
	s_waitcnt lgkmcnt(0)
	v_mad_u64_u32 v[6:7], s[0:1], s17, v3, v[6:7]
	v_mad_u64_u32 v[4:5], s[0:1], s35, v3, v[4:5]
	s_xor_b32 s0, s52, s15
	s_add_i32 s15, s15, 1
	s_cmp_lg_u32 s0, 2
	s_cbranch_scc0 .LBB33_19
; %bb.18:                               ;   in Loop: Header=BB33_13 Depth=2
	v_mov_b32_e32 v8, v10
	v_mov_b32_e32 v9, v11
	s_branch .LBB33_13
.LBB33_19:                              ;   in Loop: Header=BB33_3 Depth=1
	v_mov_b32_e32 v8, v10
	s_mov_b32 s0, s20
	v_mov_b32_e32 v9, v11
.LBB33_20:                              ;   in Loop: Header=BB33_3 Depth=1
	s_and_b64 vcc, exec, s[24:25]
	s_mov_b32 s20, s0
	s_cbranch_vccz .LBB33_39
.LBB33_21:                              ;   Parent Loop BB33_3 Depth=1
                                        ; =>  This Inner Loop Header: Depth=2
	s_lshl_b64 s[36:37], s[20:21], 2
	s_add_u32 s38, s46, s36
	s_addc_u32 s39, s47, s37
	s_load_dword s15, s[38:39], 0x8
                                        ; implicit-def: $vgpr10_vgpr11
	s_waitcnt lgkmcnt(0)
	s_ashr_i32 s0, s15, 31
	v_or_b32_e32 v3, s0, v9
	v_cmp_ne_u64_e32 vcc, 0, v[2:3]
	s_and_saveexec_b64 s[40:41], vcc
	s_xor_b64 s[40:41], exec, s[40:41]
	s_cbranch_execz .LBB33_23
; %bb.22:                               ;   in Loop: Header=BB33_21 Depth=2
	s_ashr_i32 s42, s0, 31
	s_add_u32 s44, s15, s42
	s_mov_b32 s43, s42
	s_addc_u32 s45, s0, s42
	s_xor_b64 s[44:45], s[44:45], s[42:43]
	v_cvt_f32_u32_e32 v3, s44
	v_cvt_f32_u32_e32 v5, s45
	s_sub_u32 s17, 0, s44
	s_subb_u32 s35, 0, s45
	v_mac_f32_e32 v3, 0x4f800000, v5
	v_rcp_f32_e32 v3, v3
	v_mul_f32_e32 v3, 0x5f7ffffc, v3
	v_mul_f32_e32 v5, 0x2f800000, v3
	v_trunc_f32_e32 v5, v5
	v_mac_f32_e32 v3, 0xcf800000, v5
	v_cvt_u32_f32_e32 v5, v5
	v_cvt_u32_f32_e32 v3, v3
	v_readfirstlane_b32 s43, v5
	v_readfirstlane_b32 s0, v3
	s_mul_i32 s1, s17, s43
	s_mul_hi_u32 s54, s17, s0
	s_mul_i32 s53, s35, s0
	s_add_i32 s1, s54, s1
	s_add_i32 s1, s1, s53
	s_mul_i32 s55, s17, s0
	s_mul_i32 s54, s0, s1
	s_mul_hi_u32 s56, s0, s55
	s_mul_hi_u32 s53, s0, s1
	s_add_u32 s54, s56, s54
	s_addc_u32 s53, 0, s53
	s_mul_hi_u32 s57, s43, s55
	s_mul_i32 s55, s43, s55
	s_add_u32 s54, s54, s55
	s_mul_hi_u32 s56, s43, s1
	s_addc_u32 s53, s53, s57
	s_addc_u32 s54, s56, 0
	s_mul_i32 s1, s43, s1
	s_add_u32 s1, s53, s1
	s_addc_u32 s53, 0, s54
	s_add_u32 s54, s0, s1
	s_cselect_b64 s[0:1], -1, 0
	s_cmp_lg_u64 s[0:1], 0
	s_addc_u32 s43, s43, s53
	s_mul_i32 s0, s17, s43
	s_mul_hi_u32 s1, s17, s54
	s_add_i32 s0, s1, s0
	s_mul_i32 s35, s35, s54
	s_add_i32 s0, s0, s35
	s_mul_i32 s17, s17, s54
	s_mul_hi_u32 s35, s43, s17
	s_mul_i32 s53, s43, s17
	s_mul_i32 s56, s54, s0
	s_mul_hi_u32 s17, s54, s17
	s_mul_hi_u32 s55, s54, s0
	s_add_u32 s17, s17, s56
	s_addc_u32 s55, 0, s55
	s_add_u32 s17, s17, s53
	s_mul_hi_u32 s1, s43, s0
	s_addc_u32 s17, s55, s35
	s_addc_u32 s1, s1, 0
	s_mul_i32 s0, s43, s0
	s_add_u32 s0, s17, s0
	s_addc_u32 s17, 0, s1
	s_add_u32 s35, s54, s0
	s_cselect_b64 s[0:1], -1, 0
	v_ashrrev_i32_e32 v3, 31, v9
	s_cmp_lg_u64 s[0:1], 0
	v_add_co_u32_e32 v5, vcc, v8, v3
	s_addc_u32 s17, s43, s17
	v_xor_b32_e32 v5, v5, v3
	v_addc_co_u32_e32 v7, vcc, v9, v3, vcc
	v_mad_u64_u32 v[9:10], s[0:1], v5, s17, 0
	v_mul_hi_u32 v11, v5, s35
	v_xor_b32_e32 v7, v7, v3
	v_xor_b32_e32 v3, s42, v3
	v_add_co_u32_e32 v13, vcc, v11, v9
	v_addc_co_u32_e32 v14, vcc, 0, v10, vcc
	v_mad_u64_u32 v[9:10], s[0:1], v7, s35, 0
	v_mad_u64_u32 v[11:12], s[0:1], v7, s17, 0
	v_add_co_u32_e32 v9, vcc, v13, v9
	v_addc_co_u32_e32 v9, vcc, v14, v10, vcc
	v_addc_co_u32_e32 v10, vcc, 0, v12, vcc
	v_add_co_u32_e32 v11, vcc, v9, v11
	v_addc_co_u32_e32 v12, vcc, 0, v10, vcc
	v_mul_lo_u32 v13, s45, v11
	v_mul_lo_u32 v14, s44, v12
	v_mad_u64_u32 v[9:10], s[0:1], s44, v11, 0
	v_add3_u32 v10, v10, v14, v13
	v_sub_u32_e32 v13, v7, v10
	v_mov_b32_e32 v14, s45
	v_sub_co_u32_e32 v5, vcc, v5, v9
	v_subb_co_u32_e64 v9, s[0:1], v13, v14, vcc
	v_subrev_co_u32_e64 v13, s[0:1], s44, v5
	v_subbrev_co_u32_e64 v9, s[0:1], 0, v9, s[0:1]
	v_cmp_le_u32_e64 s[0:1], s45, v9
	v_cndmask_b32_e64 v14, 0, -1, s[0:1]
	v_cmp_le_u32_e64 s[0:1], s44, v13
	v_cndmask_b32_e64 v13, 0, -1, s[0:1]
	v_cmp_eq_u32_e64 s[0:1], s45, v9
	v_cndmask_b32_e64 v9, v14, v13, s[0:1]
	v_add_co_u32_e64 v13, s[0:1], 2, v11
	v_subb_co_u32_e32 v7, vcc, v7, v10, vcc
	v_addc_co_u32_e64 v14, s[0:1], 0, v12, s[0:1]
	v_cmp_le_u32_e32 vcc, s45, v7
	v_add_co_u32_e64 v15, s[0:1], 1, v11
	v_cndmask_b32_e64 v10, 0, -1, vcc
	v_cmp_le_u32_e32 vcc, s44, v5
	v_addc_co_u32_e64 v16, s[0:1], 0, v12, s[0:1]
	v_cndmask_b32_e64 v5, 0, -1, vcc
	v_cmp_eq_u32_e32 vcc, s45, v7
	v_cmp_ne_u32_e64 s[0:1], 0, v9
	v_cndmask_b32_e32 v5, v10, v5, vcc
	v_cmp_ne_u32_e32 vcc, 0, v5
	v_cndmask_b32_e64 v7, v15, v13, s[0:1]
	v_cndmask_b32_e64 v9, v16, v14, s[0:1]
	v_cndmask_b32_e32 v7, v11, v7, vcc
	v_cndmask_b32_e32 v5, v12, v9, vcc
	v_xor_b32_e32 v7, v7, v3
	v_xor_b32_e32 v5, v5, v3
	v_sub_co_u32_e32 v10, vcc, v7, v3
	v_subb_co_u32_e32 v11, vcc, v5, v3, vcc
.LBB33_23:                              ;   in Loop: Header=BB33_21 Depth=2
	s_andn2_saveexec_b64 s[0:1], s[40:41]
	s_cbranch_execz .LBB33_25
; %bb.24:                               ;   in Loop: Header=BB33_21 Depth=2
	v_cvt_f32_u32_e32 v3, s15
	s_sub_i32 s17, 0, s15
	v_mov_b32_e32 v11, v2
	v_rcp_iflag_f32_e32 v3, v3
	v_mul_f32_e32 v3, 0x4f7ffffe, v3
	v_cvt_u32_f32_e32 v3, v3
	v_mul_lo_u32 v5, s17, v3
	v_mul_hi_u32 v5, v3, v5
	v_add_u32_e32 v3, v3, v5
	v_mul_hi_u32 v3, v8, v3
	v_mul_lo_u32 v5, v3, s15
	v_add_u32_e32 v7, 1, v3
	v_sub_u32_e32 v5, v8, v5
	v_subrev_u32_e32 v9, s15, v5
	v_cmp_le_u32_e32 vcc, s15, v5
	v_cndmask_b32_e32 v5, v5, v9, vcc
	v_cndmask_b32_e32 v3, v3, v7, vcc
	v_add_u32_e32 v7, 1, v3
	v_cmp_le_u32_e32 vcc, s15, v5
	v_cndmask_b32_e32 v10, v3, v7, vcc
.LBB33_25:                              ;   in Loop: Header=BB33_21 Depth=2
	s_or_b64 exec, exec, s[0:1]
	s_add_u32 s0, s4, s36
	s_addc_u32 s1, s5, s37
	s_add_i32 s36, s20, -1
	s_mov_b32 s37, s21
	s_lshl_b64 s[40:41], s[36:37], 2
	s_add_u32 s36, s46, s40
	s_addc_u32 s37, s47, s41
	s_load_dword s53, s[36:37], 0x8
	s_load_dword s35, s[38:39], 0x6c
	;; [unrolled: 1-line block ×3, first 2 shown]
                                        ; implicit-def: $vgpr12_vgpr13
	s_waitcnt lgkmcnt(0)
	s_ashr_i32 s0, s53, 31
	v_or_b32_e32 v3, s0, v11
	v_cmp_ne_u64_e32 vcc, 0, v[2:3]
	s_and_saveexec_b64 s[38:39], vcc
	s_xor_b64 s[38:39], exec, s[38:39]
	s_cbranch_execz .LBB33_27
; %bb.26:                               ;   in Loop: Header=BB33_21 Depth=2
	s_ashr_i32 s42, s0, 31
	s_add_u32 s44, s53, s42
	s_mov_b32 s43, s42
	s_addc_u32 s45, s0, s42
	s_xor_b64 s[44:45], s[44:45], s[42:43]
	v_cvt_f32_u32_e32 v3, s44
	v_cvt_f32_u32_e32 v5, s45
	s_sub_u32 s43, 0, s44
	s_subb_u32 s54, 0, s45
	v_mac_f32_e32 v3, 0x4f800000, v5
	v_rcp_f32_e32 v3, v3
	v_mul_f32_e32 v3, 0x5f7ffffc, v3
	v_mul_f32_e32 v5, 0x2f800000, v3
	v_trunc_f32_e32 v5, v5
	v_mac_f32_e32 v3, 0xcf800000, v5
	v_cvt_u32_f32_e32 v5, v5
	v_cvt_u32_f32_e32 v3, v3
	v_readfirstlane_b32 s55, v5
	v_readfirstlane_b32 s0, v3
	s_mul_i32 s1, s43, s55
	s_mul_hi_u32 s57, s43, s0
	s_mul_i32 s56, s54, s0
	s_add_i32 s1, s57, s1
	s_add_i32 s1, s1, s56
	s_mul_i32 s58, s43, s0
	s_mul_i32 s57, s0, s1
	s_mul_hi_u32 s59, s0, s58
	s_mul_hi_u32 s56, s0, s1
	s_add_u32 s57, s59, s57
	s_addc_u32 s56, 0, s56
	s_mul_hi_u32 s60, s55, s58
	s_mul_i32 s58, s55, s58
	s_add_u32 s57, s57, s58
	s_mul_hi_u32 s59, s55, s1
	s_addc_u32 s56, s56, s60
	s_addc_u32 s57, s59, 0
	s_mul_i32 s1, s55, s1
	s_add_u32 s1, s56, s1
	s_addc_u32 s56, 0, s57
	s_add_u32 s57, s0, s1
	s_cselect_b64 s[0:1], -1, 0
	s_cmp_lg_u64 s[0:1], 0
	s_addc_u32 s55, s55, s56
	s_mul_i32 s0, s43, s55
	s_mul_hi_u32 s1, s43, s57
	s_add_i32 s0, s1, s0
	s_mul_i32 s54, s54, s57
	s_add_i32 s0, s0, s54
	s_mul_i32 s43, s43, s57
	s_mul_hi_u32 s54, s55, s43
	s_mul_i32 s56, s55, s43
	s_mul_i32 s59, s57, s0
	s_mul_hi_u32 s43, s57, s43
	s_mul_hi_u32 s58, s57, s0
	s_add_u32 s43, s43, s59
	s_addc_u32 s58, 0, s58
	s_add_u32 s43, s43, s56
	s_mul_hi_u32 s1, s55, s0
	s_addc_u32 s43, s58, s54
	s_addc_u32 s1, s1, 0
	s_mul_i32 s0, s55, s0
	s_add_u32 s0, s43, s0
	s_addc_u32 s43, 0, s1
	s_add_u32 s54, s57, s0
	s_cselect_b64 s[0:1], -1, 0
	v_ashrrev_i32_e32 v3, 31, v11
	s_cmp_lg_u64 s[0:1], 0
	v_add_co_u32_e32 v5, vcc, v10, v3
	s_addc_u32 s43, s55, s43
	v_xor_b32_e32 v5, v5, v3
	v_addc_co_u32_e32 v7, vcc, v11, v3, vcc
	v_mad_u64_u32 v[11:12], s[0:1], v5, s43, 0
	v_mul_hi_u32 v9, v5, s54
	v_xor_b32_e32 v7, v7, v3
	v_mad_u64_u32 v[13:14], s[0:1], v7, s43, 0
	v_add_co_u32_e32 v9, vcc, v9, v11
	v_addc_co_u32_e32 v15, vcc, 0, v12, vcc
	v_mad_u64_u32 v[11:12], s[0:1], v7, s54, 0
	v_xor_b32_e32 v3, s42, v3
	v_add_co_u32_e32 v9, vcc, v9, v11
	v_addc_co_u32_e32 v9, vcc, v15, v12, vcc
	v_addc_co_u32_e32 v11, vcc, 0, v14, vcc
	v_add_co_u32_e32 v9, vcc, v9, v13
	v_addc_co_u32_e32 v13, vcc, 0, v11, vcc
	v_mul_lo_u32 v14, s45, v9
	v_mul_lo_u32 v15, s44, v13
	v_mad_u64_u32 v[11:12], s[0:1], s44, v9, 0
	v_add3_u32 v12, v12, v15, v14
	v_sub_u32_e32 v14, v7, v12
	v_mov_b32_e32 v15, s45
	v_sub_co_u32_e32 v5, vcc, v5, v11
	v_subb_co_u32_e64 v11, s[0:1], v14, v15, vcc
	v_subrev_co_u32_e64 v14, s[0:1], s44, v5
	v_subbrev_co_u32_e64 v11, s[0:1], 0, v11, s[0:1]
	v_cmp_le_u32_e64 s[0:1], s45, v11
	v_cndmask_b32_e64 v15, 0, -1, s[0:1]
	v_cmp_le_u32_e64 s[0:1], s44, v14
	v_cndmask_b32_e64 v14, 0, -1, s[0:1]
	v_cmp_eq_u32_e64 s[0:1], s45, v11
	v_cndmask_b32_e64 v11, v15, v14, s[0:1]
	v_add_co_u32_e64 v14, s[0:1], 2, v9
	v_subb_co_u32_e32 v7, vcc, v7, v12, vcc
	v_addc_co_u32_e64 v15, s[0:1], 0, v13, s[0:1]
	v_cmp_le_u32_e32 vcc, s45, v7
	v_add_co_u32_e64 v16, s[0:1], 1, v9
	v_cndmask_b32_e64 v12, 0, -1, vcc
	v_cmp_le_u32_e32 vcc, s44, v5
	v_addc_co_u32_e64 v17, s[0:1], 0, v13, s[0:1]
	v_cndmask_b32_e64 v5, 0, -1, vcc
	v_cmp_eq_u32_e32 vcc, s45, v7
	v_cmp_ne_u32_e64 s[0:1], 0, v11
	v_cndmask_b32_e32 v5, v12, v5, vcc
	v_cmp_ne_u32_e32 vcc, 0, v5
	v_cndmask_b32_e64 v7, v16, v14, s[0:1]
	v_cndmask_b32_e64 v11, v17, v15, s[0:1]
	v_cndmask_b32_e32 v7, v9, v7, vcc
	v_cndmask_b32_e32 v5, v13, v11, vcc
	v_xor_b32_e32 v7, v7, v3
	v_xor_b32_e32 v5, v5, v3
	v_sub_co_u32_e32 v12, vcc, v7, v3
	v_subb_co_u32_e32 v13, vcc, v5, v3, vcc
.LBB33_27:                              ;   in Loop: Header=BB33_21 Depth=2
	s_andn2_saveexec_b64 s[0:1], s[38:39]
	s_cbranch_execz .LBB33_29
; %bb.28:                               ;   in Loop: Header=BB33_21 Depth=2
	v_cvt_f32_u32_e32 v3, s53
	s_sub_i32 s38, 0, s53
	v_mov_b32_e32 v13, v2
	v_rcp_iflag_f32_e32 v3, v3
	v_mul_f32_e32 v3, 0x4f7ffffe, v3
	v_cvt_u32_f32_e32 v3, v3
	v_mul_lo_u32 v5, s38, v3
	v_mul_hi_u32 v5, v3, v5
	v_add_u32_e32 v3, v3, v5
	v_mul_hi_u32 v3, v10, v3
	v_mul_lo_u32 v5, v3, s53
	v_add_u32_e32 v7, 1, v3
	v_sub_u32_e32 v5, v10, v5
	v_subrev_u32_e32 v9, s53, v5
	v_cmp_le_u32_e32 vcc, s53, v5
	v_cndmask_b32_e32 v5, v5, v9, vcc
	v_cndmask_b32_e32 v3, v3, v7, vcc
	v_add_u32_e32 v7, 1, v3
	v_cmp_le_u32_e32 vcc, s53, v5
	v_cndmask_b32_e32 v12, v3, v7, vcc
.LBB33_29:                              ;   in Loop: Header=BB33_21 Depth=2
	s_or_b64 exec, exec, s[0:1]
	s_add_u32 s0, s4, s40
	s_addc_u32 s1, s5, s41
	s_add_i32 s38, s20, -2
	s_mov_b32 s39, s21
	s_lshl_b64 s[38:39], s[38:39], 2
	s_add_u32 s40, s46, s38
	s_addc_u32 s41, s47, s39
	s_load_dword s55, s[40:41], 0x8
	s_load_dword s56, s[36:37], 0x6c
	;; [unrolled: 1-line block ×3, first 2 shown]
                                        ; implicit-def: $vgpr14_vgpr15
	s_waitcnt lgkmcnt(0)
	s_ashr_i32 s0, s55, 31
	v_or_b32_e32 v3, s0, v13
	v_cmp_ne_u64_e32 vcc, 0, v[2:3]
	s_and_saveexec_b64 s[36:37], vcc
	s_xor_b64 s[36:37], exec, s[36:37]
	s_cbranch_execz .LBB33_31
; %bb.30:                               ;   in Loop: Header=BB33_21 Depth=2
	s_ashr_i32 s42, s0, 31
	s_add_u32 s44, s55, s42
	s_mov_b32 s43, s42
	s_addc_u32 s45, s0, s42
	s_xor_b64 s[44:45], s[44:45], s[42:43]
	v_cvt_f32_u32_e32 v3, s44
	v_cvt_f32_u32_e32 v5, s45
	s_sub_u32 s43, 0, s44
	s_subb_u32 s57, 0, s45
	v_mac_f32_e32 v3, 0x4f800000, v5
	v_rcp_f32_e32 v3, v3
	v_mul_f32_e32 v3, 0x5f7ffffc, v3
	v_mul_f32_e32 v5, 0x2f800000, v3
	v_trunc_f32_e32 v5, v5
	v_mac_f32_e32 v3, 0xcf800000, v5
	v_cvt_u32_f32_e32 v5, v5
	v_cvt_u32_f32_e32 v3, v3
	v_readfirstlane_b32 s58, v5
	v_readfirstlane_b32 s0, v3
	s_mul_i32 s1, s43, s58
	s_mul_hi_u32 s60, s43, s0
	s_mul_i32 s59, s57, s0
	s_add_i32 s1, s60, s1
	s_add_i32 s1, s1, s59
	s_mul_i32 s61, s43, s0
	s_mul_i32 s60, s0, s1
	s_mul_hi_u32 s62, s0, s61
	s_mul_hi_u32 s59, s0, s1
	s_add_u32 s60, s62, s60
	s_addc_u32 s59, 0, s59
	s_mul_hi_u32 s63, s58, s61
	s_mul_i32 s61, s58, s61
	s_add_u32 s60, s60, s61
	s_mul_hi_u32 s62, s58, s1
	s_addc_u32 s59, s59, s63
	s_addc_u32 s60, s62, 0
	s_mul_i32 s1, s58, s1
	s_add_u32 s1, s59, s1
	s_addc_u32 s59, 0, s60
	s_add_u32 s60, s0, s1
	s_cselect_b64 s[0:1], -1, 0
	s_cmp_lg_u64 s[0:1], 0
	s_addc_u32 s58, s58, s59
	s_mul_i32 s0, s43, s58
	s_mul_hi_u32 s1, s43, s60
	s_add_i32 s0, s1, s0
	s_mul_i32 s57, s57, s60
	s_add_i32 s0, s0, s57
	s_mul_i32 s43, s43, s60
	s_mul_hi_u32 s57, s58, s43
	s_mul_i32 s59, s58, s43
	s_mul_i32 s62, s60, s0
	s_mul_hi_u32 s43, s60, s43
	s_mul_hi_u32 s61, s60, s0
	s_add_u32 s43, s43, s62
	s_addc_u32 s61, 0, s61
	s_add_u32 s43, s43, s59
	s_mul_hi_u32 s1, s58, s0
	s_addc_u32 s43, s61, s57
	s_addc_u32 s1, s1, 0
	s_mul_i32 s0, s58, s0
	s_add_u32 s0, s43, s0
	s_addc_u32 s43, 0, s1
	s_add_u32 s57, s60, s0
	s_cselect_b64 s[0:1], -1, 0
	v_ashrrev_i32_e32 v3, 31, v13
	s_cmp_lg_u64 s[0:1], 0
	v_add_co_u32_e32 v5, vcc, v12, v3
	s_addc_u32 s43, s58, s43
	v_xor_b32_e32 v5, v5, v3
	v_addc_co_u32_e32 v7, vcc, v13, v3, vcc
	v_mad_u64_u32 v[13:14], s[0:1], v5, s43, 0
	v_mul_hi_u32 v9, v5, s57
	v_xor_b32_e32 v7, v7, v3
	v_mad_u64_u32 v[15:16], s[0:1], v7, s43, 0
	v_add_co_u32_e32 v9, vcc, v9, v13
	v_addc_co_u32_e32 v11, vcc, 0, v14, vcc
	v_mad_u64_u32 v[13:14], s[0:1], v7, s57, 0
	v_xor_b32_e32 v3, s42, v3
	v_add_co_u32_e32 v9, vcc, v9, v13
	v_addc_co_u32_e32 v9, vcc, v11, v14, vcc
	v_addc_co_u32_e32 v11, vcc, 0, v16, vcc
	v_add_co_u32_e32 v9, vcc, v9, v15
	v_addc_co_u32_e32 v11, vcc, 0, v11, vcc
	v_mul_lo_u32 v15, s45, v9
	v_mul_lo_u32 v16, s44, v11
	v_mad_u64_u32 v[13:14], s[0:1], s44, v9, 0
	v_add3_u32 v14, v14, v16, v15
	v_sub_u32_e32 v15, v7, v14
	v_mov_b32_e32 v16, s45
	v_sub_co_u32_e32 v5, vcc, v5, v13
	v_subb_co_u32_e64 v13, s[0:1], v15, v16, vcc
	v_subrev_co_u32_e64 v15, s[0:1], s44, v5
	v_subbrev_co_u32_e64 v13, s[0:1], 0, v13, s[0:1]
	v_cmp_le_u32_e64 s[0:1], s45, v13
	v_cndmask_b32_e64 v16, 0, -1, s[0:1]
	v_cmp_le_u32_e64 s[0:1], s44, v15
	v_cndmask_b32_e64 v15, 0, -1, s[0:1]
	v_cmp_eq_u32_e64 s[0:1], s45, v13
	v_cndmask_b32_e64 v13, v16, v15, s[0:1]
	v_add_co_u32_e64 v15, s[0:1], 2, v9
	v_subb_co_u32_e32 v7, vcc, v7, v14, vcc
	v_addc_co_u32_e64 v16, s[0:1], 0, v11, s[0:1]
	v_cmp_le_u32_e32 vcc, s45, v7
	v_add_co_u32_e64 v17, s[0:1], 1, v9
	v_cndmask_b32_e64 v14, 0, -1, vcc
	v_cmp_le_u32_e32 vcc, s44, v5
	v_addc_co_u32_e64 v20, s[0:1], 0, v11, s[0:1]
	v_cndmask_b32_e64 v5, 0, -1, vcc
	v_cmp_eq_u32_e32 vcc, s45, v7
	v_cmp_ne_u32_e64 s[0:1], 0, v13
	v_cndmask_b32_e32 v5, v14, v5, vcc
	v_cmp_ne_u32_e32 vcc, 0, v5
	v_cndmask_b32_e64 v7, v17, v15, s[0:1]
	v_cndmask_b32_e64 v13, v20, v16, s[0:1]
	v_cndmask_b32_e32 v7, v9, v7, vcc
	v_cndmask_b32_e32 v5, v11, v13, vcc
	v_xor_b32_e32 v7, v7, v3
	v_xor_b32_e32 v5, v5, v3
	v_sub_co_u32_e32 v14, vcc, v7, v3
	v_subb_co_u32_e32 v15, vcc, v5, v3, vcc
.LBB33_31:                              ;   in Loop: Header=BB33_21 Depth=2
	s_andn2_saveexec_b64 s[0:1], s[36:37]
	s_cbranch_execz .LBB33_33
; %bb.32:                               ;   in Loop: Header=BB33_21 Depth=2
	v_cvt_f32_u32_e32 v3, s55
	s_sub_i32 s36, 0, s55
	v_mov_b32_e32 v15, v2
	v_rcp_iflag_f32_e32 v3, v3
	v_mul_f32_e32 v3, 0x4f7ffffe, v3
	v_cvt_u32_f32_e32 v3, v3
	v_mul_lo_u32 v5, s36, v3
	v_mul_hi_u32 v5, v3, v5
	v_add_u32_e32 v3, v3, v5
	v_mul_hi_u32 v3, v12, v3
	v_mul_lo_u32 v5, v3, s55
	v_add_u32_e32 v7, 1, v3
	v_sub_u32_e32 v5, v12, v5
	v_subrev_u32_e32 v9, s55, v5
	v_cmp_le_u32_e32 vcc, s55, v5
	v_cndmask_b32_e32 v5, v5, v9, vcc
	v_cndmask_b32_e32 v3, v3, v7, vcc
	v_add_u32_e32 v7, 1, v3
	v_cmp_le_u32_e32 vcc, s55, v5
	v_cndmask_b32_e32 v14, v3, v7, vcc
.LBB33_33:                              ;   in Loop: Header=BB33_21 Depth=2
	s_or_b64 exec, exec, s[0:1]
	s_add_u32 s0, s4, s38
	s_addc_u32 s1, s5, s39
	s_add_i32 s36, s20, -3
	s_mov_b32 s37, s21
	s_lshl_b64 s[36:37], s[36:37], 2
	s_add_u32 s38, s46, s36
	s_addc_u32 s39, s47, s37
	s_load_dword s58, s[38:39], 0x8
	s_load_dword s59, s[40:41], 0x6c
	;; [unrolled: 1-line block ×3, first 2 shown]
                                        ; implicit-def: $vgpr16_vgpr17
	s_waitcnt lgkmcnt(0)
	s_ashr_i32 s0, s58, 31
	v_or_b32_e32 v3, s0, v15
	v_cmp_ne_u64_e32 vcc, 0, v[2:3]
	s_and_saveexec_b64 s[40:41], vcc
	s_xor_b64 s[40:41], exec, s[40:41]
	s_cbranch_execz .LBB33_35
; %bb.34:                               ;   in Loop: Header=BB33_21 Depth=2
	s_ashr_i32 s42, s0, 31
	s_add_u32 s44, s58, s42
	s_mov_b32 s43, s42
	s_addc_u32 s45, s0, s42
	s_xor_b64 s[44:45], s[44:45], s[42:43]
	v_cvt_f32_u32_e32 v3, s44
	v_cvt_f32_u32_e32 v5, s45
	s_sub_u32 s43, 0, s44
	s_subb_u32 s60, 0, s45
	v_mac_f32_e32 v3, 0x4f800000, v5
	v_rcp_f32_e32 v3, v3
	v_mul_f32_e32 v3, 0x5f7ffffc, v3
	v_mul_f32_e32 v5, 0x2f800000, v3
	v_trunc_f32_e32 v5, v5
	v_mac_f32_e32 v3, 0xcf800000, v5
	v_cvt_u32_f32_e32 v5, v5
	v_cvt_u32_f32_e32 v3, v3
	v_readfirstlane_b32 s61, v5
	v_readfirstlane_b32 s0, v3
	s_mul_i32 s1, s43, s61
	s_mul_hi_u32 s63, s43, s0
	s_mul_i32 s62, s60, s0
	s_add_i32 s1, s63, s1
	s_add_i32 s1, s1, s62
	s_mul_i32 s64, s43, s0
	s_mul_i32 s63, s0, s1
	s_mul_hi_u32 s65, s0, s64
	s_mul_hi_u32 s62, s0, s1
	s_add_u32 s63, s65, s63
	s_addc_u32 s62, 0, s62
	s_mul_hi_u32 s66, s61, s64
	s_mul_i32 s64, s61, s64
	s_add_u32 s63, s63, s64
	s_mul_hi_u32 s65, s61, s1
	s_addc_u32 s62, s62, s66
	s_addc_u32 s63, s65, 0
	s_mul_i32 s1, s61, s1
	s_add_u32 s1, s62, s1
	s_addc_u32 s62, 0, s63
	s_add_u32 s63, s0, s1
	s_cselect_b64 s[0:1], -1, 0
	s_cmp_lg_u64 s[0:1], 0
	s_addc_u32 s61, s61, s62
	s_mul_i32 s0, s43, s61
	s_mul_hi_u32 s1, s43, s63
	s_add_i32 s0, s1, s0
	s_mul_i32 s60, s60, s63
	s_add_i32 s0, s0, s60
	s_mul_i32 s43, s43, s63
	s_mul_hi_u32 s60, s61, s43
	s_mul_i32 s62, s61, s43
	s_mul_i32 s65, s63, s0
	s_mul_hi_u32 s43, s63, s43
	s_mul_hi_u32 s64, s63, s0
	s_add_u32 s43, s43, s65
	s_addc_u32 s64, 0, s64
	s_add_u32 s43, s43, s62
	s_mul_hi_u32 s1, s61, s0
	s_addc_u32 s43, s64, s60
	s_addc_u32 s1, s1, 0
	s_mul_i32 s0, s61, s0
	s_add_u32 s0, s43, s0
	s_addc_u32 s43, 0, s1
	s_add_u32 s60, s63, s0
	s_cselect_b64 s[0:1], -1, 0
	v_ashrrev_i32_e32 v3, 31, v15
	s_cmp_lg_u64 s[0:1], 0
	v_add_co_u32_e32 v5, vcc, v14, v3
	s_addc_u32 s43, s61, s43
	v_xor_b32_e32 v5, v5, v3
	v_addc_co_u32_e32 v7, vcc, v15, v3, vcc
	v_mad_u64_u32 v[15:16], s[0:1], v5, s43, 0
	v_mul_hi_u32 v9, v5, s60
	v_xor_b32_e32 v7, v7, v3
	v_mad_u64_u32 v[20:21], s[0:1], v7, s43, 0
	v_add_co_u32_e32 v9, vcc, v9, v15
	v_addc_co_u32_e32 v11, vcc, 0, v16, vcc
	v_mad_u64_u32 v[15:16], s[0:1], v7, s60, 0
	v_xor_b32_e32 v3, s42, v3
	v_add_co_u32_e32 v9, vcc, v9, v15
	v_addc_co_u32_e32 v9, vcc, v11, v16, vcc
	v_addc_co_u32_e32 v11, vcc, 0, v21, vcc
	v_add_co_u32_e32 v9, vcc, v9, v20
	v_addc_co_u32_e32 v11, vcc, 0, v11, vcc
	v_mul_lo_u32 v13, s45, v9
	v_mul_lo_u32 v17, s44, v11
	v_mad_u64_u32 v[15:16], s[0:1], s44, v9, 0
	v_add3_u32 v13, v16, v17, v13
	v_sub_u32_e32 v16, v7, v13
	v_mov_b32_e32 v17, s45
	v_sub_co_u32_e32 v5, vcc, v5, v15
	v_subb_co_u32_e64 v15, s[0:1], v16, v17, vcc
	v_subrev_co_u32_e64 v16, s[0:1], s44, v5
	v_subbrev_co_u32_e64 v15, s[0:1], 0, v15, s[0:1]
	v_cmp_le_u32_e64 s[0:1], s45, v15
	v_cndmask_b32_e64 v17, 0, -1, s[0:1]
	v_cmp_le_u32_e64 s[0:1], s44, v16
	v_cndmask_b32_e64 v16, 0, -1, s[0:1]
	v_cmp_eq_u32_e64 s[0:1], s45, v15
	v_cndmask_b32_e64 v15, v17, v16, s[0:1]
	v_add_co_u32_e64 v16, s[0:1], 2, v9
	v_subb_co_u32_e32 v7, vcc, v7, v13, vcc
	v_addc_co_u32_e64 v17, s[0:1], 0, v11, s[0:1]
	v_cmp_le_u32_e32 vcc, s45, v7
	v_add_co_u32_e64 v20, s[0:1], 1, v9
	v_cndmask_b32_e64 v13, 0, -1, vcc
	v_cmp_le_u32_e32 vcc, s44, v5
	v_addc_co_u32_e64 v21, s[0:1], 0, v11, s[0:1]
	v_cndmask_b32_e64 v5, 0, -1, vcc
	v_cmp_eq_u32_e32 vcc, s45, v7
	v_cmp_ne_u32_e64 s[0:1], 0, v15
	v_cndmask_b32_e32 v5, v13, v5, vcc
	v_cmp_ne_u32_e32 vcc, 0, v5
	v_cndmask_b32_e64 v7, v20, v16, s[0:1]
	v_cndmask_b32_e64 v15, v21, v17, s[0:1]
	v_cndmask_b32_e32 v7, v9, v7, vcc
	v_cndmask_b32_e32 v5, v11, v15, vcc
	v_xor_b32_e32 v7, v7, v3
	v_xor_b32_e32 v5, v5, v3
	v_sub_co_u32_e32 v16, vcc, v7, v3
	v_subb_co_u32_e32 v17, vcc, v5, v3, vcc
.LBB33_35:                              ;   in Loop: Header=BB33_21 Depth=2
	s_andn2_saveexec_b64 s[0:1], s[40:41]
	s_cbranch_execz .LBB33_37
; %bb.36:                               ;   in Loop: Header=BB33_21 Depth=2
	v_cvt_f32_u32_e32 v3, s58
	s_sub_i32 s40, 0, s58
	v_mov_b32_e32 v17, v2
	v_rcp_iflag_f32_e32 v3, v3
	v_mul_f32_e32 v3, 0x4f7ffffe, v3
	v_cvt_u32_f32_e32 v3, v3
	v_mul_lo_u32 v5, s40, v3
	v_mul_hi_u32 v5, v3, v5
	v_add_u32_e32 v3, v3, v5
	v_mul_hi_u32 v3, v14, v3
	v_mul_lo_u32 v5, v3, s58
	v_add_u32_e32 v7, 1, v3
	v_sub_u32_e32 v5, v14, v5
	v_subrev_u32_e32 v9, s58, v5
	v_cmp_le_u32_e32 vcc, s58, v5
	v_cndmask_b32_e32 v5, v5, v9, vcc
	v_cndmask_b32_e32 v3, v3, v7, vcc
	v_add_u32_e32 v7, 1, v3
	v_cmp_le_u32_e32 vcc, s58, v5
	v_cndmask_b32_e32 v16, v3, v7, vcc
.LBB33_37:                              ;   in Loop: Header=BB33_21 Depth=2
	s_or_b64 exec, exec, s[0:1]
	v_mul_lo_u32 v3, v10, s15
	v_mul_lo_u32 v5, v12, s53
	;; [unrolled: 1-line block ×3, first 2 shown]
	s_add_u32 s0, s4, s36
	v_sub_u32_e32 v3, v8, v3
	v_sub_u32_e32 v5, v10, v5
	v_mul_lo_u32 v7, s35, v3
	v_mul_lo_u32 v8, s56, v5
	s_addc_u32 s1, s5, s37
	s_load_dword s15, s[38:39], 0x6c
	v_mul_lo_u32 v3, s17, v3
	v_add3_u32 v6, v7, v6, v8
	v_sub_u32_e32 v7, v12, v9
	v_mul_lo_u32 v9, v16, s58
	s_load_dword s0, s[0:1], 0x6c
	v_mul_lo_u32 v5, s54, v5
	v_mul_lo_u32 v8, s59, v7
	v_sub_u32_e32 v9, v14, v9
	s_waitcnt lgkmcnt(0)
	v_mul_lo_u32 v10, s15, v9
	v_add3_u32 v3, v3, v4, v5
	v_mul_lo_u32 v4, s57, v7
	v_mul_lo_u32 v5, s0, v9
	s_add_i32 s20, s20, -4
	v_add3_u32 v6, v8, v6, v10
	s_cmp_eq_u32 s20, -1
	v_add3_u32 v4, v4, v3, v5
	s_cbranch_scc1 .LBB33_39
; %bb.38:                               ;   in Loop: Header=BB33_21 Depth=2
	v_mov_b32_e32 v8, v16
	v_mov_b32_e32 v9, v17
	s_branch .LBB33_21
.LBB33_39:                              ;   in Loop: Header=BB33_3 Depth=1
	v_sub_u32_e32 v8, v18, v19
	v_ashrrev_i32_e32 v9, 31, v8
	v_cmp_ge_i64_e32 vcc, s[8:9], v[8:9]
	v_mov_b32_e32 v10, 0
	v_mov_b32_e32 v11, 0
	;; [unrolled: 1-line block ×4, first 2 shown]
	s_and_saveexec_b64 s[0:1], vcc
	s_cbranch_execz .LBB33_45
; %bb.40:                               ;   in Loop: Header=BB33_3 Depth=1
	v_cmp_gt_i32_e32 vcc, s7, v18
	v_mov_b32_e32 v11, 0
	v_mov_b32_e32 v10, 0
	;; [unrolled: 1-line block ×4, first 2 shown]
	s_and_saveexec_b64 s[36:37], vcc
	s_cbranch_execz .LBB33_44
; %bb.41:                               ;   in Loop: Header=BB33_3 Depth=1
	v_ashrrev_i32_e32 v7, 31, v6
	v_lshlrev_b64 v[5:6], 3, v[6:7]
	v_mov_b32_e32 v3, s3
	v_add_co_u32_e32 v5, vcc, s2, v5
	v_addc_co_u32_e32 v6, vcc, v3, v6, vcc
	global_load_dwordx2 v[10:11], v[5:6], off
	v_add_u32_e32 v3, 1, v18
	v_cmp_gt_i32_e32 vcc, s7, v3
	v_mov_b32_e32 v12, 0
	v_mov_b32_e32 v13, 0
	s_and_saveexec_b64 s[38:39], vcc
	s_xor_b64 s[38:39], exec, s[38:39]
	s_cbranch_execz .LBB33_43
; %bb.42:                               ;   in Loop: Header=BB33_3 Depth=1
	s_lshl_b64 s[40:41], s[26:27], 3
	v_mov_b32_e32 v3, s41
	v_add_co_u32_e32 v5, vcc, s40, v5
	v_addc_co_u32_e32 v6, vcc, v6, v3, vcc
	global_load_dwordx2 v[12:13], v[5:6], off
.LBB33_43:                              ;   in Loop: Header=BB33_3 Depth=1
	s_or_b64 exec, exec, s[38:39]
.LBB33_44:                              ;   in Loop: Header=BB33_3 Depth=1
	s_or_b64 exec, exec, s[36:37]
	v_cmp_lt_i64_e32 vcc, s[8:9], v[8:9]
	v_add_u32_e32 v5, 1, v8
	v_ashrrev_i32_e32 v6, 31, v5
	s_waitcnt vmcnt(0)
	v_cndmask_b32_e64 v14, v10, 0, vcc
	v_cndmask_b32_e64 v15, v11, 0, vcc
	v_cmp_lt_i64_e32 vcc, s[8:9], v[5:6]
	v_cndmask_b32_e64 v10, v12, 0, vcc
	v_cndmask_b32_e64 v11, v13, 0, vcc
.LBB33_45:                              ;   in Loop: Header=BB33_3 Depth=1
	s_or_b64 exec, exec, s[0:1]
	v_cmp_gt_i32_e32 vcc, s7, v18
	s_and_saveexec_b64 s[0:1], vcc
	s_cbranch_execz .LBB33_2
; %bb.46:                               ;   in Loop: Header=BB33_3 Depth=1
	v_ashrrev_i32_e32 v5, 31, v4
	v_lshlrev_b64 v[3:4], 3, v[4:5]
	v_mov_b32_e32 v5, s19
	v_add_co_u32_e32 v3, vcc, s18, v3
	v_addc_co_u32_e32 v4, vcc, v5, v4, vcc
	v_add_u32_e32 v5, 1, v18
	v_cmp_gt_i32_e32 vcc, s7, v5
	global_store_dwordx2 v[3:4], v[14:15], off
	s_and_saveexec_b64 s[36:37], vcc
	s_xor_b64 s[36:37], exec, s[36:37]
	s_cbranch_execz .LBB33_2
; %bb.47:                               ;   in Loop: Header=BB33_3 Depth=1
	s_lshl_b64 s[36:37], s[28:29], 3
	v_mov_b32_e32 v5, s37
	v_add_co_u32_e32 v3, vcc, s36, v3
	v_addc_co_u32_e32 v4, vcc, v4, v5, vcc
	global_store_dwordx2 v[3:4], v[10:11], off
	s_branch .LBB33_2
.LBB33_48:
	s_endpgm
	.section	.rodata,"a",@progbits
	.p2align	6, 0x0
	.amdhsa_kernel _ZN2at6native16triu_tril_kernelIN3c107complexIfEEiLb0ELi2ELb0EEEvNS_4cuda6detail10TensorInfoIT_T0_EENS7_IKS8_S9_EEllS9_
		.amdhsa_group_segment_fixed_size 0
		.amdhsa_private_segment_fixed_size 0
		.amdhsa_kernarg_size 712
		.amdhsa_user_sgpr_count 6
		.amdhsa_user_sgpr_private_segment_buffer 1
		.amdhsa_user_sgpr_dispatch_ptr 0
		.amdhsa_user_sgpr_queue_ptr 0
		.amdhsa_user_sgpr_kernarg_segment_ptr 1
		.amdhsa_user_sgpr_dispatch_id 0
		.amdhsa_user_sgpr_flat_scratch_init 0
		.amdhsa_user_sgpr_private_segment_size 0
		.amdhsa_uses_dynamic_stack 0
		.amdhsa_system_sgpr_private_segment_wavefront_offset 0
		.amdhsa_system_sgpr_workgroup_id_x 1
		.amdhsa_system_sgpr_workgroup_id_y 0
		.amdhsa_system_sgpr_workgroup_id_z 0
		.amdhsa_system_sgpr_workgroup_info 0
		.amdhsa_system_vgpr_workitem_id 0
		.amdhsa_next_free_vgpr 22
		.amdhsa_next_free_sgpr 67
		.amdhsa_reserve_vcc 1
		.amdhsa_reserve_flat_scratch 0
		.amdhsa_float_round_mode_32 0
		.amdhsa_float_round_mode_16_64 0
		.amdhsa_float_denorm_mode_32 3
		.amdhsa_float_denorm_mode_16_64 3
		.amdhsa_dx10_clamp 1
		.amdhsa_ieee_mode 1
		.amdhsa_fp16_overflow 0
		.amdhsa_exception_fp_ieee_invalid_op 0
		.amdhsa_exception_fp_denorm_src 0
		.amdhsa_exception_fp_ieee_div_zero 0
		.amdhsa_exception_fp_ieee_overflow 0
		.amdhsa_exception_fp_ieee_underflow 0
		.amdhsa_exception_fp_ieee_inexact 0
		.amdhsa_exception_int_div_zero 0
	.end_amdhsa_kernel
	.section	.text._ZN2at6native16triu_tril_kernelIN3c107complexIfEEiLb0ELi2ELb0EEEvNS_4cuda6detail10TensorInfoIT_T0_EENS7_IKS8_S9_EEllS9_,"axG",@progbits,_ZN2at6native16triu_tril_kernelIN3c107complexIfEEiLb0ELi2ELb0EEEvNS_4cuda6detail10TensorInfoIT_T0_EENS7_IKS8_S9_EEllS9_,comdat
.Lfunc_end33:
	.size	_ZN2at6native16triu_tril_kernelIN3c107complexIfEEiLb0ELi2ELb0EEEvNS_4cuda6detail10TensorInfoIT_T0_EENS7_IKS8_S9_EEllS9_, .Lfunc_end33-_ZN2at6native16triu_tril_kernelIN3c107complexIfEEiLb0ELi2ELb0EEEvNS_4cuda6detail10TensorInfoIT_T0_EENS7_IKS8_S9_EEllS9_
                                        ; -- End function
	.set _ZN2at6native16triu_tril_kernelIN3c107complexIfEEiLb0ELi2ELb0EEEvNS_4cuda6detail10TensorInfoIT_T0_EENS7_IKS8_S9_EEllS9_.num_vgpr, 22
	.set _ZN2at6native16triu_tril_kernelIN3c107complexIfEEiLb0ELi2ELb0EEEvNS_4cuda6detail10TensorInfoIT_T0_EENS7_IKS8_S9_EEllS9_.num_agpr, 0
	.set _ZN2at6native16triu_tril_kernelIN3c107complexIfEEiLb0ELi2ELb0EEEvNS_4cuda6detail10TensorInfoIT_T0_EENS7_IKS8_S9_EEllS9_.numbered_sgpr, 67
	.set _ZN2at6native16triu_tril_kernelIN3c107complexIfEEiLb0ELi2ELb0EEEvNS_4cuda6detail10TensorInfoIT_T0_EENS7_IKS8_S9_EEllS9_.num_named_barrier, 0
	.set _ZN2at6native16triu_tril_kernelIN3c107complexIfEEiLb0ELi2ELb0EEEvNS_4cuda6detail10TensorInfoIT_T0_EENS7_IKS8_S9_EEllS9_.private_seg_size, 0
	.set _ZN2at6native16triu_tril_kernelIN3c107complexIfEEiLb0ELi2ELb0EEEvNS_4cuda6detail10TensorInfoIT_T0_EENS7_IKS8_S9_EEllS9_.uses_vcc, 1
	.set _ZN2at6native16triu_tril_kernelIN3c107complexIfEEiLb0ELi2ELb0EEEvNS_4cuda6detail10TensorInfoIT_T0_EENS7_IKS8_S9_EEllS9_.uses_flat_scratch, 0
	.set _ZN2at6native16triu_tril_kernelIN3c107complexIfEEiLb0ELi2ELb0EEEvNS_4cuda6detail10TensorInfoIT_T0_EENS7_IKS8_S9_EEllS9_.has_dyn_sized_stack, 0
	.set _ZN2at6native16triu_tril_kernelIN3c107complexIfEEiLb0ELi2ELb0EEEvNS_4cuda6detail10TensorInfoIT_T0_EENS7_IKS8_S9_EEllS9_.has_recursion, 0
	.set _ZN2at6native16triu_tril_kernelIN3c107complexIfEEiLb0ELi2ELb0EEEvNS_4cuda6detail10TensorInfoIT_T0_EENS7_IKS8_S9_EEllS9_.has_indirect_call, 0
	.section	.AMDGPU.csdata,"",@progbits
; Kernel info:
; codeLenInByte = 6384
; TotalNumSgprs: 71
; NumVgprs: 22
; ScratchSize: 0
; MemoryBound: 0
; FloatMode: 240
; IeeeMode: 1
; LDSByteSize: 0 bytes/workgroup (compile time only)
; SGPRBlocks: 8
; VGPRBlocks: 5
; NumSGPRsForWavesPerEU: 71
; NumVGPRsForWavesPerEU: 22
; Occupancy: 10
; WaveLimiterHint : 1
; COMPUTE_PGM_RSRC2:SCRATCH_EN: 0
; COMPUTE_PGM_RSRC2:USER_SGPR: 6
; COMPUTE_PGM_RSRC2:TRAP_HANDLER: 0
; COMPUTE_PGM_RSRC2:TGID_X_EN: 1
; COMPUTE_PGM_RSRC2:TGID_Y_EN: 0
; COMPUTE_PGM_RSRC2:TGID_Z_EN: 0
; COMPUTE_PGM_RSRC2:TIDIG_COMP_CNT: 0
	.section	.text._ZN2at6native16triu_tril_kernelIN3c107complexIfEElLb0ELi2ELb1EEEvNS_4cuda6detail10TensorInfoIT_T0_EENS7_IKS8_S9_EEllS9_,"axG",@progbits,_ZN2at6native16triu_tril_kernelIN3c107complexIfEElLb0ELi2ELb1EEEvNS_4cuda6detail10TensorInfoIT_T0_EENS7_IKS8_S9_EEllS9_,comdat
	.protected	_ZN2at6native16triu_tril_kernelIN3c107complexIfEElLb0ELi2ELb1EEEvNS_4cuda6detail10TensorInfoIT_T0_EENS7_IKS8_S9_EEllS9_ ; -- Begin function _ZN2at6native16triu_tril_kernelIN3c107complexIfEElLb0ELi2ELb1EEEvNS_4cuda6detail10TensorInfoIT_T0_EENS7_IKS8_S9_EEllS9_
	.globl	_ZN2at6native16triu_tril_kernelIN3c107complexIfEElLb0ELi2ELb1EEEvNS_4cuda6detail10TensorInfoIT_T0_EENS7_IKS8_S9_EEllS9_
	.p2align	8
	.type	_ZN2at6native16triu_tril_kernelIN3c107complexIfEElLb0ELi2ELb1EEEvNS_4cuda6detail10TensorInfoIT_T0_EENS7_IKS8_S9_EEllS9_,@function
_ZN2at6native16triu_tril_kernelIN3c107complexIfEElLb0ELi2ELb1EEEvNS_4cuda6detail10TensorInfoIT_T0_EENS7_IKS8_S9_EEllS9_: ; @_ZN2at6native16triu_tril_kernelIN3c107complexIfEElLb0ELi2ELb1EEEvNS_4cuda6detail10TensorInfoIT_T0_EENS7_IKS8_S9_EEllS9_
; %bb.0:
	s_load_dword s2, s[4:5], 0x364
	s_load_dwordx4 s[8:11], s[4:5], 0x340
	s_add_u32 s0, s4, 0x358
	v_mov_b32_e32 v2, 0
	s_addc_u32 s1, s5, 0
	s_waitcnt lgkmcnt(0)
	s_and_b32 s2, s2, 0xffff
	v_mov_b32_e32 v1, v2
	v_mov_b32_e32 v3, s6
	v_mad_u64_u32 v[0:1], s[6:7], s2, v3, v[0:1]
	v_lshlrev_b64 v[0:1], 1, v[0:1]
	v_cmp_gt_i64_e32 vcc, s[10:11], v[0:1]
	s_and_saveexec_b64 s[6:7], vcc
	s_cbranch_execz .LBB34_43
; %bb.1:
	s_load_dword s1, s[0:1], 0x0
	s_add_u32 s34, s4, 0x1a0
	s_load_dword s0, s[4:5], 0x338
	s_addc_u32 s35, s5, 0
	s_load_dwordx2 s[6:7], s[4:5], 0x350
	s_load_dwordx2 s[12:13], s[4:5], 0x0
	s_waitcnt lgkmcnt(0)
	s_mul_i32 s24, s1, s2
	s_mov_b32 s25, 0
	s_add_i32 s2, s0, -2
	s_ashr_i32 s3, s2, 31
	s_ashr_i32 s1, s0, 31
	s_lshl_b64 s[16:17], s[2:3], 3
	s_add_u32 s16, s34, s16
	s_addc_u32 s17, s35, s17
	s_lshl_b64 s[22:23], s[0:1], 3
	s_add_u32 s18, s4, s22
	s_addc_u32 s19, s5, s23
	s_add_i32 s20, s0, -3
	s_ashr_i32 s21, s20, 31
	s_add_u32 s22, s34, s22
	v_cmp_gt_i64_e64 s[14:15], s[0:1], 2
	s_addc_u32 s23, s35, s23
	s_lshl_b32 s33, s24, 1
	s_and_b32 s24, s2, 3
	s_and_b32 s0, s20, 3
	s_cmp_lg_u32 s0, 3
	s_cselect_b64 s[26:27], -1, 0
	s_cmp_gt_u32 s20, 2
	s_cselect_b64 s[28:29], -1, 0
	s_lshl_b64 s[0:1], s[20:21], 3
	s_add_u32 s2, s4, s0
	s_addc_u32 s3, s5, s1
	s_add_u32 s30, s2, 0xd0
	s_addc_u32 s31, s3, 0
	;; [unrolled: 2-line block ×3, first 2 shown]
	s_add_u32 s34, s0, 8
	s_load_dwordx2 s[16:17], s[16:17], 0x8
	s_addc_u32 s35, s1, 0
	s_add_u32 s64, s4, 0xb8
	s_addc_u32 s65, s5, 0
	s_add_u32 s66, s4, 0x190
	s_addc_u32 s67, s5, 0
	s_mov_b64 s[4:5], 0
	s_branch .LBB34_3
.LBB34_2:                               ;   in Loop: Header=BB34_3 Depth=1
	s_or_b64 exec, exec, s[36:37]
	v_add_co_u32_e32 v0, vcc, s33, v0
	v_addc_co_u32_e32 v1, vcc, 0, v1, vcc
	v_cmp_le_i64_e32 vcc, s[10:11], v[0:1]
	s_or_b64 s[4:5], vcc, s[4:5]
	s_andn2_b64 exec, exec, s[4:5]
	s_cbranch_execz .LBB34_43
.LBB34_3:                               ; =>This Loop Header: Depth=1
                                        ;     Child Loop BB34_17 Depth 2
                                        ;     Child Loop BB34_22 Depth 2
	v_or_b32_e32 v3, s7, v1
	v_cmp_ne_u64_e32 vcc, 0, v[2:3]
                                        ; implicit-def: $vgpr6_vgpr7
	s_and_saveexec_b64 s[0:1], vcc
	s_xor_b64 s[2:3], exec, s[0:1]
	s_cbranch_execz .LBB34_5
; %bb.4:                                ;   in Loop: Header=BB34_3 Depth=1
	s_ashr_i32 s36, s7, 31
	s_add_u32 s0, s6, s36
	s_mov_b32 s37, s36
	s_addc_u32 s1, s7, s36
	s_xor_b64 s[38:39], s[0:1], s[36:37]
	v_cvt_f32_u32_e32 v3, s38
	v_cvt_f32_u32_e32 v4, s39
	s_sub_u32 s37, 0, s38
	s_subb_u32 s40, 0, s39
	v_ashrrev_i32_e32 v7, 31, v1
	v_mac_f32_e32 v3, 0x4f800000, v4
	v_rcp_f32_e32 v3, v3
	v_mul_f32_e32 v3, 0x5f7ffffc, v3
	v_mul_f32_e32 v4, 0x2f800000, v3
	v_trunc_f32_e32 v4, v4
	v_mac_f32_e32 v3, 0xcf800000, v4
	v_cvt_u32_f32_e32 v4, v4
	v_cvt_u32_f32_e32 v3, v3
	v_readfirstlane_b32 s41, v4
	v_readfirstlane_b32 s0, v3
	s_mul_i32 s1, s37, s41
	s_mul_hi_u32 s43, s37, s0
	s_mul_i32 s42, s40, s0
	s_add_i32 s1, s43, s1
	s_add_i32 s1, s1, s42
	s_mul_i32 s44, s37, s0
	s_mul_i32 s43, s0, s1
	s_mul_hi_u32 s45, s0, s44
	s_mul_hi_u32 s42, s0, s1
	s_add_u32 s43, s45, s43
	s_addc_u32 s42, 0, s42
	s_mul_hi_u32 s46, s41, s44
	s_mul_i32 s44, s41, s44
	s_add_u32 s43, s43, s44
	s_mul_hi_u32 s45, s41, s1
	s_addc_u32 s42, s42, s46
	s_addc_u32 s43, s45, 0
	s_mul_i32 s1, s41, s1
	s_add_u32 s1, s42, s1
	s_addc_u32 s42, 0, s43
	s_add_u32 s43, s0, s1
	s_cselect_b64 s[0:1], -1, 0
	s_cmp_lg_u64 s[0:1], 0
	s_addc_u32 s41, s41, s42
	s_mul_i32 s0, s37, s41
	s_mul_hi_u32 s1, s37, s43
	s_add_i32 s0, s1, s0
	s_mul_i32 s40, s40, s43
	s_add_i32 s0, s0, s40
	s_mul_i32 s37, s37, s43
	s_mul_hi_u32 s40, s41, s37
	s_mul_i32 s42, s41, s37
	s_mul_i32 s45, s43, s0
	s_mul_hi_u32 s37, s43, s37
	s_mul_hi_u32 s44, s43, s0
	s_add_u32 s37, s37, s45
	s_addc_u32 s44, 0, s44
	s_add_u32 s37, s37, s42
	s_mul_hi_u32 s1, s41, s0
	s_addc_u32 s37, s44, s40
	s_addc_u32 s1, s1, 0
	s_mul_i32 s0, s41, s0
	s_add_u32 s0, s37, s0
	s_addc_u32 s37, 0, s1
	s_add_u32 s40, s43, s0
	s_cselect_b64 s[0:1], -1, 0
	s_cmp_lg_u64 s[0:1], 0
	v_add_co_u32_e32 v3, vcc, v0, v7
	s_addc_u32 s37, s41, s37
	v_xor_b32_e32 v8, v3, v7
	v_mad_u64_u32 v[3:4], s[0:1], v8, s37, 0
	v_mul_hi_u32 v6, v8, s40
	v_addc_co_u32_e32 v5, vcc, v1, v7, vcc
	v_xor_b32_e32 v9, v5, v7
	v_add_co_u32_e32 v10, vcc, v6, v3
	v_addc_co_u32_e32 v11, vcc, 0, v4, vcc
	v_mad_u64_u32 v[3:4], s[0:1], v9, s40, 0
	v_mad_u64_u32 v[5:6], s[0:1], v9, s37, 0
	v_add_co_u32_e32 v3, vcc, v10, v3
	v_addc_co_u32_e32 v3, vcc, v11, v4, vcc
	v_addc_co_u32_e32 v4, vcc, 0, v6, vcc
	v_add_co_u32_e32 v5, vcc, v3, v5
	v_addc_co_u32_e32 v6, vcc, 0, v4, vcc
	v_mul_lo_u32 v10, s39, v5
	v_mul_lo_u32 v11, s38, v6
	v_mad_u64_u32 v[3:4], s[0:1], s38, v5, 0
	v_add3_u32 v4, v4, v11, v10
	v_sub_u32_e32 v10, v9, v4
	v_mov_b32_e32 v11, s39
	v_sub_co_u32_e32 v3, vcc, v8, v3
	v_subb_co_u32_e64 v8, s[0:1], v10, v11, vcc
	v_subrev_co_u32_e64 v10, s[0:1], s38, v3
	v_subbrev_co_u32_e64 v8, s[0:1], 0, v8, s[0:1]
	v_cmp_le_u32_e64 s[0:1], s39, v8
	v_cndmask_b32_e64 v11, 0, -1, s[0:1]
	v_cmp_le_u32_e64 s[0:1], s38, v10
	v_cndmask_b32_e64 v10, 0, -1, s[0:1]
	v_cmp_eq_u32_e64 s[0:1], s39, v8
	v_cndmask_b32_e64 v8, v11, v10, s[0:1]
	v_add_co_u32_e64 v10, s[0:1], 2, v5
	v_subb_co_u32_e32 v4, vcc, v9, v4, vcc
	v_addc_co_u32_e64 v11, s[0:1], 0, v6, s[0:1]
	v_cmp_le_u32_e32 vcc, s39, v4
	v_add_co_u32_e64 v12, s[0:1], 1, v5
	v_cndmask_b32_e64 v9, 0, -1, vcc
	v_cmp_le_u32_e32 vcc, s38, v3
	v_addc_co_u32_e64 v13, s[0:1], 0, v6, s[0:1]
	v_cndmask_b32_e64 v3, 0, -1, vcc
	v_cmp_eq_u32_e32 vcc, s39, v4
	v_cmp_ne_u32_e64 s[0:1], 0, v8
	v_cndmask_b32_e32 v3, v9, v3, vcc
	v_cmp_ne_u32_e32 vcc, 0, v3
	v_cndmask_b32_e64 v4, v12, v10, s[0:1]
	v_cndmask_b32_e64 v8, v13, v11, s[0:1]
	v_cndmask_b32_e32 v4, v5, v4, vcc
	v_xor_b32_e32 v5, s36, v7
	v_cndmask_b32_e32 v3, v6, v8, vcc
	v_xor_b32_e32 v4, v4, v5
	v_xor_b32_e32 v3, v3, v5
	v_sub_co_u32_e32 v6, vcc, v4, v5
	v_subb_co_u32_e32 v7, vcc, v3, v5, vcc
.LBB34_5:                               ;   in Loop: Header=BB34_3 Depth=1
	s_andn2_saveexec_b64 s[0:1], s[2:3]
	s_cbranch_execz .LBB34_7
; %bb.6:                                ;   in Loop: Header=BB34_3 Depth=1
	v_cvt_f32_u32_e32 v3, s6
	s_sub_i32 s2, 0, s6
	v_mov_b32_e32 v7, v2
	v_rcp_iflag_f32_e32 v3, v3
	v_mul_f32_e32 v3, 0x4f7ffffe, v3
	v_cvt_u32_f32_e32 v3, v3
	v_mul_lo_u32 v4, s2, v3
	v_mul_hi_u32 v4, v3, v4
	v_add_u32_e32 v3, v3, v4
	v_mul_hi_u32 v3, v0, v3
	v_mul_lo_u32 v4, v3, s6
	v_add_u32_e32 v5, 1, v3
	v_sub_u32_e32 v4, v0, v4
	v_subrev_u32_e32 v6, s6, v4
	v_cmp_le_u32_e32 vcc, s6, v4
	v_cndmask_b32_e32 v4, v4, v6, vcc
	v_cndmask_b32_e32 v3, v3, v5, vcc
	v_add_u32_e32 v5, 1, v3
	v_cmp_le_u32_e32 vcc, s6, v4
	v_cndmask_b32_e32 v6, v3, v5, vcc
.LBB34_7:                               ;   in Loop: Header=BB34_3 Depth=1
	s_or_b64 exec, exec, s[0:1]
	s_waitcnt lgkmcnt(0)
	v_or_b32_e32 v3, s17, v7
	v_cmp_ne_u64_e32 vcc, 0, v[2:3]
                                        ; implicit-def: $vgpr10_vgpr11
	s_and_saveexec_b64 s[0:1], vcc
	s_xor_b64 s[2:3], exec, s[0:1]
	s_cbranch_execz .LBB34_9
; %bb.8:                                ;   in Loop: Header=BB34_3 Depth=1
	s_ashr_i32 s36, s17, 31
	s_add_u32 s0, s16, s36
	s_mov_b32 s37, s36
	s_addc_u32 s1, s17, s36
	s_xor_b64 s[38:39], s[0:1], s[36:37]
	v_cvt_f32_u32_e32 v3, s38
	v_cvt_f32_u32_e32 v4, s39
	s_sub_u32 s37, 0, s38
	s_subb_u32 s40, 0, s39
	v_ashrrev_i32_e32 v5, 31, v7
	v_mac_f32_e32 v3, 0x4f800000, v4
	v_rcp_f32_e32 v3, v3
	v_mul_f32_e32 v3, 0x5f7ffffc, v3
	v_mul_f32_e32 v4, 0x2f800000, v3
	v_trunc_f32_e32 v4, v4
	v_mac_f32_e32 v3, 0xcf800000, v4
	v_cvt_u32_f32_e32 v4, v4
	v_cvt_u32_f32_e32 v3, v3
	v_readfirstlane_b32 s41, v4
	v_readfirstlane_b32 s0, v3
	s_mul_i32 s1, s37, s41
	s_mul_hi_u32 s43, s37, s0
	s_mul_i32 s42, s40, s0
	s_add_i32 s1, s43, s1
	s_add_i32 s1, s1, s42
	s_mul_i32 s44, s37, s0
	s_mul_i32 s43, s0, s1
	s_mul_hi_u32 s45, s0, s44
	s_mul_hi_u32 s42, s0, s1
	s_add_u32 s43, s45, s43
	s_addc_u32 s42, 0, s42
	s_mul_hi_u32 s46, s41, s44
	s_mul_i32 s44, s41, s44
	s_add_u32 s43, s43, s44
	s_mul_hi_u32 s45, s41, s1
	s_addc_u32 s42, s42, s46
	s_addc_u32 s43, s45, 0
	s_mul_i32 s1, s41, s1
	s_add_u32 s1, s42, s1
	s_addc_u32 s42, 0, s43
	s_add_u32 s43, s0, s1
	s_cselect_b64 s[0:1], -1, 0
	s_cmp_lg_u64 s[0:1], 0
	s_addc_u32 s41, s41, s42
	s_mul_i32 s0, s37, s41
	s_mul_hi_u32 s1, s37, s43
	s_add_i32 s0, s1, s0
	s_mul_i32 s40, s40, s43
	s_add_i32 s0, s0, s40
	s_mul_i32 s37, s37, s43
	s_mul_hi_u32 s40, s41, s37
	s_mul_i32 s42, s41, s37
	s_mul_i32 s45, s43, s0
	s_mul_hi_u32 s37, s43, s37
	s_mul_hi_u32 s44, s43, s0
	s_add_u32 s37, s37, s45
	s_addc_u32 s44, 0, s44
	s_add_u32 s37, s37, s42
	s_mul_hi_u32 s1, s41, s0
	s_addc_u32 s37, s44, s40
	s_addc_u32 s1, s1, 0
	s_mul_i32 s0, s41, s0
	s_add_u32 s0, s37, s0
	s_addc_u32 s37, 0, s1
	s_add_u32 s40, s43, s0
	s_cselect_b64 s[0:1], -1, 0
	s_cmp_lg_u64 s[0:1], 0
	v_add_co_u32_e32 v3, vcc, v6, v5
	s_addc_u32 s37, s41, s37
	v_xor_b32_e32 v10, v3, v5
	v_mad_u64_u32 v[3:4], s[0:1], v10, s37, 0
	v_mul_hi_u32 v9, v10, s40
	v_addc_co_u32_e32 v8, vcc, v7, v5, vcc
	v_xor_b32_e32 v11, v8, v5
	v_add_co_u32_e32 v12, vcc, v9, v3
	v_addc_co_u32_e32 v13, vcc, 0, v4, vcc
	v_mad_u64_u32 v[3:4], s[0:1], v11, s40, 0
	v_mad_u64_u32 v[8:9], s[0:1], v11, s37, 0
	v_add_co_u32_e32 v3, vcc, v12, v3
	v_addc_co_u32_e32 v3, vcc, v13, v4, vcc
	v_addc_co_u32_e32 v4, vcc, 0, v9, vcc
	v_add_co_u32_e32 v8, vcc, v3, v8
	v_addc_co_u32_e32 v9, vcc, 0, v4, vcc
	v_mul_lo_u32 v12, s39, v8
	v_mul_lo_u32 v13, s38, v9
	v_mad_u64_u32 v[3:4], s[0:1], s38, v8, 0
	v_xor_b32_e32 v5, s36, v5
	v_add3_u32 v4, v4, v13, v12
	v_sub_u32_e32 v12, v11, v4
	v_mov_b32_e32 v13, s39
	v_sub_co_u32_e32 v3, vcc, v10, v3
	v_subb_co_u32_e64 v10, s[0:1], v12, v13, vcc
	v_subrev_co_u32_e64 v12, s[0:1], s38, v3
	v_subbrev_co_u32_e64 v10, s[0:1], 0, v10, s[0:1]
	v_cmp_le_u32_e64 s[0:1], s39, v10
	v_cndmask_b32_e64 v13, 0, -1, s[0:1]
	v_cmp_le_u32_e64 s[0:1], s38, v12
	v_cndmask_b32_e64 v12, 0, -1, s[0:1]
	v_cmp_eq_u32_e64 s[0:1], s39, v10
	v_cndmask_b32_e64 v10, v13, v12, s[0:1]
	v_add_co_u32_e64 v12, s[0:1], 2, v8
	v_subb_co_u32_e32 v4, vcc, v11, v4, vcc
	v_addc_co_u32_e64 v13, s[0:1], 0, v9, s[0:1]
	v_cmp_le_u32_e32 vcc, s39, v4
	v_add_co_u32_e64 v14, s[0:1], 1, v8
	v_cndmask_b32_e64 v11, 0, -1, vcc
	v_cmp_le_u32_e32 vcc, s38, v3
	v_addc_co_u32_e64 v15, s[0:1], 0, v9, s[0:1]
	v_cndmask_b32_e64 v3, 0, -1, vcc
	v_cmp_eq_u32_e32 vcc, s39, v4
	v_cmp_ne_u32_e64 s[0:1], 0, v10
	v_cndmask_b32_e32 v3, v11, v3, vcc
	v_cmp_ne_u32_e32 vcc, 0, v3
	v_cndmask_b32_e64 v4, v14, v12, s[0:1]
	v_cndmask_b32_e64 v10, v15, v13, s[0:1]
	v_cndmask_b32_e32 v4, v8, v4, vcc
	v_cndmask_b32_e32 v3, v9, v10, vcc
	v_xor_b32_e32 v4, v4, v5
	v_xor_b32_e32 v3, v3, v5
	v_sub_co_u32_e32 v10, vcc, v4, v5
	v_subb_co_u32_e32 v11, vcc, v3, v5, vcc
.LBB34_9:                               ;   in Loop: Header=BB34_3 Depth=1
	s_andn2_saveexec_b64 s[0:1], s[2:3]
	s_cbranch_execz .LBB34_11
; %bb.10:                               ;   in Loop: Header=BB34_3 Depth=1
	v_cvt_f32_u32_e32 v3, s16
	s_sub_i32 s2, 0, s16
	v_mov_b32_e32 v11, v2
	v_rcp_iflag_f32_e32 v3, v3
	v_mul_f32_e32 v3, 0x4f7ffffe, v3
	v_cvt_u32_f32_e32 v3, v3
	v_mul_lo_u32 v4, s2, v3
	v_mul_hi_u32 v4, v3, v4
	v_add_u32_e32 v3, v3, v4
	v_mul_hi_u32 v3, v6, v3
	v_mul_lo_u32 v4, v3, s16
	v_add_u32_e32 v5, 1, v3
	v_sub_u32_e32 v4, v6, v4
	v_subrev_u32_e32 v8, s16, v4
	v_cmp_le_u32_e32 vcc, s16, v4
	v_cndmask_b32_e32 v4, v4, v8, vcc
	v_cndmask_b32_e32 v3, v3, v5, vcc
	v_add_u32_e32 v5, 1, v3
	v_cmp_le_u32_e32 vcc, s16, v4
	v_cndmask_b32_e32 v10, v3, v5, vcc
.LBB34_11:                              ;   in Loop: Header=BB34_3 Depth=1
	s_or_b64 exec, exec, s[0:1]
	v_mul_lo_u32 v5, v7, s6
	v_mul_lo_u32 v8, v6, s7
	v_mad_u64_u32 v[3:4], s[0:1], v6, s6, 0
	v_mul_lo_u32 v12, v11, s16
	v_mul_lo_u32 v13, v10, s17
	v_add3_u32 v5, v4, v8, v5
	v_mad_u64_u32 v[8:9], s[0:1], v10, s16, 0
	v_sub_co_u32_e32 v4, vcc, v0, v3
	v_subb_co_u32_e32 v5, vcc, v1, v5, vcc
	v_add3_u32 v3, v9, v13, v12
	v_sub_co_u32_e32 v20, vcc, v6, v8
	v_subb_co_u32_e32 v21, vcc, v7, v3, vcc
	v_sub_co_u32_e32 v6, vcc, v4, v20
	v_subb_co_u32_e32 v7, vcc, v5, v21, vcc
	v_add_co_u32_e32 v8, vcc, 2, v6
	v_addc_co_u32_e32 v9, vcc, 0, v7, vcc
	v_cmp_lt_i64_e32 vcc, s[8:9], v[8:9]
	s_and_saveexec_b64 s[36:37], vcc
	s_cbranch_execz .LBB34_2
; %bb.12:                               ;   in Loop: Header=BB34_3 Depth=1
	s_load_dwordx4 s[0:3], s[18:19], 0xc0
	s_andn2_b64 vcc, exec, s[14:15]
	s_waitcnt lgkmcnt(0)
	v_mul_lo_u32 v3, s3, v4
	v_mul_lo_u32 v12, s2, v5
	v_mad_u64_u32 v[8:9], s[38:39], s2, v4, 0
	v_mul_lo_u32 v13, s0, v21
	v_add3_u32 v9, v9, v12, v3
	v_mad_u64_u32 v[8:9], s[38:39], s0, v20, v[8:9]
	v_mul_lo_u32 v3, s1, v20
	v_add3_u32 v9, v3, v9, v13
	s_cbranch_vccnz .LBB34_38
; %bb.13:                               ;   in Loop: Header=BB34_3 Depth=1
	s_andn2_b64 vcc, exec, s[26:27]
	s_mov_b64 s[38:39], s[24:25]
	s_mov_b64 s[40:41], s[34:35]
	s_mov_b64 s[44:45], s[30:31]
	s_mov_b64 s[42:43], s[20:21]
	s_cbranch_vccz .LBB34_17
.LBB34_14:                              ;   in Loop: Header=BB34_3 Depth=1
	s_andn2_b64 vcc, exec, s[28:29]
	s_cbranch_vccnz .LBB34_38
; %bb.15:                               ;   in Loop: Header=BB34_3 Depth=1
	s_lshl_b64 s[0:1], s[42:43], 3
	s_add_u32 s38, s64, s0
	s_addc_u32 s39, s65, s1
	s_add_u32 s40, s66, s0
	s_addc_u32 s41, s67, s1
	;; [unrolled: 2-line block ×3, first 2 shown]
	s_branch .LBB34_22
.LBB34_16:                              ;   in Loop: Header=BB34_17 Depth=2
	s_or_b64 exec, exec, s[0:1]
	v_mul_lo_u32 v3, v13, s46
	v_mul_lo_u32 v16, v12, s47
	v_mad_u64_u32 v[14:15], s[0:1], v12, s46, 0
	s_load_dwordx2 s[0:1], s[44:45], 0x0
	s_add_u32 s42, s42, -1
	v_add3_u32 v3, v15, v16, v3
	v_sub_co_u32_e32 v10, vcc, v10, v14
	s_addc_u32 s43, s43, -1
	v_subb_co_u32_e32 v3, vcc, v11, v3, vcc
	s_add_u32 s44, s44, -8
	s_waitcnt lgkmcnt(0)
	v_mul_lo_u32 v3, s0, v3
	v_mul_lo_u32 v11, s1, v10
	v_mad_u64_u32 v[8:9], s[0:1], s0, v10, v[8:9]
	s_addc_u32 s45, s45, -1
	s_add_u32 s40, s40, -8
	s_addc_u32 s41, s41, -1
	s_add_u32 s38, s38, -1
	s_addc_u32 s39, s39, -1
	v_add3_u32 v9, v11, v9, v3
	v_mov_b32_e32 v10, v12
	s_cmp_lg_u64 s[38:39], 0
	v_mov_b32_e32 v11, v13
	s_cbranch_scc0 .LBB34_14
.LBB34_17:                              ;   Parent Loop BB34_3 Depth=1
                                        ; =>  This Inner Loop Header: Depth=2
	s_load_dwordx2 s[46:47], s[40:41], 0x0
                                        ; implicit-def: $vgpr12_vgpr13
	s_waitcnt lgkmcnt(0)
	v_or_b32_e32 v3, s47, v11
	v_cmp_ne_u64_e32 vcc, 0, v[2:3]
	s_and_saveexec_b64 s[0:1], vcc
	s_xor_b64 s[48:49], exec, s[0:1]
	s_cbranch_execz .LBB34_19
; %bb.18:                               ;   in Loop: Header=BB34_17 Depth=2
	s_ashr_i32 s50, s47, 31
	s_add_u32 s0, s46, s50
	s_mov_b32 s51, s50
	s_addc_u32 s1, s47, s50
	s_xor_b64 s[52:53], s[0:1], s[50:51]
	v_cvt_f32_u32_e32 v3, s52
	v_cvt_f32_u32_e32 v12, s53
	s_sub_u32 s51, 0, s52
	s_subb_u32 s54, 0, s53
	v_mac_f32_e32 v3, 0x4f800000, v12
	v_rcp_f32_e32 v3, v3
	v_mul_f32_e32 v3, 0x5f7ffffc, v3
	v_mul_f32_e32 v12, 0x2f800000, v3
	v_trunc_f32_e32 v12, v12
	v_mac_f32_e32 v3, 0xcf800000, v12
	v_cvt_u32_f32_e32 v12, v12
	v_cvt_u32_f32_e32 v3, v3
	v_readfirstlane_b32 s55, v12
	v_readfirstlane_b32 s0, v3
	s_mul_i32 s1, s51, s55
	s_mul_hi_u32 s57, s51, s0
	s_mul_i32 s56, s54, s0
	s_add_i32 s1, s57, s1
	s_add_i32 s1, s1, s56
	s_mul_i32 s58, s51, s0
	s_mul_i32 s57, s0, s1
	s_mul_hi_u32 s59, s0, s58
	s_mul_hi_u32 s56, s0, s1
	s_add_u32 s57, s59, s57
	s_addc_u32 s56, 0, s56
	s_mul_hi_u32 s60, s55, s58
	s_mul_i32 s58, s55, s58
	s_add_u32 s57, s57, s58
	s_mul_hi_u32 s59, s55, s1
	s_addc_u32 s56, s56, s60
	s_addc_u32 s57, s59, 0
	s_mul_i32 s1, s55, s1
	s_add_u32 s1, s56, s1
	s_addc_u32 s56, 0, s57
	s_add_u32 s57, s0, s1
	s_cselect_b64 s[0:1], -1, 0
	s_cmp_lg_u64 s[0:1], 0
	s_addc_u32 s55, s55, s56
	s_mul_i32 s0, s51, s55
	s_mul_hi_u32 s1, s51, s57
	s_add_i32 s0, s1, s0
	s_mul_i32 s54, s54, s57
	s_add_i32 s0, s0, s54
	s_mul_i32 s51, s51, s57
	s_mul_hi_u32 s54, s55, s51
	s_mul_i32 s56, s55, s51
	s_mul_i32 s59, s57, s0
	s_mul_hi_u32 s51, s57, s51
	s_mul_hi_u32 s58, s57, s0
	s_add_u32 s51, s51, s59
	s_addc_u32 s58, 0, s58
	s_add_u32 s51, s51, s56
	s_mul_hi_u32 s1, s55, s0
	s_addc_u32 s51, s58, s54
	s_addc_u32 s1, s1, 0
	s_mul_i32 s0, s55, s0
	s_add_u32 s0, s51, s0
	s_addc_u32 s51, 0, s1
	s_add_u32 s54, s57, s0
	s_cselect_b64 s[0:1], -1, 0
	v_ashrrev_i32_e32 v3, 31, v11
	s_cmp_lg_u64 s[0:1], 0
	v_add_co_u32_e32 v12, vcc, v10, v3
	s_addc_u32 s51, s55, s51
	v_xor_b32_e32 v16, v12, v3
	v_mad_u64_u32 v[12:13], s[0:1], v16, s51, 0
	v_mul_hi_u32 v15, v16, s54
	v_addc_co_u32_e32 v14, vcc, v11, v3, vcc
	v_xor_b32_e32 v17, v14, v3
	v_add_co_u32_e32 v18, vcc, v15, v12
	v_addc_co_u32_e32 v19, vcc, 0, v13, vcc
	v_mad_u64_u32 v[12:13], s[0:1], v17, s54, 0
	v_mad_u64_u32 v[14:15], s[0:1], v17, s51, 0
	v_add_co_u32_e32 v12, vcc, v18, v12
	v_addc_co_u32_e32 v12, vcc, v19, v13, vcc
	v_addc_co_u32_e32 v13, vcc, 0, v15, vcc
	v_add_co_u32_e32 v14, vcc, v12, v14
	v_addc_co_u32_e32 v15, vcc, 0, v13, vcc
	v_mul_lo_u32 v18, s53, v14
	v_mul_lo_u32 v19, s52, v15
	v_mad_u64_u32 v[12:13], s[0:1], s52, v14, 0
	v_xor_b32_e32 v3, s50, v3
	v_add3_u32 v13, v13, v19, v18
	v_sub_u32_e32 v18, v17, v13
	v_mov_b32_e32 v19, s53
	v_sub_co_u32_e32 v12, vcc, v16, v12
	v_subb_co_u32_e64 v16, s[0:1], v18, v19, vcc
	v_subrev_co_u32_e64 v18, s[0:1], s52, v12
	v_subbrev_co_u32_e64 v16, s[0:1], 0, v16, s[0:1]
	v_cmp_le_u32_e64 s[0:1], s53, v16
	v_cndmask_b32_e64 v19, 0, -1, s[0:1]
	v_cmp_le_u32_e64 s[0:1], s52, v18
	v_cndmask_b32_e64 v18, 0, -1, s[0:1]
	v_cmp_eq_u32_e64 s[0:1], s53, v16
	v_cndmask_b32_e64 v16, v19, v18, s[0:1]
	v_add_co_u32_e64 v18, s[0:1], 2, v14
	v_subb_co_u32_e32 v13, vcc, v17, v13, vcc
	v_addc_co_u32_e64 v19, s[0:1], 0, v15, s[0:1]
	v_cmp_le_u32_e32 vcc, s53, v13
	v_add_co_u32_e64 v22, s[0:1], 1, v14
	v_cndmask_b32_e64 v17, 0, -1, vcc
	v_cmp_le_u32_e32 vcc, s52, v12
	v_addc_co_u32_e64 v23, s[0:1], 0, v15, s[0:1]
	v_cndmask_b32_e64 v12, 0, -1, vcc
	v_cmp_eq_u32_e32 vcc, s53, v13
	v_cmp_ne_u32_e64 s[0:1], 0, v16
	v_cndmask_b32_e32 v12, v17, v12, vcc
	v_cndmask_b32_e64 v16, v23, v19, s[0:1]
	v_cmp_ne_u32_e32 vcc, 0, v12
	v_cndmask_b32_e64 v13, v22, v18, s[0:1]
	v_cndmask_b32_e32 v12, v15, v16, vcc
	v_cndmask_b32_e32 v13, v14, v13, vcc
	v_xor_b32_e32 v14, v12, v3
	v_xor_b32_e32 v12, v13, v3
	v_sub_co_u32_e32 v12, vcc, v12, v3
	v_subb_co_u32_e32 v13, vcc, v14, v3, vcc
.LBB34_19:                              ;   in Loop: Header=BB34_17 Depth=2
	s_andn2_saveexec_b64 s[0:1], s[48:49]
	s_cbranch_execz .LBB34_16
; %bb.20:                               ;   in Loop: Header=BB34_17 Depth=2
	v_cvt_f32_u32_e32 v3, s46
	s_sub_i32 s48, 0, s46
	v_rcp_iflag_f32_e32 v3, v3
	v_mul_f32_e32 v3, 0x4f7ffffe, v3
	v_cvt_u32_f32_e32 v3, v3
	v_mul_lo_u32 v12, s48, v3
	v_mul_hi_u32 v12, v3, v12
	v_add_u32_e32 v3, v3, v12
	v_mul_hi_u32 v3, v10, v3
	v_mul_lo_u32 v12, v3, s46
	v_add_u32_e32 v13, 1, v3
	v_sub_u32_e32 v12, v10, v12
	v_subrev_u32_e32 v14, s46, v12
	v_cmp_le_u32_e32 vcc, s46, v12
	v_cndmask_b32_e32 v12, v12, v14, vcc
	v_cndmask_b32_e32 v3, v3, v13, vcc
	v_add_u32_e32 v13, 1, v3
	v_cmp_le_u32_e32 vcc, s46, v12
	v_cndmask_b32_e32 v12, v3, v13, vcc
	v_mov_b32_e32 v13, v2
	s_branch .LBB34_16
.LBB34_21:                              ;   in Loop: Header=BB34_22 Depth=2
	s_or_b64 exec, exec, s[0:1]
	v_mul_lo_u32 v3, v13, s44
	v_mul_lo_u32 v24, v12, s45
	v_mad_u64_u32 v[22:23], s[0:1], v12, s44, 0
	v_add3_u32 v3, v23, v24, v3
	v_sub_co_u32_e32 v10, vcc, v10, v22
	v_subb_co_u32_e32 v3, vcc, v11, v3, vcc
	v_mul_lo_u32 v3, s48, v3
	v_mul_lo_u32 v22, s49, v10
	v_mad_u64_u32 v[8:9], s[0:1], s48, v10, v[8:9]
	v_mul_lo_u32 v23, v15, s46
	v_mul_lo_u32 v24, v14, s47
	v_mad_u64_u32 v[10:11], s[0:1], v14, s46, 0
	v_add3_u32 v9, v22, v9, v3
	v_mul_lo_u32 v22, v16, s51
	v_add3_u32 v3, v11, v24, v23
	v_sub_co_u32_e32 v10, vcc, v12, v10
	v_subb_co_u32_e32 v3, vcc, v13, v3, vcc
	v_mad_u64_u32 v[8:9], s[0:1], s52, v10, v[8:9]
	v_mul_lo_u32 v3, s52, v3
	v_mul_lo_u32 v12, s53, v10
	;; [unrolled: 1-line block ×3, first 2 shown]
	v_mad_u64_u32 v[10:11], s[0:1], v16, s50, 0
	v_add3_u32 v9, v12, v9, v3
	v_add3_u32 v3, v11, v22, v13
	v_sub_co_u32_e32 v10, vcc, v14, v10
	v_subb_co_u32_e32 v3, vcc, v15, v3, vcc
	v_mad_u64_u32 v[8:9], s[0:1], s56, v10, v[8:9]
	v_mul_lo_u32 v3, s56, v3
	v_mul_lo_u32 v12, s57, v10
	;; [unrolled: 1-line block ×4, first 2 shown]
	v_mad_u64_u32 v[10:11], s[0:1], v18, s54, 0
	s_load_dwordx2 s[0:1], s[38:39], 0x0
	v_add3_u32 v9, v12, v9, v3
	v_add3_u32 v3, v11, v14, v13
	v_sub_co_u32_e32 v10, vcc, v16, v10
	v_subb_co_u32_e32 v3, vcc, v17, v3, vcc
	s_add_u32 s38, s38, 0xffffffe0
	s_waitcnt lgkmcnt(0)
	v_mad_u64_u32 v[8:9], s[44:45], s0, v10, v[8:9]
	v_mul_lo_u32 v3, s0, v3
	v_mul_lo_u32 v10, s1, v10
	s_addc_u32 s39, s39, -1
	s_add_u32 s40, s40, 0xffffffe0
	s_addc_u32 s41, s41, -1
	s_add_u32 s42, s42, -4
	v_add3_u32 v9, v10, v9, v3
	s_addc_u32 s43, s43, -1
	v_mov_b32_e32 v10, v18
	s_cmp_eq_u64 s[42:43], 0
	v_mov_b32_e32 v11, v19
	s_cbranch_scc1 .LBB34_38
.LBB34_22:                              ;   Parent Loop BB34_3 Depth=1
                                        ; =>  This Inner Loop Header: Depth=2
	s_load_dwordx2 s[44:45], s[40:41], 0x18
                                        ; implicit-def: $vgpr12_vgpr13
	s_waitcnt lgkmcnt(0)
	v_or_b32_e32 v3, s45, v11
	v_cmp_ne_u64_e32 vcc, 0, v[2:3]
	s_and_saveexec_b64 s[0:1], vcc
	s_xor_b64 s[46:47], exec, s[0:1]
	s_cbranch_execz .LBB34_24
; %bb.23:                               ;   in Loop: Header=BB34_22 Depth=2
	s_ashr_i32 s48, s45, 31
	s_add_u32 s0, s44, s48
	s_mov_b32 s49, s48
	s_addc_u32 s1, s45, s48
	s_xor_b64 s[50:51], s[0:1], s[48:49]
	v_cvt_f32_u32_e32 v3, s50
	v_cvt_f32_u32_e32 v12, s51
	s_sub_u32 s49, 0, s50
	s_subb_u32 s52, 0, s51
	v_mac_f32_e32 v3, 0x4f800000, v12
	v_rcp_f32_e32 v3, v3
	v_mul_f32_e32 v3, 0x5f7ffffc, v3
	v_mul_f32_e32 v12, 0x2f800000, v3
	v_trunc_f32_e32 v12, v12
	v_mac_f32_e32 v3, 0xcf800000, v12
	v_cvt_u32_f32_e32 v12, v12
	v_cvt_u32_f32_e32 v3, v3
	v_readfirstlane_b32 s53, v12
	v_readfirstlane_b32 s0, v3
	s_mul_i32 s1, s49, s53
	s_mul_hi_u32 s55, s49, s0
	s_mul_i32 s54, s52, s0
	s_add_i32 s1, s55, s1
	s_add_i32 s1, s1, s54
	s_mul_i32 s56, s49, s0
	s_mul_i32 s55, s0, s1
	s_mul_hi_u32 s57, s0, s56
	s_mul_hi_u32 s54, s0, s1
	s_add_u32 s55, s57, s55
	s_addc_u32 s54, 0, s54
	s_mul_hi_u32 s58, s53, s56
	s_mul_i32 s56, s53, s56
	s_add_u32 s55, s55, s56
	s_mul_hi_u32 s57, s53, s1
	s_addc_u32 s54, s54, s58
	s_addc_u32 s55, s57, 0
	s_mul_i32 s1, s53, s1
	s_add_u32 s1, s54, s1
	s_addc_u32 s54, 0, s55
	s_add_u32 s55, s0, s1
	s_cselect_b64 s[0:1], -1, 0
	s_cmp_lg_u64 s[0:1], 0
	s_addc_u32 s53, s53, s54
	s_mul_i32 s0, s49, s53
	s_mul_hi_u32 s1, s49, s55
	s_add_i32 s0, s1, s0
	s_mul_i32 s52, s52, s55
	s_add_i32 s0, s0, s52
	s_mul_i32 s49, s49, s55
	s_mul_hi_u32 s52, s53, s49
	s_mul_i32 s54, s53, s49
	s_mul_i32 s57, s55, s0
	s_mul_hi_u32 s49, s55, s49
	s_mul_hi_u32 s56, s55, s0
	s_add_u32 s49, s49, s57
	s_addc_u32 s56, 0, s56
	s_add_u32 s49, s49, s54
	s_mul_hi_u32 s1, s53, s0
	s_addc_u32 s49, s56, s52
	s_addc_u32 s1, s1, 0
	s_mul_i32 s0, s53, s0
	s_add_u32 s0, s49, s0
	s_addc_u32 s49, 0, s1
	s_add_u32 s52, s55, s0
	s_cselect_b64 s[0:1], -1, 0
	v_ashrrev_i32_e32 v3, 31, v11
	s_cmp_lg_u64 s[0:1], 0
	v_add_co_u32_e32 v12, vcc, v10, v3
	s_addc_u32 s49, s53, s49
	v_xor_b32_e32 v16, v12, v3
	v_mad_u64_u32 v[12:13], s[0:1], v16, s49, 0
	v_mul_hi_u32 v15, v16, s52
	v_addc_co_u32_e32 v14, vcc, v11, v3, vcc
	v_xor_b32_e32 v17, v14, v3
	v_add_co_u32_e32 v18, vcc, v15, v12
	v_addc_co_u32_e32 v19, vcc, 0, v13, vcc
	v_mad_u64_u32 v[12:13], s[0:1], v17, s52, 0
	v_mad_u64_u32 v[14:15], s[0:1], v17, s49, 0
	v_add_co_u32_e32 v12, vcc, v18, v12
	v_addc_co_u32_e32 v12, vcc, v19, v13, vcc
	v_addc_co_u32_e32 v13, vcc, 0, v15, vcc
	v_add_co_u32_e32 v14, vcc, v12, v14
	v_addc_co_u32_e32 v15, vcc, 0, v13, vcc
	v_mul_lo_u32 v18, s51, v14
	v_mul_lo_u32 v19, s50, v15
	v_mad_u64_u32 v[12:13], s[0:1], s50, v14, 0
	v_xor_b32_e32 v3, s48, v3
	v_add3_u32 v13, v13, v19, v18
	v_sub_u32_e32 v18, v17, v13
	v_mov_b32_e32 v19, s51
	v_sub_co_u32_e32 v12, vcc, v16, v12
	v_subb_co_u32_e64 v16, s[0:1], v18, v19, vcc
	v_subrev_co_u32_e64 v18, s[0:1], s50, v12
	v_subbrev_co_u32_e64 v16, s[0:1], 0, v16, s[0:1]
	v_cmp_le_u32_e64 s[0:1], s51, v16
	v_cndmask_b32_e64 v19, 0, -1, s[0:1]
	v_cmp_le_u32_e64 s[0:1], s50, v18
	v_cndmask_b32_e64 v18, 0, -1, s[0:1]
	v_cmp_eq_u32_e64 s[0:1], s51, v16
	v_cndmask_b32_e64 v16, v19, v18, s[0:1]
	v_add_co_u32_e64 v18, s[0:1], 2, v14
	v_subb_co_u32_e32 v13, vcc, v17, v13, vcc
	v_addc_co_u32_e64 v19, s[0:1], 0, v15, s[0:1]
	v_cmp_le_u32_e32 vcc, s51, v13
	v_add_co_u32_e64 v22, s[0:1], 1, v14
	v_cndmask_b32_e64 v17, 0, -1, vcc
	v_cmp_le_u32_e32 vcc, s50, v12
	v_addc_co_u32_e64 v23, s[0:1], 0, v15, s[0:1]
	v_cndmask_b32_e64 v12, 0, -1, vcc
	v_cmp_eq_u32_e32 vcc, s51, v13
	v_cmp_ne_u32_e64 s[0:1], 0, v16
	v_cndmask_b32_e32 v12, v17, v12, vcc
	v_cndmask_b32_e64 v16, v23, v19, s[0:1]
	v_cmp_ne_u32_e32 vcc, 0, v12
	v_cndmask_b32_e64 v13, v22, v18, s[0:1]
	v_cndmask_b32_e32 v12, v15, v16, vcc
	v_cndmask_b32_e32 v13, v14, v13, vcc
	v_xor_b32_e32 v14, v12, v3
	v_xor_b32_e32 v12, v13, v3
	v_sub_co_u32_e32 v12, vcc, v12, v3
	v_subb_co_u32_e32 v13, vcc, v14, v3, vcc
.LBB34_24:                              ;   in Loop: Header=BB34_22 Depth=2
	s_andn2_saveexec_b64 s[0:1], s[46:47]
	s_cbranch_execz .LBB34_26
; %bb.25:                               ;   in Loop: Header=BB34_22 Depth=2
	v_cvt_f32_u32_e32 v3, s44
	s_sub_i32 s46, 0, s44
	v_rcp_iflag_f32_e32 v3, v3
	v_mul_f32_e32 v3, 0x4f7ffffe, v3
	v_cvt_u32_f32_e32 v3, v3
	v_mul_lo_u32 v12, s46, v3
	v_mul_hi_u32 v12, v3, v12
	v_add_u32_e32 v3, v3, v12
	v_mul_hi_u32 v3, v10, v3
	v_mul_lo_u32 v12, v3, s44
	v_add_u32_e32 v13, 1, v3
	v_sub_u32_e32 v12, v10, v12
	v_subrev_u32_e32 v14, s44, v12
	v_cmp_le_u32_e32 vcc, s44, v12
	v_cndmask_b32_e32 v12, v12, v14, vcc
	v_cndmask_b32_e32 v3, v3, v13, vcc
	v_add_u32_e32 v13, 1, v3
	v_cmp_le_u32_e32 vcc, s44, v12
	v_cndmask_b32_e32 v12, v3, v13, vcc
	v_mov_b32_e32 v13, v2
.LBB34_26:                              ;   in Loop: Header=BB34_22 Depth=2
	s_or_b64 exec, exec, s[0:1]
	s_load_dwordx2 s[46:47], s[40:41], 0x10
	s_load_dwordx2 s[48:49], s[38:39], 0x18
                                        ; implicit-def: $vgpr14_vgpr15
	s_waitcnt lgkmcnt(0)
	v_or_b32_e32 v3, s47, v13
	v_cmp_ne_u64_e32 vcc, 0, v[2:3]
	s_and_saveexec_b64 s[0:1], vcc
	s_xor_b64 s[50:51], exec, s[0:1]
	s_cbranch_execz .LBB34_28
; %bb.27:                               ;   in Loop: Header=BB34_22 Depth=2
	s_ashr_i32 s52, s47, 31
	s_add_u32 s0, s46, s52
	s_mov_b32 s53, s52
	s_addc_u32 s1, s47, s52
	s_xor_b64 s[54:55], s[0:1], s[52:53]
	v_cvt_f32_u32_e32 v3, s54
	v_cvt_f32_u32_e32 v14, s55
	s_sub_u32 s53, 0, s54
	s_subb_u32 s56, 0, s55
	v_mac_f32_e32 v3, 0x4f800000, v14
	v_rcp_f32_e32 v3, v3
	v_mul_f32_e32 v3, 0x5f7ffffc, v3
	v_mul_f32_e32 v14, 0x2f800000, v3
	v_trunc_f32_e32 v14, v14
	v_mac_f32_e32 v3, 0xcf800000, v14
	v_cvt_u32_f32_e32 v14, v14
	v_cvt_u32_f32_e32 v3, v3
	v_readfirstlane_b32 s57, v14
	v_readfirstlane_b32 s0, v3
	s_mul_i32 s1, s53, s57
	s_mul_hi_u32 s59, s53, s0
	s_mul_i32 s58, s56, s0
	s_add_i32 s1, s59, s1
	s_add_i32 s1, s1, s58
	s_mul_i32 s60, s53, s0
	s_mul_i32 s59, s0, s1
	s_mul_hi_u32 s61, s0, s60
	s_mul_hi_u32 s58, s0, s1
	s_add_u32 s59, s61, s59
	s_addc_u32 s58, 0, s58
	s_mul_hi_u32 s62, s57, s60
	s_mul_i32 s60, s57, s60
	s_add_u32 s59, s59, s60
	s_mul_hi_u32 s61, s57, s1
	s_addc_u32 s58, s58, s62
	s_addc_u32 s59, s61, 0
	s_mul_i32 s1, s57, s1
	s_add_u32 s1, s58, s1
	s_addc_u32 s58, 0, s59
	s_add_u32 s59, s0, s1
	s_cselect_b64 s[0:1], -1, 0
	s_cmp_lg_u64 s[0:1], 0
	s_addc_u32 s57, s57, s58
	s_mul_i32 s0, s53, s57
	s_mul_hi_u32 s1, s53, s59
	s_add_i32 s0, s1, s0
	s_mul_i32 s56, s56, s59
	s_add_i32 s0, s0, s56
	s_mul_i32 s53, s53, s59
	s_mul_hi_u32 s56, s57, s53
	s_mul_i32 s58, s57, s53
	s_mul_i32 s61, s59, s0
	s_mul_hi_u32 s53, s59, s53
	s_mul_hi_u32 s60, s59, s0
	s_add_u32 s53, s53, s61
	s_addc_u32 s60, 0, s60
	s_add_u32 s53, s53, s58
	s_mul_hi_u32 s1, s57, s0
	s_addc_u32 s53, s60, s56
	s_addc_u32 s1, s1, 0
	s_mul_i32 s0, s57, s0
	s_add_u32 s0, s53, s0
	s_addc_u32 s53, 0, s1
	s_add_u32 s56, s59, s0
	s_cselect_b64 s[0:1], -1, 0
	v_ashrrev_i32_e32 v3, 31, v13
	s_cmp_lg_u64 s[0:1], 0
	v_add_co_u32_e32 v14, vcc, v12, v3
	s_addc_u32 s53, s57, s53
	v_xor_b32_e32 v18, v14, v3
	v_mad_u64_u32 v[14:15], s[0:1], v18, s53, 0
	v_mul_hi_u32 v17, v18, s56
	v_addc_co_u32_e32 v16, vcc, v13, v3, vcc
	v_xor_b32_e32 v19, v16, v3
	v_add_co_u32_e32 v22, vcc, v17, v14
	v_addc_co_u32_e32 v23, vcc, 0, v15, vcc
	v_mad_u64_u32 v[14:15], s[0:1], v19, s56, 0
	v_mad_u64_u32 v[16:17], s[0:1], v19, s53, 0
	v_add_co_u32_e32 v14, vcc, v22, v14
	v_addc_co_u32_e32 v14, vcc, v23, v15, vcc
	v_addc_co_u32_e32 v15, vcc, 0, v17, vcc
	v_add_co_u32_e32 v16, vcc, v14, v16
	v_addc_co_u32_e32 v17, vcc, 0, v15, vcc
	v_mul_lo_u32 v22, s55, v16
	v_mul_lo_u32 v23, s54, v17
	v_mad_u64_u32 v[14:15], s[0:1], s54, v16, 0
	v_xor_b32_e32 v3, s52, v3
	v_add3_u32 v15, v15, v23, v22
	v_sub_u32_e32 v22, v19, v15
	v_mov_b32_e32 v23, s55
	v_sub_co_u32_e32 v14, vcc, v18, v14
	v_subb_co_u32_e64 v18, s[0:1], v22, v23, vcc
	v_subrev_co_u32_e64 v22, s[0:1], s54, v14
	v_subbrev_co_u32_e64 v18, s[0:1], 0, v18, s[0:1]
	v_cmp_le_u32_e64 s[0:1], s55, v18
	v_cndmask_b32_e64 v23, 0, -1, s[0:1]
	v_cmp_le_u32_e64 s[0:1], s54, v22
	v_cndmask_b32_e64 v22, 0, -1, s[0:1]
	v_cmp_eq_u32_e64 s[0:1], s55, v18
	v_cndmask_b32_e64 v18, v23, v22, s[0:1]
	v_add_co_u32_e64 v22, s[0:1], 2, v16
	v_subb_co_u32_e32 v15, vcc, v19, v15, vcc
	v_addc_co_u32_e64 v23, s[0:1], 0, v17, s[0:1]
	v_cmp_le_u32_e32 vcc, s55, v15
	v_add_co_u32_e64 v24, s[0:1], 1, v16
	v_cndmask_b32_e64 v19, 0, -1, vcc
	v_cmp_le_u32_e32 vcc, s54, v14
	v_addc_co_u32_e64 v25, s[0:1], 0, v17, s[0:1]
	v_cndmask_b32_e64 v14, 0, -1, vcc
	v_cmp_eq_u32_e32 vcc, s55, v15
	v_cmp_ne_u32_e64 s[0:1], 0, v18
	v_cndmask_b32_e32 v14, v19, v14, vcc
	v_cndmask_b32_e64 v18, v25, v23, s[0:1]
	v_cmp_ne_u32_e32 vcc, 0, v14
	v_cndmask_b32_e64 v15, v24, v22, s[0:1]
	v_cndmask_b32_e32 v14, v17, v18, vcc
	v_cndmask_b32_e32 v15, v16, v15, vcc
	v_xor_b32_e32 v16, v14, v3
	v_xor_b32_e32 v14, v15, v3
	v_sub_co_u32_e32 v14, vcc, v14, v3
	v_subb_co_u32_e32 v15, vcc, v16, v3, vcc
.LBB34_28:                              ;   in Loop: Header=BB34_22 Depth=2
	s_andn2_saveexec_b64 s[0:1], s[50:51]
	s_cbranch_execz .LBB34_30
; %bb.29:                               ;   in Loop: Header=BB34_22 Depth=2
	v_cvt_f32_u32_e32 v3, s46
	s_sub_i32 s50, 0, s46
	v_rcp_iflag_f32_e32 v3, v3
	v_mul_f32_e32 v3, 0x4f7ffffe, v3
	v_cvt_u32_f32_e32 v3, v3
	v_mul_lo_u32 v14, s50, v3
	v_mul_hi_u32 v14, v3, v14
	v_add_u32_e32 v3, v3, v14
	v_mul_hi_u32 v3, v12, v3
	v_mul_lo_u32 v14, v3, s46
	v_add_u32_e32 v15, 1, v3
	v_sub_u32_e32 v14, v12, v14
	v_subrev_u32_e32 v16, s46, v14
	v_cmp_le_u32_e32 vcc, s46, v14
	v_cndmask_b32_e32 v14, v14, v16, vcc
	v_cndmask_b32_e32 v3, v3, v15, vcc
	v_add_u32_e32 v15, 1, v3
	v_cmp_le_u32_e32 vcc, s46, v14
	v_cndmask_b32_e32 v14, v3, v15, vcc
	v_mov_b32_e32 v15, v2
.LBB34_30:                              ;   in Loop: Header=BB34_22 Depth=2
	s_or_b64 exec, exec, s[0:1]
	s_load_dwordx2 s[50:51], s[40:41], 0x8
	s_load_dwordx2 s[52:53], s[38:39], 0x10
                                        ; implicit-def: $vgpr16_vgpr17
	s_waitcnt lgkmcnt(0)
	v_or_b32_e32 v3, s51, v15
	v_cmp_ne_u64_e32 vcc, 0, v[2:3]
	s_and_saveexec_b64 s[0:1], vcc
	s_xor_b64 s[54:55], exec, s[0:1]
	s_cbranch_execz .LBB34_32
; %bb.31:                               ;   in Loop: Header=BB34_22 Depth=2
	s_ashr_i32 s56, s51, 31
	s_add_u32 s0, s50, s56
	s_mov_b32 s57, s56
	s_addc_u32 s1, s51, s56
	s_xor_b64 s[58:59], s[0:1], s[56:57]
	v_cvt_f32_u32_e32 v3, s58
	v_cvt_f32_u32_e32 v16, s59
	s_sub_u32 s57, 0, s58
	s_subb_u32 s60, 0, s59
	v_mac_f32_e32 v3, 0x4f800000, v16
	v_rcp_f32_e32 v3, v3
	v_mul_f32_e32 v3, 0x5f7ffffc, v3
	v_mul_f32_e32 v16, 0x2f800000, v3
	v_trunc_f32_e32 v16, v16
	v_mac_f32_e32 v3, 0xcf800000, v16
	v_cvt_u32_f32_e32 v16, v16
	v_cvt_u32_f32_e32 v3, v3
	v_readfirstlane_b32 s61, v16
	v_readfirstlane_b32 s0, v3
	s_mul_i32 s1, s57, s61
	s_mul_hi_u32 s63, s57, s0
	s_mul_i32 s62, s60, s0
	s_add_i32 s1, s63, s1
	s_add_i32 s1, s1, s62
	s_mul_i32 s68, s57, s0
	s_mul_i32 s63, s0, s1
	s_mul_hi_u32 s69, s0, s68
	s_mul_hi_u32 s62, s0, s1
	s_add_u32 s63, s69, s63
	s_addc_u32 s62, 0, s62
	s_mul_hi_u32 s70, s61, s68
	s_mul_i32 s68, s61, s68
	s_add_u32 s63, s63, s68
	s_mul_hi_u32 s69, s61, s1
	s_addc_u32 s62, s62, s70
	s_addc_u32 s63, s69, 0
	s_mul_i32 s1, s61, s1
	s_add_u32 s1, s62, s1
	s_addc_u32 s62, 0, s63
	s_add_u32 s63, s0, s1
	s_cselect_b64 s[0:1], -1, 0
	s_cmp_lg_u64 s[0:1], 0
	s_addc_u32 s61, s61, s62
	s_mul_i32 s0, s57, s61
	s_mul_hi_u32 s1, s57, s63
	s_add_i32 s0, s1, s0
	s_mul_i32 s60, s60, s63
	s_add_i32 s0, s0, s60
	s_mul_i32 s57, s57, s63
	s_mul_hi_u32 s60, s61, s57
	s_mul_i32 s62, s61, s57
	s_mul_i32 s69, s63, s0
	s_mul_hi_u32 s57, s63, s57
	s_mul_hi_u32 s68, s63, s0
	s_add_u32 s57, s57, s69
	s_addc_u32 s68, 0, s68
	s_add_u32 s57, s57, s62
	s_mul_hi_u32 s1, s61, s0
	s_addc_u32 s57, s68, s60
	s_addc_u32 s1, s1, 0
	s_mul_i32 s0, s61, s0
	s_add_u32 s0, s57, s0
	s_addc_u32 s57, 0, s1
	s_add_u32 s60, s63, s0
	s_cselect_b64 s[0:1], -1, 0
	v_ashrrev_i32_e32 v3, 31, v15
	s_cmp_lg_u64 s[0:1], 0
	v_add_co_u32_e32 v16, vcc, v14, v3
	s_addc_u32 s57, s61, s57
	v_xor_b32_e32 v22, v16, v3
	v_mad_u64_u32 v[16:17], s[0:1], v22, s57, 0
	v_mul_hi_u32 v19, v22, s60
	v_addc_co_u32_e32 v18, vcc, v15, v3, vcc
	v_xor_b32_e32 v23, v18, v3
	v_add_co_u32_e32 v24, vcc, v19, v16
	v_addc_co_u32_e32 v25, vcc, 0, v17, vcc
	v_mad_u64_u32 v[16:17], s[0:1], v23, s60, 0
	v_mad_u64_u32 v[18:19], s[0:1], v23, s57, 0
	v_add_co_u32_e32 v16, vcc, v24, v16
	v_addc_co_u32_e32 v16, vcc, v25, v17, vcc
	v_addc_co_u32_e32 v17, vcc, 0, v19, vcc
	v_add_co_u32_e32 v18, vcc, v16, v18
	v_addc_co_u32_e32 v19, vcc, 0, v17, vcc
	v_mul_lo_u32 v24, s59, v18
	v_mul_lo_u32 v25, s58, v19
	v_mad_u64_u32 v[16:17], s[0:1], s58, v18, 0
	v_xor_b32_e32 v3, s56, v3
	v_add3_u32 v17, v17, v25, v24
	v_sub_u32_e32 v24, v23, v17
	v_mov_b32_e32 v25, s59
	v_sub_co_u32_e32 v16, vcc, v22, v16
	v_subb_co_u32_e64 v22, s[0:1], v24, v25, vcc
	v_subrev_co_u32_e64 v24, s[0:1], s58, v16
	v_subbrev_co_u32_e64 v22, s[0:1], 0, v22, s[0:1]
	v_cmp_le_u32_e64 s[0:1], s59, v22
	v_cndmask_b32_e64 v25, 0, -1, s[0:1]
	v_cmp_le_u32_e64 s[0:1], s58, v24
	v_cndmask_b32_e64 v24, 0, -1, s[0:1]
	v_cmp_eq_u32_e64 s[0:1], s59, v22
	v_cndmask_b32_e64 v22, v25, v24, s[0:1]
	v_add_co_u32_e64 v24, s[0:1], 2, v18
	v_subb_co_u32_e32 v17, vcc, v23, v17, vcc
	v_addc_co_u32_e64 v25, s[0:1], 0, v19, s[0:1]
	v_cmp_le_u32_e32 vcc, s59, v17
	v_add_co_u32_e64 v26, s[0:1], 1, v18
	v_cndmask_b32_e64 v23, 0, -1, vcc
	v_cmp_le_u32_e32 vcc, s58, v16
	v_addc_co_u32_e64 v27, s[0:1], 0, v19, s[0:1]
	v_cndmask_b32_e64 v16, 0, -1, vcc
	v_cmp_eq_u32_e32 vcc, s59, v17
	v_cmp_ne_u32_e64 s[0:1], 0, v22
	v_cndmask_b32_e32 v16, v23, v16, vcc
	v_cndmask_b32_e64 v22, v27, v25, s[0:1]
	v_cmp_ne_u32_e32 vcc, 0, v16
	v_cndmask_b32_e64 v17, v26, v24, s[0:1]
	v_cndmask_b32_e32 v16, v19, v22, vcc
	v_cndmask_b32_e32 v17, v18, v17, vcc
	v_xor_b32_e32 v18, v16, v3
	v_xor_b32_e32 v16, v17, v3
	v_sub_co_u32_e32 v16, vcc, v16, v3
	v_subb_co_u32_e32 v17, vcc, v18, v3, vcc
.LBB34_32:                              ;   in Loop: Header=BB34_22 Depth=2
	s_andn2_saveexec_b64 s[0:1], s[54:55]
	s_cbranch_execz .LBB34_34
; %bb.33:                               ;   in Loop: Header=BB34_22 Depth=2
	v_cvt_f32_u32_e32 v3, s50
	s_sub_i32 s54, 0, s50
	v_rcp_iflag_f32_e32 v3, v3
	v_mul_f32_e32 v3, 0x4f7ffffe, v3
	v_cvt_u32_f32_e32 v3, v3
	v_mul_lo_u32 v16, s54, v3
	v_mul_hi_u32 v16, v3, v16
	v_add_u32_e32 v3, v3, v16
	v_mul_hi_u32 v3, v14, v3
	v_mul_lo_u32 v16, v3, s50
	v_add_u32_e32 v17, 1, v3
	v_sub_u32_e32 v16, v14, v16
	v_subrev_u32_e32 v18, s50, v16
	v_cmp_le_u32_e32 vcc, s50, v16
	v_cndmask_b32_e32 v16, v16, v18, vcc
	v_cndmask_b32_e32 v3, v3, v17, vcc
	v_add_u32_e32 v17, 1, v3
	v_cmp_le_u32_e32 vcc, s50, v16
	v_cndmask_b32_e32 v16, v3, v17, vcc
	v_mov_b32_e32 v17, v2
.LBB34_34:                              ;   in Loop: Header=BB34_22 Depth=2
	s_or_b64 exec, exec, s[0:1]
	s_load_dwordx2 s[54:55], s[40:41], 0x0
	s_load_dwordx2 s[56:57], s[38:39], 0x8
                                        ; implicit-def: $vgpr18_vgpr19
	s_waitcnt lgkmcnt(0)
	v_or_b32_e32 v3, s55, v17
	v_cmp_ne_u64_e32 vcc, 0, v[2:3]
	s_and_saveexec_b64 s[0:1], vcc
	s_xor_b64 s[58:59], exec, s[0:1]
	s_cbranch_execz .LBB34_36
; %bb.35:                               ;   in Loop: Header=BB34_22 Depth=2
	s_ashr_i32 s60, s55, 31
	s_add_u32 s0, s54, s60
	s_mov_b32 s61, s60
	s_addc_u32 s1, s55, s60
	s_xor_b64 s[62:63], s[0:1], s[60:61]
	v_cvt_f32_u32_e32 v3, s62
	v_cvt_f32_u32_e32 v18, s63
	s_sub_u32 s61, 0, s62
	s_subb_u32 s68, 0, s63
	v_mac_f32_e32 v3, 0x4f800000, v18
	v_rcp_f32_e32 v3, v3
	v_mul_f32_e32 v3, 0x5f7ffffc, v3
	v_mul_f32_e32 v18, 0x2f800000, v3
	v_trunc_f32_e32 v18, v18
	v_mac_f32_e32 v3, 0xcf800000, v18
	v_cvt_u32_f32_e32 v18, v18
	v_cvt_u32_f32_e32 v3, v3
	v_readfirstlane_b32 s69, v18
	v_readfirstlane_b32 s0, v3
	s_mul_i32 s1, s61, s69
	s_mul_hi_u32 s71, s61, s0
	s_mul_i32 s70, s68, s0
	s_add_i32 s1, s71, s1
	s_add_i32 s1, s1, s70
	s_mul_i32 s72, s61, s0
	s_mul_i32 s71, s0, s1
	s_mul_hi_u32 s73, s0, s72
	s_mul_hi_u32 s70, s0, s1
	s_add_u32 s71, s73, s71
	s_addc_u32 s70, 0, s70
	s_mul_hi_u32 s74, s69, s72
	s_mul_i32 s72, s69, s72
	s_add_u32 s71, s71, s72
	s_mul_hi_u32 s73, s69, s1
	s_addc_u32 s70, s70, s74
	s_addc_u32 s71, s73, 0
	s_mul_i32 s1, s69, s1
	s_add_u32 s1, s70, s1
	s_addc_u32 s70, 0, s71
	s_add_u32 s71, s0, s1
	s_cselect_b64 s[0:1], -1, 0
	s_cmp_lg_u64 s[0:1], 0
	s_addc_u32 s69, s69, s70
	s_mul_i32 s0, s61, s69
	s_mul_hi_u32 s1, s61, s71
	s_add_i32 s0, s1, s0
	s_mul_i32 s68, s68, s71
	s_add_i32 s0, s0, s68
	s_mul_i32 s61, s61, s71
	s_mul_hi_u32 s68, s69, s61
	s_mul_i32 s70, s69, s61
	s_mul_i32 s73, s71, s0
	s_mul_hi_u32 s61, s71, s61
	s_mul_hi_u32 s72, s71, s0
	s_add_u32 s61, s61, s73
	s_addc_u32 s72, 0, s72
	s_add_u32 s61, s61, s70
	s_mul_hi_u32 s1, s69, s0
	s_addc_u32 s61, s72, s68
	s_addc_u32 s1, s1, 0
	s_mul_i32 s0, s69, s0
	s_add_u32 s0, s61, s0
	s_addc_u32 s61, 0, s1
	s_add_u32 s68, s71, s0
	s_cselect_b64 s[0:1], -1, 0
	v_ashrrev_i32_e32 v3, 31, v17
	s_cmp_lg_u64 s[0:1], 0
	v_add_co_u32_e32 v18, vcc, v16, v3
	s_addc_u32 s61, s69, s61
	v_xor_b32_e32 v24, v18, v3
	v_mad_u64_u32 v[18:19], s[0:1], v24, s61, 0
	v_mul_hi_u32 v23, v24, s68
	v_addc_co_u32_e32 v22, vcc, v17, v3, vcc
	v_xor_b32_e32 v25, v22, v3
	v_add_co_u32_e32 v26, vcc, v23, v18
	v_addc_co_u32_e32 v27, vcc, 0, v19, vcc
	v_mad_u64_u32 v[18:19], s[0:1], v25, s68, 0
	v_mad_u64_u32 v[22:23], s[0:1], v25, s61, 0
	v_add_co_u32_e32 v18, vcc, v26, v18
	v_addc_co_u32_e32 v18, vcc, v27, v19, vcc
	v_addc_co_u32_e32 v19, vcc, 0, v23, vcc
	v_add_co_u32_e32 v22, vcc, v18, v22
	v_addc_co_u32_e32 v23, vcc, 0, v19, vcc
	v_mul_lo_u32 v26, s63, v22
	v_mul_lo_u32 v27, s62, v23
	v_mad_u64_u32 v[18:19], s[0:1], s62, v22, 0
	v_xor_b32_e32 v3, s60, v3
	v_add3_u32 v19, v19, v27, v26
	v_sub_u32_e32 v26, v25, v19
	v_mov_b32_e32 v27, s63
	v_sub_co_u32_e32 v18, vcc, v24, v18
	v_subb_co_u32_e64 v24, s[0:1], v26, v27, vcc
	v_subrev_co_u32_e64 v26, s[0:1], s62, v18
	v_subbrev_co_u32_e64 v24, s[0:1], 0, v24, s[0:1]
	v_cmp_le_u32_e64 s[0:1], s63, v24
	v_cndmask_b32_e64 v27, 0, -1, s[0:1]
	v_cmp_le_u32_e64 s[0:1], s62, v26
	v_cndmask_b32_e64 v26, 0, -1, s[0:1]
	v_cmp_eq_u32_e64 s[0:1], s63, v24
	v_cndmask_b32_e64 v24, v27, v26, s[0:1]
	v_add_co_u32_e64 v26, s[0:1], 2, v22
	v_subb_co_u32_e32 v19, vcc, v25, v19, vcc
	v_addc_co_u32_e64 v27, s[0:1], 0, v23, s[0:1]
	v_cmp_le_u32_e32 vcc, s63, v19
	v_add_co_u32_e64 v28, s[0:1], 1, v22
	v_cndmask_b32_e64 v25, 0, -1, vcc
	v_cmp_le_u32_e32 vcc, s62, v18
	v_addc_co_u32_e64 v29, s[0:1], 0, v23, s[0:1]
	v_cndmask_b32_e64 v18, 0, -1, vcc
	v_cmp_eq_u32_e32 vcc, s63, v19
	v_cmp_ne_u32_e64 s[0:1], 0, v24
	v_cndmask_b32_e32 v18, v25, v18, vcc
	v_cndmask_b32_e64 v24, v29, v27, s[0:1]
	v_cmp_ne_u32_e32 vcc, 0, v18
	v_cndmask_b32_e64 v19, v28, v26, s[0:1]
	v_cndmask_b32_e32 v18, v23, v24, vcc
	v_cndmask_b32_e32 v19, v22, v19, vcc
	v_xor_b32_e32 v22, v18, v3
	v_xor_b32_e32 v18, v19, v3
	v_sub_co_u32_e32 v18, vcc, v18, v3
	v_subb_co_u32_e32 v19, vcc, v22, v3, vcc
.LBB34_36:                              ;   in Loop: Header=BB34_22 Depth=2
	s_andn2_saveexec_b64 s[0:1], s[58:59]
	s_cbranch_execz .LBB34_21
; %bb.37:                               ;   in Loop: Header=BB34_22 Depth=2
	v_cvt_f32_u32_e32 v3, s54
	s_sub_i32 s58, 0, s54
	v_rcp_iflag_f32_e32 v3, v3
	v_mul_f32_e32 v3, 0x4f7ffffe, v3
	v_cvt_u32_f32_e32 v3, v3
	v_mul_lo_u32 v18, s58, v3
	v_mul_hi_u32 v18, v3, v18
	v_add_u32_e32 v3, v3, v18
	v_mul_hi_u32 v3, v16, v3
	v_mul_lo_u32 v18, v3, s54
	v_add_u32_e32 v19, 1, v3
	v_sub_u32_e32 v18, v16, v18
	v_subrev_u32_e32 v22, s54, v18
	v_cmp_le_u32_e32 vcc, s54, v18
	v_cndmask_b32_e32 v18, v18, v22, vcc
	v_cndmask_b32_e32 v3, v3, v19, vcc
	v_add_u32_e32 v19, 1, v3
	v_cmp_le_u32_e32 vcc, s54, v18
	v_cndmask_b32_e32 v18, v3, v19, vcc
	v_mov_b32_e32 v19, v2
	s_branch .LBB34_21
.LBB34_38:                              ;   in Loop: Header=BB34_3 Depth=1
	s_load_dwordx2 s[38:39], s[22:23], 0x0
	s_waitcnt lgkmcnt(0)
	v_cmp_gt_i64_e32 vcc, s[38:39], v[4:5]
	s_and_b64 exec, exec, vcc
	s_cbranch_execz .LBB34_2
; %bb.39:                               ;   in Loop: Header=BB34_3 Depth=1
	v_lshlrev_b64 v[8:9], 3, v[8:9]
	v_mov_b32_e32 v3, s13
	v_cmp_lt_i64_e32 vcc, s[8:9], v[6:7]
	v_add_co_u32_e64 v6, s[0:1], s12, v8
	v_addc_co_u32_e64 v7, s[0:1], v3, v9, s[0:1]
	s_and_saveexec_b64 s[0:1], vcc
	s_cbranch_execz .LBB34_41
; %bb.40:                               ;   in Loop: Header=BB34_3 Depth=1
	v_mov_b32_e32 v3, v2
	global_store_dwordx2 v[6:7], v[2:3], off
.LBB34_41:                              ;   in Loop: Header=BB34_3 Depth=1
	s_or_b64 exec, exec, s[0:1]
	v_add_co_u32_e32 v3, vcc, 1, v4
	v_addc_co_u32_e32 v4, vcc, 0, v5, vcc
	v_cmp_gt_i64_e32 vcc, s[38:39], v[3:4]
	v_sub_co_u32_e64 v3, s[0:1], v3, v20
	v_subb_co_u32_e64 v4, s[0:1], v4, v21, s[0:1]
	v_cmp_lt_i64_e64 s[0:1], s[8:9], v[3:4]
	s_and_b64 s[0:1], vcc, s[0:1]
	s_and_b64 exec, exec, s[0:1]
	s_cbranch_execz .LBB34_2
; %bb.42:                               ;   in Loop: Header=BB34_3 Depth=1
	s_lshl_b64 s[0:1], s[2:3], 3
	v_mov_b32_e32 v3, s1
	v_add_co_u32_e32 v4, vcc, s0, v6
	v_addc_co_u32_e32 v5, vcc, v7, v3, vcc
	v_mov_b32_e32 v3, v2
	global_store_dwordx2 v[4:5], v[2:3], off
	s_branch .LBB34_2
.LBB34_43:
	s_endpgm
	.section	.rodata,"a",@progbits
	.p2align	6, 0x0
	.amdhsa_kernel _ZN2at6native16triu_tril_kernelIN3c107complexIfEElLb0ELi2ELb1EEEvNS_4cuda6detail10TensorInfoIT_T0_EENS7_IKS8_S9_EEllS9_
		.amdhsa_group_segment_fixed_size 0
		.amdhsa_private_segment_fixed_size 0
		.amdhsa_kernarg_size 1112
		.amdhsa_user_sgpr_count 6
		.amdhsa_user_sgpr_private_segment_buffer 1
		.amdhsa_user_sgpr_dispatch_ptr 0
		.amdhsa_user_sgpr_queue_ptr 0
		.amdhsa_user_sgpr_kernarg_segment_ptr 1
		.amdhsa_user_sgpr_dispatch_id 0
		.amdhsa_user_sgpr_flat_scratch_init 0
		.amdhsa_user_sgpr_private_segment_size 0
		.amdhsa_uses_dynamic_stack 0
		.amdhsa_system_sgpr_private_segment_wavefront_offset 0
		.amdhsa_system_sgpr_workgroup_id_x 1
		.amdhsa_system_sgpr_workgroup_id_y 0
		.amdhsa_system_sgpr_workgroup_id_z 0
		.amdhsa_system_sgpr_workgroup_info 0
		.amdhsa_system_vgpr_workitem_id 0
		.amdhsa_next_free_vgpr 30
		.amdhsa_next_free_sgpr 75
		.amdhsa_reserve_vcc 1
		.amdhsa_reserve_flat_scratch 0
		.amdhsa_float_round_mode_32 0
		.amdhsa_float_round_mode_16_64 0
		.amdhsa_float_denorm_mode_32 3
		.amdhsa_float_denorm_mode_16_64 3
		.amdhsa_dx10_clamp 1
		.amdhsa_ieee_mode 1
		.amdhsa_fp16_overflow 0
		.amdhsa_exception_fp_ieee_invalid_op 0
		.amdhsa_exception_fp_denorm_src 0
		.amdhsa_exception_fp_ieee_div_zero 0
		.amdhsa_exception_fp_ieee_overflow 0
		.amdhsa_exception_fp_ieee_underflow 0
		.amdhsa_exception_fp_ieee_inexact 0
		.amdhsa_exception_int_div_zero 0
	.end_amdhsa_kernel
	.section	.text._ZN2at6native16triu_tril_kernelIN3c107complexIfEElLb0ELi2ELb1EEEvNS_4cuda6detail10TensorInfoIT_T0_EENS7_IKS8_S9_EEllS9_,"axG",@progbits,_ZN2at6native16triu_tril_kernelIN3c107complexIfEElLb0ELi2ELb1EEEvNS_4cuda6detail10TensorInfoIT_T0_EENS7_IKS8_S9_EEllS9_,comdat
.Lfunc_end34:
	.size	_ZN2at6native16triu_tril_kernelIN3c107complexIfEElLb0ELi2ELb1EEEvNS_4cuda6detail10TensorInfoIT_T0_EENS7_IKS8_S9_EEllS9_, .Lfunc_end34-_ZN2at6native16triu_tril_kernelIN3c107complexIfEElLb0ELi2ELb1EEEvNS_4cuda6detail10TensorInfoIT_T0_EENS7_IKS8_S9_EEllS9_
                                        ; -- End function
	.set _ZN2at6native16triu_tril_kernelIN3c107complexIfEElLb0ELi2ELb1EEEvNS_4cuda6detail10TensorInfoIT_T0_EENS7_IKS8_S9_EEllS9_.num_vgpr, 30
	.set _ZN2at6native16triu_tril_kernelIN3c107complexIfEElLb0ELi2ELb1EEEvNS_4cuda6detail10TensorInfoIT_T0_EENS7_IKS8_S9_EEllS9_.num_agpr, 0
	.set _ZN2at6native16triu_tril_kernelIN3c107complexIfEElLb0ELi2ELb1EEEvNS_4cuda6detail10TensorInfoIT_T0_EENS7_IKS8_S9_EEllS9_.numbered_sgpr, 75
	.set _ZN2at6native16triu_tril_kernelIN3c107complexIfEElLb0ELi2ELb1EEEvNS_4cuda6detail10TensorInfoIT_T0_EENS7_IKS8_S9_EEllS9_.num_named_barrier, 0
	.set _ZN2at6native16triu_tril_kernelIN3c107complexIfEElLb0ELi2ELb1EEEvNS_4cuda6detail10TensorInfoIT_T0_EENS7_IKS8_S9_EEllS9_.private_seg_size, 0
	.set _ZN2at6native16triu_tril_kernelIN3c107complexIfEElLb0ELi2ELb1EEEvNS_4cuda6detail10TensorInfoIT_T0_EENS7_IKS8_S9_EEllS9_.uses_vcc, 1
	.set _ZN2at6native16triu_tril_kernelIN3c107complexIfEElLb0ELi2ELb1EEEvNS_4cuda6detail10TensorInfoIT_T0_EENS7_IKS8_S9_EEllS9_.uses_flat_scratch, 0
	.set _ZN2at6native16triu_tril_kernelIN3c107complexIfEElLb0ELi2ELb1EEEvNS_4cuda6detail10TensorInfoIT_T0_EENS7_IKS8_S9_EEllS9_.has_dyn_sized_stack, 0
	.set _ZN2at6native16triu_tril_kernelIN3c107complexIfEElLb0ELi2ELb1EEEvNS_4cuda6detail10TensorInfoIT_T0_EENS7_IKS8_S9_EEllS9_.has_recursion, 0
	.set _ZN2at6native16triu_tril_kernelIN3c107complexIfEElLb0ELi2ELb1EEEvNS_4cuda6detail10TensorInfoIT_T0_EENS7_IKS8_S9_EEllS9_.has_indirect_call, 0
	.section	.AMDGPU.csdata,"",@progbits
; Kernel info:
; codeLenInByte = 6480
; TotalNumSgprs: 79
; NumVgprs: 30
; ScratchSize: 0
; MemoryBound: 0
; FloatMode: 240
; IeeeMode: 1
; LDSByteSize: 0 bytes/workgroup (compile time only)
; SGPRBlocks: 9
; VGPRBlocks: 7
; NumSGPRsForWavesPerEU: 79
; NumVGPRsForWavesPerEU: 30
; Occupancy: 8
; WaveLimiterHint : 0
; COMPUTE_PGM_RSRC2:SCRATCH_EN: 0
; COMPUTE_PGM_RSRC2:USER_SGPR: 6
; COMPUTE_PGM_RSRC2:TRAP_HANDLER: 0
; COMPUTE_PGM_RSRC2:TGID_X_EN: 1
; COMPUTE_PGM_RSRC2:TGID_Y_EN: 0
; COMPUTE_PGM_RSRC2:TGID_Z_EN: 0
; COMPUTE_PGM_RSRC2:TIDIG_COMP_CNT: 0
	.section	.text._ZN2at6native16triu_tril_kernelIN3c107complexIfEElLb0ELi2ELb0EEEvNS_4cuda6detail10TensorInfoIT_T0_EENS7_IKS8_S9_EEllS9_,"axG",@progbits,_ZN2at6native16triu_tril_kernelIN3c107complexIfEElLb0ELi2ELb0EEEvNS_4cuda6detail10TensorInfoIT_T0_EENS7_IKS8_S9_EEllS9_,comdat
	.protected	_ZN2at6native16triu_tril_kernelIN3c107complexIfEElLb0ELi2ELb0EEEvNS_4cuda6detail10TensorInfoIT_T0_EENS7_IKS8_S9_EEllS9_ ; -- Begin function _ZN2at6native16triu_tril_kernelIN3c107complexIfEElLb0ELi2ELb0EEEvNS_4cuda6detail10TensorInfoIT_T0_EENS7_IKS8_S9_EEllS9_
	.globl	_ZN2at6native16triu_tril_kernelIN3c107complexIfEElLb0ELi2ELb0EEEvNS_4cuda6detail10TensorInfoIT_T0_EENS7_IKS8_S9_EEllS9_
	.p2align	8
	.type	_ZN2at6native16triu_tril_kernelIN3c107complexIfEElLb0ELi2ELb0EEEvNS_4cuda6detail10TensorInfoIT_T0_EENS7_IKS8_S9_EEllS9_,@function
_ZN2at6native16triu_tril_kernelIN3c107complexIfEElLb0ELi2ELb0EEEvNS_4cuda6detail10TensorInfoIT_T0_EENS7_IKS8_S9_EEllS9_: ; @_ZN2at6native16triu_tril_kernelIN3c107complexIfEElLb0ELi2ELb0EEEvNS_4cuda6detail10TensorInfoIT_T0_EENS7_IKS8_S9_EEllS9_
; %bb.0:
	s_load_dword s2, s[4:5], 0x364
	s_load_dwordx4 s[8:11], s[4:5], 0x340
	s_add_u32 s0, s4, 0x358
	v_mov_b32_e32 v2, 0
	s_addc_u32 s1, s5, 0
	s_waitcnt lgkmcnt(0)
	s_and_b32 s7, s2, 0xffff
	v_mov_b32_e32 v1, v2
	v_mov_b32_e32 v3, s6
	v_mad_u64_u32 v[0:1], s[2:3], s7, v3, v[0:1]
	v_lshlrev_b64 v[0:1], 1, v[0:1]
	v_cmp_gt_i64_e32 vcc, s[10:11], v[0:1]
	s_and_saveexec_b64 s[2:3], vcc
	s_cbranch_execz .LBB35_38
; %bb.1:
	s_load_dword s6, s[0:1], 0x0
	s_load_dword s24, s[4:5], 0x338
	s_add_u32 s33, s4, 0x1a0
	s_addc_u32 s62, s5, 0
	s_load_dwordx2 s[2:3], s[4:5], 0x1a0
	s_waitcnt lgkmcnt(0)
	s_mul_i32 s30, s6, s7
	s_ashr_i32 s25, s24, 31
	s_lshl_b64 s[0:1], s[24:25], 3
	s_add_u32 s20, s33, s0
	s_addc_u32 s21, s62, s1
	s_add_u32 s22, s20, -8
	s_addc_u32 s23, s21, -1
	s_add_u32 s0, s4, s0
	v_cmp_gt_i64_e64 s[6:7], s[24:25], 2
	s_addc_u32 s1, s5, s1
	s_add_i32 s24, s24, -3
	s_ashr_i32 s25, s24, 31
	s_lshl_b32 s63, s30, 1
	s_bitcmp0_b32 s24, 0
	s_load_dwordx4 s[12:15], s[22:23], 0x0
	s_load_dwordx4 s[16:19], s[20:21], 0xc0
	s_cselect_b64 s[30:31], -1, 0
	s_load_dwordx4 s[20:23], s[0:1], 0xc0
	s_lshl_b64 s[0:1], s[24:25], 3
	s_add_u32 s34, s33, s0
	s_addc_u32 s35, s62, s1
	s_add_u32 s36, s4, s0
	s_addc_u32 s37, s5, s1
	s_load_dwordx2 s[26:27], s[4:5], 0x350
	s_load_dwordx2 s[28:29], s[4:5], 0x0
	s_add_u32 s38, s24, -1
	s_addc_u32 s39, s25, -1
	s_cmp_lg_u32 s24, 0
	s_cselect_b64 s[40:41], -1, 0
	s_add_u32 s64, s4, 0xc8
	s_addc_u32 s65, s5, 0
	s_mov_b64 s[4:5], 0
	s_branch .LBB35_3
.LBB35_2:                               ;   in Loop: Header=BB35_3 Depth=1
	s_or_b64 exec, exec, s[0:1]
	v_add_co_u32_e32 v0, vcc, s63, v0
	v_addc_co_u32_e32 v1, vcc, 0, v1, vcc
	v_cmp_le_i64_e32 vcc, s[10:11], v[0:1]
	s_or_b64 s[4:5], vcc, s[4:5]
	s_andn2_b64 exec, exec, s[4:5]
	s_cbranch_execz .LBB35_38
.LBB35_3:                               ; =>This Loop Header: Depth=1
                                        ;     Child Loop BB35_21 Depth 2
	s_waitcnt lgkmcnt(0)
	v_or_b32_e32 v3, s27, v1
	v_cmp_ne_u64_e32 vcc, 0, v[2:3]
                                        ; implicit-def: $vgpr6_vgpr7
	s_and_saveexec_b64 s[0:1], vcc
	s_xor_b64 s[42:43], exec, s[0:1]
	s_cbranch_execz .LBB35_5
; %bb.4:                                ;   in Loop: Header=BB35_3 Depth=1
	s_ashr_i32 s44, s27, 31
	s_add_u32 s0, s26, s44
	s_mov_b32 s45, s44
	s_addc_u32 s1, s27, s44
	s_xor_b64 s[46:47], s[0:1], s[44:45]
	v_cvt_f32_u32_e32 v3, s46
	v_cvt_f32_u32_e32 v4, s47
	s_sub_u32 s45, 0, s46
	s_subb_u32 s48, 0, s47
	v_ashrrev_i32_e32 v7, 31, v1
	v_mac_f32_e32 v3, 0x4f800000, v4
	v_rcp_f32_e32 v3, v3
	v_mul_f32_e32 v3, 0x5f7ffffc, v3
	v_mul_f32_e32 v4, 0x2f800000, v3
	v_trunc_f32_e32 v4, v4
	v_mac_f32_e32 v3, 0xcf800000, v4
	v_cvt_u32_f32_e32 v4, v4
	v_cvt_u32_f32_e32 v3, v3
	v_readfirstlane_b32 s49, v4
	v_readfirstlane_b32 s0, v3
	s_mul_i32 s1, s45, s49
	s_mul_hi_u32 s51, s45, s0
	s_mul_i32 s50, s48, s0
	s_add_i32 s1, s51, s1
	s_add_i32 s1, s1, s50
	s_mul_i32 s52, s45, s0
	s_mul_i32 s51, s0, s1
	s_mul_hi_u32 s53, s0, s52
	s_mul_hi_u32 s50, s0, s1
	s_add_u32 s51, s53, s51
	s_addc_u32 s50, 0, s50
	s_mul_hi_u32 s54, s49, s52
	s_mul_i32 s52, s49, s52
	s_add_u32 s51, s51, s52
	s_mul_hi_u32 s53, s49, s1
	s_addc_u32 s50, s50, s54
	s_addc_u32 s51, s53, 0
	s_mul_i32 s1, s49, s1
	s_add_u32 s1, s50, s1
	s_addc_u32 s50, 0, s51
	s_add_u32 s51, s0, s1
	s_cselect_b64 s[0:1], -1, 0
	s_cmp_lg_u64 s[0:1], 0
	s_addc_u32 s49, s49, s50
	s_mul_i32 s0, s45, s49
	s_mul_hi_u32 s1, s45, s51
	s_add_i32 s0, s1, s0
	s_mul_i32 s48, s48, s51
	s_add_i32 s0, s0, s48
	s_mul_i32 s45, s45, s51
	s_mul_hi_u32 s48, s49, s45
	s_mul_i32 s50, s49, s45
	s_mul_i32 s53, s51, s0
	s_mul_hi_u32 s45, s51, s45
	s_mul_hi_u32 s52, s51, s0
	s_add_u32 s45, s45, s53
	s_addc_u32 s52, 0, s52
	s_add_u32 s45, s45, s50
	s_mul_hi_u32 s1, s49, s0
	s_addc_u32 s45, s52, s48
	s_addc_u32 s1, s1, 0
	s_mul_i32 s0, s49, s0
	s_add_u32 s0, s45, s0
	s_addc_u32 s45, 0, s1
	s_add_u32 s48, s51, s0
	s_cselect_b64 s[0:1], -1, 0
	s_cmp_lg_u64 s[0:1], 0
	v_add_co_u32_e32 v3, vcc, v0, v7
	s_addc_u32 s45, s49, s45
	v_xor_b32_e32 v8, v3, v7
	v_mad_u64_u32 v[3:4], s[0:1], v8, s45, 0
	v_mul_hi_u32 v6, v8, s48
	v_addc_co_u32_e32 v5, vcc, v1, v7, vcc
	v_xor_b32_e32 v9, v5, v7
	v_add_co_u32_e32 v10, vcc, v6, v3
	v_addc_co_u32_e32 v11, vcc, 0, v4, vcc
	v_mad_u64_u32 v[3:4], s[0:1], v9, s48, 0
	v_mad_u64_u32 v[5:6], s[0:1], v9, s45, 0
	v_add_co_u32_e32 v3, vcc, v10, v3
	v_addc_co_u32_e32 v3, vcc, v11, v4, vcc
	v_addc_co_u32_e32 v4, vcc, 0, v6, vcc
	v_add_co_u32_e32 v5, vcc, v3, v5
	v_addc_co_u32_e32 v6, vcc, 0, v4, vcc
	v_mul_lo_u32 v10, s47, v5
	v_mul_lo_u32 v11, s46, v6
	v_mad_u64_u32 v[3:4], s[0:1], s46, v5, 0
	v_add3_u32 v4, v4, v11, v10
	v_sub_u32_e32 v10, v9, v4
	v_mov_b32_e32 v11, s47
	v_sub_co_u32_e32 v3, vcc, v8, v3
	v_subb_co_u32_e64 v8, s[0:1], v10, v11, vcc
	v_subrev_co_u32_e64 v10, s[0:1], s46, v3
	v_subbrev_co_u32_e64 v8, s[0:1], 0, v8, s[0:1]
	v_cmp_le_u32_e64 s[0:1], s47, v8
	v_cndmask_b32_e64 v11, 0, -1, s[0:1]
	v_cmp_le_u32_e64 s[0:1], s46, v10
	v_cndmask_b32_e64 v10, 0, -1, s[0:1]
	v_cmp_eq_u32_e64 s[0:1], s47, v8
	v_cndmask_b32_e64 v8, v11, v10, s[0:1]
	v_add_co_u32_e64 v10, s[0:1], 2, v5
	v_subb_co_u32_e32 v4, vcc, v9, v4, vcc
	v_addc_co_u32_e64 v11, s[0:1], 0, v6, s[0:1]
	v_cmp_le_u32_e32 vcc, s47, v4
	v_add_co_u32_e64 v12, s[0:1], 1, v5
	v_cndmask_b32_e64 v9, 0, -1, vcc
	v_cmp_le_u32_e32 vcc, s46, v3
	v_addc_co_u32_e64 v13, s[0:1], 0, v6, s[0:1]
	v_cndmask_b32_e64 v3, 0, -1, vcc
	v_cmp_eq_u32_e32 vcc, s47, v4
	v_cmp_ne_u32_e64 s[0:1], 0, v8
	v_cndmask_b32_e32 v3, v9, v3, vcc
	v_cmp_ne_u32_e32 vcc, 0, v3
	v_cndmask_b32_e64 v4, v12, v10, s[0:1]
	v_cndmask_b32_e64 v8, v13, v11, s[0:1]
	v_cndmask_b32_e32 v4, v5, v4, vcc
	v_xor_b32_e32 v5, s44, v7
	v_cndmask_b32_e32 v3, v6, v8, vcc
	v_xor_b32_e32 v4, v4, v5
	v_xor_b32_e32 v3, v3, v5
	v_sub_co_u32_e32 v6, vcc, v4, v5
	v_subb_co_u32_e32 v7, vcc, v3, v5, vcc
.LBB35_5:                               ;   in Loop: Header=BB35_3 Depth=1
	s_andn2_saveexec_b64 s[0:1], s[42:43]
	s_cbranch_execz .LBB35_7
; %bb.6:                                ;   in Loop: Header=BB35_3 Depth=1
	v_cvt_f32_u32_e32 v3, s26
	s_sub_i32 s42, 0, s26
	v_mov_b32_e32 v7, v2
	v_rcp_iflag_f32_e32 v3, v3
	v_mul_f32_e32 v3, 0x4f7ffffe, v3
	v_cvt_u32_f32_e32 v3, v3
	v_mul_lo_u32 v4, s42, v3
	v_mul_hi_u32 v4, v3, v4
	v_add_u32_e32 v3, v3, v4
	v_mul_hi_u32 v3, v0, v3
	v_mul_lo_u32 v4, v3, s26
	v_add_u32_e32 v5, 1, v3
	v_sub_u32_e32 v4, v0, v4
	v_subrev_u32_e32 v6, s26, v4
	v_cmp_le_u32_e32 vcc, s26, v4
	v_cndmask_b32_e32 v4, v4, v6, vcc
	v_cndmask_b32_e32 v3, v3, v5, vcc
	v_add_u32_e32 v5, 1, v3
	v_cmp_le_u32_e32 vcc, s26, v4
	v_cndmask_b32_e32 v6, v3, v5, vcc
.LBB35_7:                               ;   in Loop: Header=BB35_3 Depth=1
	s_or_b64 exec, exec, s[0:1]
	v_or_b32_e32 v3, s13, v7
	v_cmp_ne_u64_e32 vcc, 0, v[2:3]
                                        ; implicit-def: $vgpr10_vgpr11
	s_and_saveexec_b64 s[0:1], vcc
	s_xor_b64 s[42:43], exec, s[0:1]
	s_cbranch_execz .LBB35_9
; %bb.8:                                ;   in Loop: Header=BB35_3 Depth=1
	s_ashr_i32 s44, s13, 31
	s_add_u32 s0, s12, s44
	s_mov_b32 s45, s44
	s_addc_u32 s1, s13, s44
	s_xor_b64 s[46:47], s[0:1], s[44:45]
	v_cvt_f32_u32_e32 v3, s46
	v_cvt_f32_u32_e32 v4, s47
	s_sub_u32 s45, 0, s46
	s_subb_u32 s48, 0, s47
	v_ashrrev_i32_e32 v5, 31, v7
	v_mac_f32_e32 v3, 0x4f800000, v4
	v_rcp_f32_e32 v3, v3
	v_mul_f32_e32 v3, 0x5f7ffffc, v3
	v_mul_f32_e32 v4, 0x2f800000, v3
	v_trunc_f32_e32 v4, v4
	v_mac_f32_e32 v3, 0xcf800000, v4
	v_cvt_u32_f32_e32 v4, v4
	v_cvt_u32_f32_e32 v3, v3
	v_readfirstlane_b32 s49, v4
	v_readfirstlane_b32 s0, v3
	s_mul_i32 s1, s45, s49
	s_mul_hi_u32 s51, s45, s0
	s_mul_i32 s50, s48, s0
	s_add_i32 s1, s51, s1
	s_add_i32 s1, s1, s50
	s_mul_i32 s52, s45, s0
	s_mul_i32 s51, s0, s1
	s_mul_hi_u32 s53, s0, s52
	s_mul_hi_u32 s50, s0, s1
	s_add_u32 s51, s53, s51
	s_addc_u32 s50, 0, s50
	s_mul_hi_u32 s54, s49, s52
	s_mul_i32 s52, s49, s52
	s_add_u32 s51, s51, s52
	s_mul_hi_u32 s53, s49, s1
	s_addc_u32 s50, s50, s54
	s_addc_u32 s51, s53, 0
	s_mul_i32 s1, s49, s1
	s_add_u32 s1, s50, s1
	s_addc_u32 s50, 0, s51
	s_add_u32 s51, s0, s1
	s_cselect_b64 s[0:1], -1, 0
	s_cmp_lg_u64 s[0:1], 0
	s_addc_u32 s49, s49, s50
	s_mul_i32 s0, s45, s49
	s_mul_hi_u32 s1, s45, s51
	s_add_i32 s0, s1, s0
	s_mul_i32 s48, s48, s51
	s_add_i32 s0, s0, s48
	s_mul_i32 s45, s45, s51
	s_mul_hi_u32 s48, s49, s45
	s_mul_i32 s50, s49, s45
	s_mul_i32 s53, s51, s0
	s_mul_hi_u32 s45, s51, s45
	s_mul_hi_u32 s52, s51, s0
	s_add_u32 s45, s45, s53
	s_addc_u32 s52, 0, s52
	s_add_u32 s45, s45, s50
	s_mul_hi_u32 s1, s49, s0
	s_addc_u32 s45, s52, s48
	s_addc_u32 s1, s1, 0
	s_mul_i32 s0, s49, s0
	s_add_u32 s0, s45, s0
	s_addc_u32 s45, 0, s1
	s_add_u32 s48, s51, s0
	s_cselect_b64 s[0:1], -1, 0
	s_cmp_lg_u64 s[0:1], 0
	v_add_co_u32_e32 v3, vcc, v6, v5
	s_addc_u32 s45, s49, s45
	v_xor_b32_e32 v10, v3, v5
	v_mad_u64_u32 v[3:4], s[0:1], v10, s45, 0
	v_mul_hi_u32 v9, v10, s48
	v_addc_co_u32_e32 v8, vcc, v7, v5, vcc
	v_xor_b32_e32 v11, v8, v5
	v_add_co_u32_e32 v12, vcc, v9, v3
	v_addc_co_u32_e32 v13, vcc, 0, v4, vcc
	v_mad_u64_u32 v[3:4], s[0:1], v11, s48, 0
	v_mad_u64_u32 v[8:9], s[0:1], v11, s45, 0
	v_add_co_u32_e32 v3, vcc, v12, v3
	v_addc_co_u32_e32 v3, vcc, v13, v4, vcc
	v_addc_co_u32_e32 v4, vcc, 0, v9, vcc
	v_add_co_u32_e32 v8, vcc, v3, v8
	v_addc_co_u32_e32 v9, vcc, 0, v4, vcc
	v_mul_lo_u32 v12, s47, v8
	v_mul_lo_u32 v13, s46, v9
	v_mad_u64_u32 v[3:4], s[0:1], s46, v8, 0
	v_xor_b32_e32 v5, s44, v5
	v_add3_u32 v4, v4, v13, v12
	v_sub_u32_e32 v12, v11, v4
	v_mov_b32_e32 v13, s47
	v_sub_co_u32_e32 v3, vcc, v10, v3
	v_subb_co_u32_e64 v10, s[0:1], v12, v13, vcc
	v_subrev_co_u32_e64 v12, s[0:1], s46, v3
	v_subbrev_co_u32_e64 v10, s[0:1], 0, v10, s[0:1]
	v_cmp_le_u32_e64 s[0:1], s47, v10
	v_cndmask_b32_e64 v13, 0, -1, s[0:1]
	v_cmp_le_u32_e64 s[0:1], s46, v12
	v_cndmask_b32_e64 v12, 0, -1, s[0:1]
	v_cmp_eq_u32_e64 s[0:1], s47, v10
	v_cndmask_b32_e64 v10, v13, v12, s[0:1]
	v_add_co_u32_e64 v12, s[0:1], 2, v8
	v_subb_co_u32_e32 v4, vcc, v11, v4, vcc
	v_addc_co_u32_e64 v13, s[0:1], 0, v9, s[0:1]
	v_cmp_le_u32_e32 vcc, s47, v4
	v_add_co_u32_e64 v14, s[0:1], 1, v8
	v_cndmask_b32_e64 v11, 0, -1, vcc
	v_cmp_le_u32_e32 vcc, s46, v3
	v_addc_co_u32_e64 v15, s[0:1], 0, v9, s[0:1]
	v_cndmask_b32_e64 v3, 0, -1, vcc
	v_cmp_eq_u32_e32 vcc, s47, v4
	v_cmp_ne_u32_e64 s[0:1], 0, v10
	v_cndmask_b32_e32 v3, v11, v3, vcc
	v_cmp_ne_u32_e32 vcc, 0, v3
	v_cndmask_b32_e64 v4, v14, v12, s[0:1]
	v_cndmask_b32_e64 v10, v15, v13, s[0:1]
	v_cndmask_b32_e32 v4, v8, v4, vcc
	v_cndmask_b32_e32 v3, v9, v10, vcc
	v_xor_b32_e32 v4, v4, v5
	v_xor_b32_e32 v3, v3, v5
	v_sub_co_u32_e32 v10, vcc, v4, v5
	v_subb_co_u32_e32 v11, vcc, v3, v5, vcc
.LBB35_9:                               ;   in Loop: Header=BB35_3 Depth=1
	s_andn2_saveexec_b64 s[0:1], s[42:43]
	s_cbranch_execz .LBB35_11
; %bb.10:                               ;   in Loop: Header=BB35_3 Depth=1
	v_cvt_f32_u32_e32 v3, s12
	s_sub_i32 s42, 0, s12
	v_mov_b32_e32 v11, v2
	v_rcp_iflag_f32_e32 v3, v3
	v_mul_f32_e32 v3, 0x4f7ffffe, v3
	v_cvt_u32_f32_e32 v3, v3
	v_mul_lo_u32 v4, s42, v3
	v_mul_hi_u32 v4, v3, v4
	v_add_u32_e32 v3, v3, v4
	v_mul_hi_u32 v3, v6, v3
	v_mul_lo_u32 v4, v3, s12
	v_add_u32_e32 v5, 1, v3
	v_sub_u32_e32 v4, v6, v4
	v_subrev_u32_e32 v8, s12, v4
	v_cmp_le_u32_e32 vcc, s12, v4
	v_cndmask_b32_e32 v4, v4, v8, vcc
	v_cndmask_b32_e32 v3, v3, v5, vcc
	v_add_u32_e32 v5, 1, v3
	v_cmp_le_u32_e32 vcc, s12, v4
	v_cndmask_b32_e32 v10, v3, v5, vcc
.LBB35_11:                              ;   in Loop: Header=BB35_3 Depth=1
	s_or_b64 exec, exec, s[0:1]
	v_mul_lo_u32 v5, v7, s26
	v_mul_lo_u32 v8, v6, s27
	v_mad_u64_u32 v[3:4], s[0:1], v6, s26, 0
	v_mul_lo_u32 v12, v11, s12
	v_mul_lo_u32 v13, v10, s13
	v_add3_u32 v5, v4, v8, v5
	v_mad_u64_u32 v[8:9], s[0:1], v10, s12, 0
	v_sub_co_u32_e32 v4, vcc, v0, v3
	v_subb_co_u32_e32 v5, vcc, v1, v5, vcc
	v_add3_u32 v3, v9, v13, v12
	v_mul_lo_u32 v9, s19, v4
	v_mul_lo_u32 v14, s18, v5
	v_mad_u64_u32 v[12:13], s[0:1], s18, v4, 0
	v_sub_co_u32_e32 v16, vcc, v6, v8
	v_subb_co_u32_e32 v17, vcc, v7, v3, vcc
	v_add3_u32 v13, v13, v14, v9
	v_mul_lo_u32 v3, s23, v4
	v_mul_lo_u32 v14, s22, v5
	v_mad_u64_u32 v[6:7], s[0:1], s22, v4, 0
	v_mad_u64_u32 v[8:9], s[0:1], s16, v16, v[12:13]
	v_mul_lo_u32 v12, s16, v17
	v_mul_lo_u32 v13, s17, v16
	v_add3_u32 v7, v7, v14, v3
	v_mad_u64_u32 v[6:7], s[0:1], s20, v16, v[6:7]
	v_add3_u32 v9, v13, v9, v12
	v_mul_lo_u32 v3, s20, v17
	v_mul_lo_u32 v12, s21, v16
	s_andn2_b64 vcc, exec, s[6:7]
	v_add3_u32 v7, v12, v7, v3
	s_cbranch_vccnz .LBB35_29
; %bb.12:                               ;   in Loop: Header=BB35_3 Depth=1
	s_andn2_b64 vcc, exec, s[30:31]
	s_cbranch_vccnz .LBB35_18
; %bb.13:                               ;   in Loop: Header=BB35_3 Depth=1
	s_load_dwordx2 s[42:43], s[34:35], 0x8
                                        ; implicit-def: $vgpr12_vgpr13
	s_waitcnt lgkmcnt(0)
	v_or_b32_e32 v3, s43, v11
	v_cmp_ne_u64_e32 vcc, 0, v[2:3]
	s_and_saveexec_b64 s[0:1], vcc
	s_xor_b64 s[44:45], exec, s[0:1]
	s_cbranch_execz .LBB35_15
; %bb.14:                               ;   in Loop: Header=BB35_3 Depth=1
	s_ashr_i32 s46, s43, 31
	s_add_u32 s0, s42, s46
	s_mov_b32 s47, s46
	s_addc_u32 s1, s43, s46
	s_xor_b64 s[48:49], s[0:1], s[46:47]
	v_cvt_f32_u32_e32 v3, s48
	v_cvt_f32_u32_e32 v12, s49
	s_sub_u32 s47, 0, s48
	s_subb_u32 s50, 0, s49
	v_mac_f32_e32 v3, 0x4f800000, v12
	v_rcp_f32_e32 v3, v3
	v_mul_f32_e32 v3, 0x5f7ffffc, v3
	v_mul_f32_e32 v12, 0x2f800000, v3
	v_trunc_f32_e32 v12, v12
	v_mac_f32_e32 v3, 0xcf800000, v12
	v_cvt_u32_f32_e32 v12, v12
	v_cvt_u32_f32_e32 v3, v3
	v_readfirstlane_b32 s51, v12
	v_readfirstlane_b32 s0, v3
	s_mul_i32 s1, s47, s51
	s_mul_hi_u32 s53, s47, s0
	s_mul_i32 s52, s50, s0
	s_add_i32 s1, s53, s1
	s_add_i32 s1, s1, s52
	s_mul_i32 s54, s47, s0
	s_mul_i32 s53, s0, s1
	s_mul_hi_u32 s55, s0, s54
	s_mul_hi_u32 s52, s0, s1
	s_add_u32 s53, s55, s53
	s_addc_u32 s52, 0, s52
	s_mul_hi_u32 s56, s51, s54
	s_mul_i32 s54, s51, s54
	s_add_u32 s53, s53, s54
	s_mul_hi_u32 s55, s51, s1
	s_addc_u32 s52, s52, s56
	s_addc_u32 s53, s55, 0
	s_mul_i32 s1, s51, s1
	s_add_u32 s1, s52, s1
	s_addc_u32 s52, 0, s53
	s_add_u32 s53, s0, s1
	s_cselect_b64 s[0:1], -1, 0
	s_cmp_lg_u64 s[0:1], 0
	s_addc_u32 s51, s51, s52
	s_mul_i32 s0, s47, s51
	s_mul_hi_u32 s1, s47, s53
	s_add_i32 s0, s1, s0
	s_mul_i32 s50, s50, s53
	s_add_i32 s0, s0, s50
	s_mul_i32 s47, s47, s53
	s_mul_hi_u32 s50, s51, s47
	s_mul_i32 s52, s51, s47
	s_mul_i32 s55, s53, s0
	s_mul_hi_u32 s47, s53, s47
	s_mul_hi_u32 s54, s53, s0
	s_add_u32 s47, s47, s55
	s_addc_u32 s54, 0, s54
	s_add_u32 s47, s47, s52
	s_mul_hi_u32 s1, s51, s0
	s_addc_u32 s47, s54, s50
	s_addc_u32 s1, s1, 0
	s_mul_i32 s0, s51, s0
	s_add_u32 s0, s47, s0
	s_addc_u32 s47, 0, s1
	s_add_u32 s50, s53, s0
	s_cselect_b64 s[0:1], -1, 0
	v_ashrrev_i32_e32 v3, 31, v11
	s_cmp_lg_u64 s[0:1], 0
	v_add_co_u32_e32 v12, vcc, v10, v3
	s_addc_u32 s47, s51, s47
	v_xor_b32_e32 v18, v12, v3
	v_mad_u64_u32 v[12:13], s[0:1], v18, s47, 0
	v_mul_hi_u32 v15, v18, s50
	v_addc_co_u32_e32 v14, vcc, v11, v3, vcc
	v_xor_b32_e32 v19, v14, v3
	v_add_co_u32_e32 v20, vcc, v15, v12
	v_addc_co_u32_e32 v21, vcc, 0, v13, vcc
	v_mad_u64_u32 v[12:13], s[0:1], v19, s50, 0
	v_mad_u64_u32 v[14:15], s[0:1], v19, s47, 0
	v_add_co_u32_e32 v12, vcc, v20, v12
	v_addc_co_u32_e32 v12, vcc, v21, v13, vcc
	v_addc_co_u32_e32 v13, vcc, 0, v15, vcc
	v_add_co_u32_e32 v14, vcc, v12, v14
	v_addc_co_u32_e32 v15, vcc, 0, v13, vcc
	v_mul_lo_u32 v20, s49, v14
	v_mul_lo_u32 v21, s48, v15
	v_mad_u64_u32 v[12:13], s[0:1], s48, v14, 0
	v_xor_b32_e32 v3, s46, v3
	v_add3_u32 v13, v13, v21, v20
	v_sub_u32_e32 v20, v19, v13
	v_mov_b32_e32 v21, s49
	v_sub_co_u32_e32 v12, vcc, v18, v12
	v_subb_co_u32_e64 v18, s[0:1], v20, v21, vcc
	v_subrev_co_u32_e64 v20, s[0:1], s48, v12
	v_subbrev_co_u32_e64 v18, s[0:1], 0, v18, s[0:1]
	v_cmp_le_u32_e64 s[0:1], s49, v18
	v_cndmask_b32_e64 v21, 0, -1, s[0:1]
	v_cmp_le_u32_e64 s[0:1], s48, v20
	v_cndmask_b32_e64 v20, 0, -1, s[0:1]
	v_cmp_eq_u32_e64 s[0:1], s49, v18
	v_cndmask_b32_e64 v18, v21, v20, s[0:1]
	v_add_co_u32_e64 v20, s[0:1], 2, v14
	v_subb_co_u32_e32 v13, vcc, v19, v13, vcc
	v_addc_co_u32_e64 v21, s[0:1], 0, v15, s[0:1]
	v_cmp_le_u32_e32 vcc, s49, v13
	v_add_co_u32_e64 v22, s[0:1], 1, v14
	v_cndmask_b32_e64 v19, 0, -1, vcc
	v_cmp_le_u32_e32 vcc, s48, v12
	v_addc_co_u32_e64 v23, s[0:1], 0, v15, s[0:1]
	v_cndmask_b32_e64 v12, 0, -1, vcc
	v_cmp_eq_u32_e32 vcc, s49, v13
	v_cmp_ne_u32_e64 s[0:1], 0, v18
	v_cndmask_b32_e32 v12, v19, v12, vcc
	v_cndmask_b32_e64 v18, v23, v21, s[0:1]
	v_cmp_ne_u32_e32 vcc, 0, v12
	v_cndmask_b32_e64 v13, v22, v20, s[0:1]
	v_cndmask_b32_e32 v12, v15, v18, vcc
	v_cndmask_b32_e32 v13, v14, v13, vcc
	v_xor_b32_e32 v14, v12, v3
	v_xor_b32_e32 v12, v13, v3
	v_sub_co_u32_e32 v12, vcc, v12, v3
	v_subb_co_u32_e32 v13, vcc, v14, v3, vcc
.LBB35_15:                              ;   in Loop: Header=BB35_3 Depth=1
	s_andn2_saveexec_b64 s[0:1], s[44:45]
	s_cbranch_execz .LBB35_17
; %bb.16:                               ;   in Loop: Header=BB35_3 Depth=1
	v_cvt_f32_u32_e32 v3, s42
	s_sub_i32 s44, 0, s42
	v_rcp_iflag_f32_e32 v3, v3
	v_mul_f32_e32 v3, 0x4f7ffffe, v3
	v_cvt_u32_f32_e32 v3, v3
	v_mul_lo_u32 v12, s44, v3
	v_mul_hi_u32 v12, v3, v12
	v_add_u32_e32 v3, v3, v12
	v_mul_hi_u32 v3, v10, v3
	v_mul_lo_u32 v12, v3, s42
	v_add_u32_e32 v13, 1, v3
	v_sub_u32_e32 v12, v10, v12
	v_subrev_u32_e32 v14, s42, v12
	v_cmp_le_u32_e32 vcc, s42, v12
	v_cndmask_b32_e32 v12, v12, v14, vcc
	v_cndmask_b32_e32 v3, v3, v13, vcc
	v_add_u32_e32 v13, 1, v3
	v_cmp_le_u32_e32 vcc, s42, v12
	v_cndmask_b32_e32 v12, v3, v13, vcc
	v_mov_b32_e32 v13, v2
.LBB35_17:                              ;   in Loop: Header=BB35_3 Depth=1
	s_or_b64 exec, exec, s[0:1]
	v_mul_lo_u32 v3, v13, s42
	v_mul_lo_u32 v18, v12, s43
	v_mad_u64_u32 v[14:15], s[0:1], v12, s42, 0
	s_load_dwordx2 s[0:1], s[34:35], 0xd0
	s_load_dwordx2 s[42:43], s[36:37], 0xd0
	v_add3_u32 v3, v15, v18, v3
	v_sub_co_u32_e32 v10, vcc, v10, v14
	v_subb_co_u32_e32 v3, vcc, v11, v3, vcc
	s_waitcnt lgkmcnt(0)
	v_mul_lo_u32 v11, s0, v3
	v_mul_lo_u32 v14, s1, v10
	v_mad_u64_u32 v[8:9], s[0:1], s0, v10, v[8:9]
	v_mul_lo_u32 v3, s42, v3
	v_mul_lo_u32 v15, s43, v10
	v_mad_u64_u32 v[6:7], s[0:1], s42, v10, v[6:7]
	v_add3_u32 v9, v14, v9, v11
	v_mov_b32_e32 v10, v12
	v_add3_u32 v7, v15, v7, v3
	v_mov_b32_e32 v11, v13
	s_mov_b64 s[0:1], s[38:39]
	s_andn2_b64 vcc, exec, s[40:41]
	s_cbranch_vccz .LBB35_19
	s_branch .LBB35_29
.LBB35_18:                              ;   in Loop: Header=BB35_3 Depth=1
	s_mov_b64 s[0:1], s[24:25]
	s_andn2_b64 vcc, exec, s[40:41]
	s_cbranch_vccnz .LBB35_29
.LBB35_19:                              ;   in Loop: Header=BB35_3 Depth=1
	s_lshl_b64 s[44:45], s[0:1], 3
	s_add_u32 s42, s64, s44
	s_addc_u32 s43, s65, s45
	s_add_u32 s44, s33, s44
	s_addc_u32 s45, s62, s45
	;; [unrolled: 2-line block ×3, first 2 shown]
	s_branch .LBB35_21
.LBB35_20:                              ;   in Loop: Header=BB35_21 Depth=2
	s_or_b64 exec, exec, s[0:1]
	v_mul_lo_u32 v3, v13, s48
	v_mul_lo_u32 v20, v12, s49
	v_mad_u64_u32 v[18:19], s[0:1], v12, s48, 0
	v_mul_lo_u32 v21, v15, s50
	v_mul_lo_u32 v22, v14, s51
	v_add3_u32 v3, v19, v20, v3
	v_sub_co_u32_e32 v10, vcc, v10, v18
	v_subb_co_u32_e32 v3, vcc, v11, v3, vcc
	v_mul_lo_u32 v18, s54, v3
	v_mul_lo_u32 v19, s55, v10
	v_mad_u64_u32 v[8:9], s[0:1], s54, v10, v[8:9]
	v_mul_lo_u32 v3, s52, v3
	v_mul_lo_u32 v20, s53, v10
	v_mad_u64_u32 v[6:7], s[0:1], s52, v10, v[6:7]
	v_mad_u64_u32 v[10:11], s[0:1], v14, s50, 0
	s_load_dwordx2 s[0:1], s[44:45], 0xc8
	s_load_dwordx2 s[48:49], s[42:43], 0x0
	v_add3_u32 v7, v20, v7, v3
	v_add3_u32 v3, v11, v22, v21
	v_sub_co_u32_e32 v10, vcc, v12, v10
	v_add3_u32 v9, v19, v9, v18
	v_subb_co_u32_e32 v3, vcc, v13, v3, vcc
	s_add_u32 s42, s42, -16
	s_waitcnt lgkmcnt(0)
	v_mad_u64_u32 v[8:9], s[50:51], s0, v10, v[8:9]
	v_mul_lo_u32 v11, s0, v3
	v_mul_lo_u32 v12, s1, v10
	v_mad_u64_u32 v[6:7], s[0:1], s48, v10, v[6:7]
	v_mul_lo_u32 v3, s48, v3
	v_mul_lo_u32 v10, s49, v10
	s_addc_u32 s43, s43, -1
	s_add_u32 s44, s44, -16
	s_addc_u32 s45, s45, -1
	s_add_u32 s46, s46, -2
	v_add3_u32 v9, v12, v9, v11
	v_add3_u32 v7, v10, v7, v3
	s_addc_u32 s47, s47, -1
	v_mov_b32_e32 v10, v14
	s_cmp_eq_u64 s[46:47], 0
	v_mov_b32_e32 v11, v15
	s_cbranch_scc1 .LBB35_29
.LBB35_21:                              ;   Parent Loop BB35_3 Depth=1
                                        ; =>  This Inner Loop Header: Depth=2
	s_load_dwordx2 s[48:49], s[44:45], 0x8
                                        ; implicit-def: $vgpr12_vgpr13
	s_waitcnt lgkmcnt(0)
	v_or_b32_e32 v3, s49, v11
	v_cmp_ne_u64_e32 vcc, 0, v[2:3]
	s_and_saveexec_b64 s[0:1], vcc
	s_xor_b64 s[50:51], exec, s[0:1]
	s_cbranch_execz .LBB35_23
; %bb.22:                               ;   in Loop: Header=BB35_21 Depth=2
	s_ashr_i32 s52, s49, 31
	s_add_u32 s0, s48, s52
	s_mov_b32 s53, s52
	s_addc_u32 s1, s49, s52
	s_xor_b64 s[54:55], s[0:1], s[52:53]
	v_cvt_f32_u32_e32 v3, s54
	v_cvt_f32_u32_e32 v12, s55
	s_sub_u32 s53, 0, s54
	s_subb_u32 s56, 0, s55
	v_mac_f32_e32 v3, 0x4f800000, v12
	v_rcp_f32_e32 v3, v3
	v_mul_f32_e32 v3, 0x5f7ffffc, v3
	v_mul_f32_e32 v12, 0x2f800000, v3
	v_trunc_f32_e32 v12, v12
	v_mac_f32_e32 v3, 0xcf800000, v12
	v_cvt_u32_f32_e32 v12, v12
	v_cvt_u32_f32_e32 v3, v3
	v_readfirstlane_b32 s57, v12
	v_readfirstlane_b32 s0, v3
	s_mul_i32 s1, s53, s57
	s_mul_hi_u32 s59, s53, s0
	s_mul_i32 s58, s56, s0
	s_add_i32 s1, s59, s1
	s_add_i32 s1, s1, s58
	s_mul_i32 s60, s53, s0
	s_mul_i32 s59, s0, s1
	s_mul_hi_u32 s61, s0, s60
	s_mul_hi_u32 s58, s0, s1
	s_add_u32 s59, s61, s59
	s_addc_u32 s58, 0, s58
	s_mul_hi_u32 s66, s57, s60
	s_mul_i32 s60, s57, s60
	s_add_u32 s59, s59, s60
	s_mul_hi_u32 s61, s57, s1
	s_addc_u32 s58, s58, s66
	s_addc_u32 s59, s61, 0
	s_mul_i32 s1, s57, s1
	s_add_u32 s1, s58, s1
	s_addc_u32 s58, 0, s59
	s_add_u32 s59, s0, s1
	s_cselect_b64 s[0:1], -1, 0
	s_cmp_lg_u64 s[0:1], 0
	s_addc_u32 s57, s57, s58
	s_mul_i32 s0, s53, s57
	s_mul_hi_u32 s1, s53, s59
	s_add_i32 s0, s1, s0
	s_mul_i32 s56, s56, s59
	s_add_i32 s0, s0, s56
	s_mul_i32 s53, s53, s59
	s_mul_hi_u32 s56, s57, s53
	s_mul_i32 s58, s57, s53
	s_mul_i32 s61, s59, s0
	s_mul_hi_u32 s53, s59, s53
	s_mul_hi_u32 s60, s59, s0
	s_add_u32 s53, s53, s61
	s_addc_u32 s60, 0, s60
	s_add_u32 s53, s53, s58
	s_mul_hi_u32 s1, s57, s0
	s_addc_u32 s53, s60, s56
	s_addc_u32 s1, s1, 0
	s_mul_i32 s0, s57, s0
	s_add_u32 s0, s53, s0
	s_addc_u32 s53, 0, s1
	s_add_u32 s56, s59, s0
	s_cselect_b64 s[0:1], -1, 0
	v_ashrrev_i32_e32 v3, 31, v11
	s_cmp_lg_u64 s[0:1], 0
	v_add_co_u32_e32 v12, vcc, v10, v3
	s_addc_u32 s53, s57, s53
	v_xor_b32_e32 v18, v12, v3
	v_mad_u64_u32 v[12:13], s[0:1], v18, s53, 0
	v_mul_hi_u32 v15, v18, s56
	v_addc_co_u32_e32 v14, vcc, v11, v3, vcc
	v_xor_b32_e32 v19, v14, v3
	v_add_co_u32_e32 v20, vcc, v15, v12
	v_addc_co_u32_e32 v21, vcc, 0, v13, vcc
	v_mad_u64_u32 v[12:13], s[0:1], v19, s56, 0
	v_mad_u64_u32 v[14:15], s[0:1], v19, s53, 0
	v_add_co_u32_e32 v12, vcc, v20, v12
	v_addc_co_u32_e32 v12, vcc, v21, v13, vcc
	v_addc_co_u32_e32 v13, vcc, 0, v15, vcc
	v_add_co_u32_e32 v14, vcc, v12, v14
	v_addc_co_u32_e32 v15, vcc, 0, v13, vcc
	v_mul_lo_u32 v20, s55, v14
	v_mul_lo_u32 v21, s54, v15
	v_mad_u64_u32 v[12:13], s[0:1], s54, v14, 0
	v_xor_b32_e32 v3, s52, v3
	v_add3_u32 v13, v13, v21, v20
	v_sub_u32_e32 v20, v19, v13
	v_mov_b32_e32 v21, s55
	v_sub_co_u32_e32 v12, vcc, v18, v12
	v_subb_co_u32_e64 v18, s[0:1], v20, v21, vcc
	v_subrev_co_u32_e64 v20, s[0:1], s54, v12
	v_subbrev_co_u32_e64 v18, s[0:1], 0, v18, s[0:1]
	v_cmp_le_u32_e64 s[0:1], s55, v18
	v_cndmask_b32_e64 v21, 0, -1, s[0:1]
	v_cmp_le_u32_e64 s[0:1], s54, v20
	v_cndmask_b32_e64 v20, 0, -1, s[0:1]
	v_cmp_eq_u32_e64 s[0:1], s55, v18
	v_cndmask_b32_e64 v18, v21, v20, s[0:1]
	v_add_co_u32_e64 v20, s[0:1], 2, v14
	v_subb_co_u32_e32 v13, vcc, v19, v13, vcc
	v_addc_co_u32_e64 v21, s[0:1], 0, v15, s[0:1]
	v_cmp_le_u32_e32 vcc, s55, v13
	v_add_co_u32_e64 v22, s[0:1], 1, v14
	v_cndmask_b32_e64 v19, 0, -1, vcc
	v_cmp_le_u32_e32 vcc, s54, v12
	v_addc_co_u32_e64 v23, s[0:1], 0, v15, s[0:1]
	v_cndmask_b32_e64 v12, 0, -1, vcc
	v_cmp_eq_u32_e32 vcc, s55, v13
	v_cmp_ne_u32_e64 s[0:1], 0, v18
	v_cndmask_b32_e32 v12, v19, v12, vcc
	v_cndmask_b32_e64 v18, v23, v21, s[0:1]
	v_cmp_ne_u32_e32 vcc, 0, v12
	v_cndmask_b32_e64 v13, v22, v20, s[0:1]
	v_cndmask_b32_e32 v12, v15, v18, vcc
	v_cndmask_b32_e32 v13, v14, v13, vcc
	v_xor_b32_e32 v14, v12, v3
	v_xor_b32_e32 v12, v13, v3
	v_sub_co_u32_e32 v12, vcc, v12, v3
	v_subb_co_u32_e32 v13, vcc, v14, v3, vcc
.LBB35_23:                              ;   in Loop: Header=BB35_21 Depth=2
	s_andn2_saveexec_b64 s[0:1], s[50:51]
	s_cbranch_execz .LBB35_25
; %bb.24:                               ;   in Loop: Header=BB35_21 Depth=2
	v_cvt_f32_u32_e32 v3, s48
	s_sub_i32 s50, 0, s48
	v_rcp_iflag_f32_e32 v3, v3
	v_mul_f32_e32 v3, 0x4f7ffffe, v3
	v_cvt_u32_f32_e32 v3, v3
	v_mul_lo_u32 v12, s50, v3
	v_mul_hi_u32 v12, v3, v12
	v_add_u32_e32 v3, v3, v12
	v_mul_hi_u32 v3, v10, v3
	v_mul_lo_u32 v12, v3, s48
	v_add_u32_e32 v13, 1, v3
	v_sub_u32_e32 v12, v10, v12
	v_subrev_u32_e32 v14, s48, v12
	v_cmp_le_u32_e32 vcc, s48, v12
	v_cndmask_b32_e32 v12, v12, v14, vcc
	v_cndmask_b32_e32 v3, v3, v13, vcc
	v_add_u32_e32 v13, 1, v3
	v_cmp_le_u32_e32 vcc, s48, v12
	v_cndmask_b32_e32 v12, v3, v13, vcc
	v_mov_b32_e32 v13, v2
.LBB35_25:                              ;   in Loop: Header=BB35_21 Depth=2
	s_or_b64 exec, exec, s[0:1]
	s_load_dwordx2 s[50:51], s[44:45], 0x0
	s_load_dwordx2 s[54:55], s[44:45], 0xd0
	;; [unrolled: 1-line block ×3, first 2 shown]
                                        ; implicit-def: $vgpr14_vgpr15
	s_waitcnt lgkmcnt(0)
	v_or_b32_e32 v3, s51, v13
	v_cmp_ne_u64_e32 vcc, 0, v[2:3]
	s_and_saveexec_b64 s[0:1], vcc
	s_xor_b64 s[56:57], exec, s[0:1]
	s_cbranch_execz .LBB35_27
; %bb.26:                               ;   in Loop: Header=BB35_21 Depth=2
	s_ashr_i32 s58, s51, 31
	s_add_u32 s0, s50, s58
	s_mov_b32 s59, s58
	s_addc_u32 s1, s51, s58
	s_xor_b64 s[60:61], s[0:1], s[58:59]
	v_cvt_f32_u32_e32 v3, s60
	v_cvt_f32_u32_e32 v14, s61
	s_sub_u32 s59, 0, s60
	s_subb_u32 s66, 0, s61
	v_mac_f32_e32 v3, 0x4f800000, v14
	v_rcp_f32_e32 v3, v3
	v_mul_f32_e32 v3, 0x5f7ffffc, v3
	v_mul_f32_e32 v14, 0x2f800000, v3
	v_trunc_f32_e32 v14, v14
	v_mac_f32_e32 v3, 0xcf800000, v14
	v_cvt_u32_f32_e32 v14, v14
	v_cvt_u32_f32_e32 v3, v3
	v_readfirstlane_b32 s67, v14
	v_readfirstlane_b32 s0, v3
	s_mul_i32 s1, s59, s67
	s_mul_hi_u32 s69, s59, s0
	s_mul_i32 s68, s66, s0
	s_add_i32 s1, s69, s1
	s_add_i32 s1, s1, s68
	s_mul_i32 s70, s59, s0
	s_mul_i32 s69, s0, s1
	s_mul_hi_u32 s71, s0, s70
	s_mul_hi_u32 s68, s0, s1
	s_add_u32 s69, s71, s69
	s_addc_u32 s68, 0, s68
	s_mul_hi_u32 s72, s67, s70
	s_mul_i32 s70, s67, s70
	s_add_u32 s69, s69, s70
	s_mul_hi_u32 s71, s67, s1
	s_addc_u32 s68, s68, s72
	s_addc_u32 s69, s71, 0
	s_mul_i32 s1, s67, s1
	s_add_u32 s1, s68, s1
	s_addc_u32 s68, 0, s69
	s_add_u32 s69, s0, s1
	s_cselect_b64 s[0:1], -1, 0
	s_cmp_lg_u64 s[0:1], 0
	s_addc_u32 s67, s67, s68
	s_mul_i32 s0, s59, s67
	s_mul_hi_u32 s1, s59, s69
	s_add_i32 s0, s1, s0
	s_mul_i32 s66, s66, s69
	s_add_i32 s0, s0, s66
	s_mul_i32 s59, s59, s69
	s_mul_hi_u32 s66, s67, s59
	s_mul_i32 s68, s67, s59
	s_mul_i32 s71, s69, s0
	s_mul_hi_u32 s59, s69, s59
	s_mul_hi_u32 s70, s69, s0
	s_add_u32 s59, s59, s71
	s_addc_u32 s70, 0, s70
	s_add_u32 s59, s59, s68
	s_mul_hi_u32 s1, s67, s0
	s_addc_u32 s59, s70, s66
	s_addc_u32 s1, s1, 0
	s_mul_i32 s0, s67, s0
	s_add_u32 s0, s59, s0
	s_addc_u32 s59, 0, s1
	s_add_u32 s66, s69, s0
	s_cselect_b64 s[0:1], -1, 0
	v_ashrrev_i32_e32 v3, 31, v13
	s_cmp_lg_u64 s[0:1], 0
	v_add_co_u32_e32 v14, vcc, v12, v3
	s_addc_u32 s59, s67, s59
	v_xor_b32_e32 v20, v14, v3
	v_mad_u64_u32 v[14:15], s[0:1], v20, s59, 0
	v_mul_hi_u32 v19, v20, s66
	v_addc_co_u32_e32 v18, vcc, v13, v3, vcc
	v_xor_b32_e32 v21, v18, v3
	v_add_co_u32_e32 v22, vcc, v19, v14
	v_addc_co_u32_e32 v23, vcc, 0, v15, vcc
	v_mad_u64_u32 v[14:15], s[0:1], v21, s66, 0
	v_mad_u64_u32 v[18:19], s[0:1], v21, s59, 0
	v_add_co_u32_e32 v14, vcc, v22, v14
	v_addc_co_u32_e32 v14, vcc, v23, v15, vcc
	v_addc_co_u32_e32 v15, vcc, 0, v19, vcc
	v_add_co_u32_e32 v18, vcc, v14, v18
	v_addc_co_u32_e32 v19, vcc, 0, v15, vcc
	v_mul_lo_u32 v22, s61, v18
	v_mul_lo_u32 v23, s60, v19
	v_mad_u64_u32 v[14:15], s[0:1], s60, v18, 0
	v_xor_b32_e32 v3, s58, v3
	v_add3_u32 v15, v15, v23, v22
	v_sub_u32_e32 v22, v21, v15
	v_mov_b32_e32 v23, s61
	v_sub_co_u32_e32 v14, vcc, v20, v14
	v_subb_co_u32_e64 v20, s[0:1], v22, v23, vcc
	v_subrev_co_u32_e64 v22, s[0:1], s60, v14
	v_subbrev_co_u32_e64 v20, s[0:1], 0, v20, s[0:1]
	v_cmp_le_u32_e64 s[0:1], s61, v20
	v_cndmask_b32_e64 v23, 0, -1, s[0:1]
	v_cmp_le_u32_e64 s[0:1], s60, v22
	v_cndmask_b32_e64 v22, 0, -1, s[0:1]
	v_cmp_eq_u32_e64 s[0:1], s61, v20
	v_cndmask_b32_e64 v20, v23, v22, s[0:1]
	v_add_co_u32_e64 v22, s[0:1], 2, v18
	v_subb_co_u32_e32 v15, vcc, v21, v15, vcc
	v_addc_co_u32_e64 v23, s[0:1], 0, v19, s[0:1]
	v_cmp_le_u32_e32 vcc, s61, v15
	v_add_co_u32_e64 v24, s[0:1], 1, v18
	v_cndmask_b32_e64 v21, 0, -1, vcc
	v_cmp_le_u32_e32 vcc, s60, v14
	v_addc_co_u32_e64 v25, s[0:1], 0, v19, s[0:1]
	v_cndmask_b32_e64 v14, 0, -1, vcc
	v_cmp_eq_u32_e32 vcc, s61, v15
	v_cmp_ne_u32_e64 s[0:1], 0, v20
	v_cndmask_b32_e32 v14, v21, v14, vcc
	v_cndmask_b32_e64 v20, v25, v23, s[0:1]
	v_cmp_ne_u32_e32 vcc, 0, v14
	v_cndmask_b32_e64 v15, v24, v22, s[0:1]
	v_cndmask_b32_e32 v14, v19, v20, vcc
	v_cndmask_b32_e32 v15, v18, v15, vcc
	v_xor_b32_e32 v18, v14, v3
	v_xor_b32_e32 v14, v15, v3
	v_sub_co_u32_e32 v14, vcc, v14, v3
	v_subb_co_u32_e32 v15, vcc, v18, v3, vcc
.LBB35_27:                              ;   in Loop: Header=BB35_21 Depth=2
	s_andn2_saveexec_b64 s[0:1], s[56:57]
	s_cbranch_execz .LBB35_20
; %bb.28:                               ;   in Loop: Header=BB35_21 Depth=2
	v_cvt_f32_u32_e32 v3, s50
	s_sub_i32 s56, 0, s50
	v_rcp_iflag_f32_e32 v3, v3
	v_mul_f32_e32 v3, 0x4f7ffffe, v3
	v_cvt_u32_f32_e32 v3, v3
	v_mul_lo_u32 v14, s56, v3
	v_mul_hi_u32 v14, v3, v14
	v_add_u32_e32 v3, v3, v14
	v_mul_hi_u32 v3, v12, v3
	v_mul_lo_u32 v14, v3, s50
	v_add_u32_e32 v15, 1, v3
	v_sub_u32_e32 v14, v12, v14
	v_subrev_u32_e32 v18, s50, v14
	v_cmp_le_u32_e32 vcc, s50, v14
	v_cndmask_b32_e32 v14, v14, v18, vcc
	v_cndmask_b32_e32 v3, v3, v15, vcc
	v_add_u32_e32 v15, 1, v3
	v_cmp_le_u32_e32 vcc, s50, v14
	v_cndmask_b32_e32 v14, v3, v15, vcc
	v_mov_b32_e32 v15, v2
	s_branch .LBB35_20
.LBB35_29:                              ;   in Loop: Header=BB35_3 Depth=1
	v_sub_co_u32_e32 v12, vcc, v4, v16
	v_subb_co_u32_e32 v13, vcc, v5, v17, vcc
	v_cmp_ge_i64_e32 vcc, s[8:9], v[12:13]
	v_mov_b32_e32 v14, 0
	v_mov_b32_e32 v15, 0
	;; [unrolled: 1-line block ×4, first 2 shown]
	s_and_saveexec_b64 s[0:1], vcc
	s_cbranch_execz .LBB35_35
; %bb.30:                               ;   in Loop: Header=BB35_3 Depth=1
	v_cmp_gt_i64_e32 vcc, s[14:15], v[4:5]
	v_mov_b32_e32 v11, 0
	v_mov_b32_e32 v10, 0
	;; [unrolled: 1-line block ×4, first 2 shown]
	s_and_saveexec_b64 s[42:43], vcc
	s_cbranch_execz .LBB35_34
; %bb.31:                               ;   in Loop: Header=BB35_3 Depth=1
	v_lshlrev_b64 v[8:9], 3, v[8:9]
	v_mov_b32_e32 v3, s3
	v_add_co_u32_e32 v8, vcc, s2, v8
	v_addc_co_u32_e32 v9, vcc, v3, v9, vcc
	global_load_dwordx2 v[10:11], v[8:9], off
	v_add_co_u32_e32 v14, vcc, 1, v4
	v_addc_co_u32_e32 v15, vcc, 0, v5, vcc
	v_cmp_gt_i64_e32 vcc, s[14:15], v[14:15]
	v_mov_b32_e32 v14, 0
	v_mov_b32_e32 v15, 0
	s_and_saveexec_b64 s[44:45], vcc
	s_cbranch_execz .LBB35_33
; %bb.32:                               ;   in Loop: Header=BB35_3 Depth=1
	s_lshl_b64 s[46:47], s[18:19], 3
	v_mov_b32_e32 v3, s47
	v_add_co_u32_e32 v8, vcc, s46, v8
	v_addc_co_u32_e32 v9, vcc, v9, v3, vcc
	global_load_dwordx2 v[14:15], v[8:9], off
.LBB35_33:                              ;   in Loop: Header=BB35_3 Depth=1
	s_or_b64 exec, exec, s[44:45]
.LBB35_34:                              ;   in Loop: Header=BB35_3 Depth=1
	s_or_b64 exec, exec, s[42:43]
	v_add_co_u32_e32 v8, vcc, 1, v12
	v_addc_co_u32_e32 v9, vcc, 0, v13, vcc
	v_cmp_lt_i64_e32 vcc, s[8:9], v[8:9]
	s_waitcnt vmcnt(0)
	v_cndmask_b32_e64 v14, v14, 0, vcc
	v_cndmask_b32_e64 v15, v15, 0, vcc
.LBB35_35:                              ;   in Loop: Header=BB35_3 Depth=1
	s_or_b64 exec, exec, s[0:1]
	v_cmp_gt_i64_e32 vcc, s[14:15], v[4:5]
	s_and_saveexec_b64 s[0:1], vcc
	s_cbranch_execz .LBB35_2
; %bb.36:                               ;   in Loop: Header=BB35_3 Depth=1
	v_lshlrev_b64 v[6:7], 3, v[6:7]
	v_mov_b32_e32 v3, s29
	v_add_co_u32_e32 v6, vcc, s28, v6
	v_addc_co_u32_e32 v7, vcc, v3, v7, vcc
	v_add_co_u32_e32 v3, vcc, 1, v4
	v_addc_co_u32_e32 v4, vcc, 0, v5, vcc
	v_cmp_gt_i64_e32 vcc, s[14:15], v[3:4]
	global_store_dwordx2 v[6:7], v[10:11], off
	s_and_saveexec_b64 s[42:43], vcc
	s_xor_b64 s[42:43], exec, s[42:43]
	s_cbranch_execz .LBB35_2
; %bb.37:                               ;   in Loop: Header=BB35_3 Depth=1
	s_lshl_b64 s[42:43], s[22:23], 3
	v_mov_b32_e32 v4, s43
	v_add_co_u32_e32 v3, vcc, s42, v6
	v_addc_co_u32_e32 v4, vcc, v7, v4, vcc
	global_store_dwordx2 v[3:4], v[14:15], off
	s_branch .LBB35_2
.LBB35_38:
	s_endpgm
	.section	.rodata,"a",@progbits
	.p2align	6, 0x0
	.amdhsa_kernel _ZN2at6native16triu_tril_kernelIN3c107complexIfEElLb0ELi2ELb0EEEvNS_4cuda6detail10TensorInfoIT_T0_EENS7_IKS8_S9_EEllS9_
		.amdhsa_group_segment_fixed_size 0
		.amdhsa_private_segment_fixed_size 0
		.amdhsa_kernarg_size 1112
		.amdhsa_user_sgpr_count 6
		.amdhsa_user_sgpr_private_segment_buffer 1
		.amdhsa_user_sgpr_dispatch_ptr 0
		.amdhsa_user_sgpr_queue_ptr 0
		.amdhsa_user_sgpr_kernarg_segment_ptr 1
		.amdhsa_user_sgpr_dispatch_id 0
		.amdhsa_user_sgpr_flat_scratch_init 0
		.amdhsa_user_sgpr_private_segment_size 0
		.amdhsa_uses_dynamic_stack 0
		.amdhsa_system_sgpr_private_segment_wavefront_offset 0
		.amdhsa_system_sgpr_workgroup_id_x 1
		.amdhsa_system_sgpr_workgroup_id_y 0
		.amdhsa_system_sgpr_workgroup_id_z 0
		.amdhsa_system_sgpr_workgroup_info 0
		.amdhsa_system_vgpr_workitem_id 0
		.amdhsa_next_free_vgpr 26
		.amdhsa_next_free_sgpr 73
		.amdhsa_reserve_vcc 1
		.amdhsa_reserve_flat_scratch 0
		.amdhsa_float_round_mode_32 0
		.amdhsa_float_round_mode_16_64 0
		.amdhsa_float_denorm_mode_32 3
		.amdhsa_float_denorm_mode_16_64 3
		.amdhsa_dx10_clamp 1
		.amdhsa_ieee_mode 1
		.amdhsa_fp16_overflow 0
		.amdhsa_exception_fp_ieee_invalid_op 0
		.amdhsa_exception_fp_denorm_src 0
		.amdhsa_exception_fp_ieee_div_zero 0
		.amdhsa_exception_fp_ieee_overflow 0
		.amdhsa_exception_fp_ieee_underflow 0
		.amdhsa_exception_fp_ieee_inexact 0
		.amdhsa_exception_int_div_zero 0
	.end_amdhsa_kernel
	.section	.text._ZN2at6native16triu_tril_kernelIN3c107complexIfEElLb0ELi2ELb0EEEvNS_4cuda6detail10TensorInfoIT_T0_EENS7_IKS8_S9_EEllS9_,"axG",@progbits,_ZN2at6native16triu_tril_kernelIN3c107complexIfEElLb0ELi2ELb0EEEvNS_4cuda6detail10TensorInfoIT_T0_EENS7_IKS8_S9_EEllS9_,comdat
.Lfunc_end35:
	.size	_ZN2at6native16triu_tril_kernelIN3c107complexIfEElLb0ELi2ELb0EEEvNS_4cuda6detail10TensorInfoIT_T0_EENS7_IKS8_S9_EEllS9_, .Lfunc_end35-_ZN2at6native16triu_tril_kernelIN3c107complexIfEElLb0ELi2ELb0EEEvNS_4cuda6detail10TensorInfoIT_T0_EENS7_IKS8_S9_EEllS9_
                                        ; -- End function
	.set _ZN2at6native16triu_tril_kernelIN3c107complexIfEElLb0ELi2ELb0EEEvNS_4cuda6detail10TensorInfoIT_T0_EENS7_IKS8_S9_EEllS9_.num_vgpr, 26
	.set _ZN2at6native16triu_tril_kernelIN3c107complexIfEElLb0ELi2ELb0EEEvNS_4cuda6detail10TensorInfoIT_T0_EENS7_IKS8_S9_EEllS9_.num_agpr, 0
	.set _ZN2at6native16triu_tril_kernelIN3c107complexIfEElLb0ELi2ELb0EEEvNS_4cuda6detail10TensorInfoIT_T0_EENS7_IKS8_S9_EEllS9_.numbered_sgpr, 73
	.set _ZN2at6native16triu_tril_kernelIN3c107complexIfEElLb0ELi2ELb0EEEvNS_4cuda6detail10TensorInfoIT_T0_EENS7_IKS8_S9_EEllS9_.num_named_barrier, 0
	.set _ZN2at6native16triu_tril_kernelIN3c107complexIfEElLb0ELi2ELb0EEEvNS_4cuda6detail10TensorInfoIT_T0_EENS7_IKS8_S9_EEllS9_.private_seg_size, 0
	.set _ZN2at6native16triu_tril_kernelIN3c107complexIfEElLb0ELi2ELb0EEEvNS_4cuda6detail10TensorInfoIT_T0_EENS7_IKS8_S9_EEllS9_.uses_vcc, 1
	.set _ZN2at6native16triu_tril_kernelIN3c107complexIfEElLb0ELi2ELb0EEEvNS_4cuda6detail10TensorInfoIT_T0_EENS7_IKS8_S9_EEllS9_.uses_flat_scratch, 0
	.set _ZN2at6native16triu_tril_kernelIN3c107complexIfEElLb0ELi2ELb0EEEvNS_4cuda6detail10TensorInfoIT_T0_EENS7_IKS8_S9_EEllS9_.has_dyn_sized_stack, 0
	.set _ZN2at6native16triu_tril_kernelIN3c107complexIfEElLb0ELi2ELb0EEEvNS_4cuda6detail10TensorInfoIT_T0_EENS7_IKS8_S9_EEllS9_.has_recursion, 0
	.set _ZN2at6native16triu_tril_kernelIN3c107complexIfEElLb0ELi2ELb0EEEvNS_4cuda6detail10TensorInfoIT_T0_EENS7_IKS8_S9_EEllS9_.has_indirect_call, 0
	.section	.AMDGPU.csdata,"",@progbits
; Kernel info:
; codeLenInByte = 5016
; TotalNumSgprs: 77
; NumVgprs: 26
; ScratchSize: 0
; MemoryBound: 0
; FloatMode: 240
; IeeeMode: 1
; LDSByteSize: 0 bytes/workgroup (compile time only)
; SGPRBlocks: 9
; VGPRBlocks: 6
; NumSGPRsForWavesPerEU: 77
; NumVGPRsForWavesPerEU: 26
; Occupancy: 9
; WaveLimiterHint : 0
; COMPUTE_PGM_RSRC2:SCRATCH_EN: 0
; COMPUTE_PGM_RSRC2:USER_SGPR: 6
; COMPUTE_PGM_RSRC2:TRAP_HANDLER: 0
; COMPUTE_PGM_RSRC2:TGID_X_EN: 1
; COMPUTE_PGM_RSRC2:TGID_Y_EN: 0
; COMPUTE_PGM_RSRC2:TGID_Z_EN: 0
; COMPUTE_PGM_RSRC2:TIDIG_COMP_CNT: 0
	.section	.text._ZN2at6native16triu_tril_kernelIN3c107complexINS2_4HalfEEEiLb0ELi2ELb1EEEvNS_4cuda6detail10TensorInfoIT_T0_EENS8_IKS9_SA_EEllSA_,"axG",@progbits,_ZN2at6native16triu_tril_kernelIN3c107complexINS2_4HalfEEEiLb0ELi2ELb1EEEvNS_4cuda6detail10TensorInfoIT_T0_EENS8_IKS9_SA_EEllSA_,comdat
	.protected	_ZN2at6native16triu_tril_kernelIN3c107complexINS2_4HalfEEEiLb0ELi2ELb1EEEvNS_4cuda6detail10TensorInfoIT_T0_EENS8_IKS9_SA_EEllSA_ ; -- Begin function _ZN2at6native16triu_tril_kernelIN3c107complexINS2_4HalfEEEiLb0ELi2ELb1EEEvNS_4cuda6detail10TensorInfoIT_T0_EENS8_IKS9_SA_EEllSA_
	.globl	_ZN2at6native16triu_tril_kernelIN3c107complexINS2_4HalfEEEiLb0ELi2ELb1EEEvNS_4cuda6detail10TensorInfoIT_T0_EENS8_IKS9_SA_EEllSA_
	.p2align	8
	.type	_ZN2at6native16triu_tril_kernelIN3c107complexINS2_4HalfEEEiLb0ELi2ELb1EEEvNS_4cuda6detail10TensorInfoIT_T0_EENS8_IKS9_SA_EEllSA_,@function
_ZN2at6native16triu_tril_kernelIN3c107complexINS2_4HalfEEEiLb0ELi2ELb1EEEvNS_4cuda6detail10TensorInfoIT_T0_EENS8_IKS9_SA_EEllSA_: ; @_ZN2at6native16triu_tril_kernelIN3c107complexINS2_4HalfEEEiLb0ELi2ELb1EEEvNS_4cuda6detail10TensorInfoIT_T0_EENS8_IKS9_SA_EEllSA_
; %bb.0:
	s_load_dword s2, s[4:5], 0x1d4
	s_load_dwordx4 s[8:11], s[4:5], 0x1b0
	s_add_u32 s0, s4, 0x1c8
	v_mov_b32_e32 v2, 0
	s_addc_u32 s1, s5, 0
	s_waitcnt lgkmcnt(0)
	s_and_b32 s7, s2, 0xffff
	v_mov_b32_e32 v1, v2
	v_mov_b32_e32 v3, s6
	v_mad_u64_u32 v[0:1], s[2:3], s7, v3, v[0:1]
	v_lshlrev_b64 v[0:1], 1, v[0:1]
	v_cmp_gt_i64_e32 vcc, s[10:11], v[0:1]
	s_and_saveexec_b64 s[2:3], vcc
	s_cbranch_execz .LBB36_63
; %bb.1:
	s_load_dword s33, s[4:5], 0x1c0
	s_load_dword s16, s[4:5], 0x1a8
	s_add_u32 s42, s4, 0xd8
	s_addc_u32 s43, s5, 0
	s_load_dword s6, s[0:1], 0x0
	s_waitcnt lgkmcnt(0)
	s_ashr_i32 s44, s33, 31
	s_ashr_i32 s17, s16, 31
	s_lshl_b64 s[0:1], s[16:17], 2
	s_add_u32 s2, s42, s0
	s_addc_u32 s3, s43, s1
	s_load_dword s45, s[2:3], 0x0
	s_load_dwordx2 s[12:13], s[4:5], 0x0
	s_mul_i32 s18, s6, s7
	v_cmp_gt_i64_e64 s[6:7], s[16:17], 2
	s_mov_b32 s17, 0
	s_waitcnt lgkmcnt(0)
	s_ashr_i32 s46, s45, 31
	s_add_u32 s14, s4, s0
	s_addc_u32 s15, s5, s1
	s_add_i32 s0, s16, 6
	s_add_i32 s47, s16, -3
	s_lshl_b32 s48, s18, 1
	s_and_b32 s49, s0, 7
	s_and_b32 s0, s16, 7
	s_cmp_lg_u32 s0, 2
	s_cselect_b64 s[18:19], -1, 0
	s_cmp_gt_u32 s47, 6
	s_cselect_b64 s[20:21], -1, 0
	s_mov_b64 s[22:23], 0
	s_ashr_i32 s24, s44, 31
	s_branch .LBB36_3
.LBB36_2:                               ;   in Loop: Header=BB36_3 Depth=1
	s_or_b64 exec, exec, s[26:27]
	v_add_co_u32_e32 v0, vcc, s48, v0
	v_addc_co_u32_e32 v1, vcc, 0, v1, vcc
	v_cmp_le_i64_e32 vcc, s[10:11], v[0:1]
	s_or_b64 s[22:23], vcc, s[22:23]
	s_andn2_b64 exec, exec, s[22:23]
	s_cbranch_execz .LBB36_63
.LBB36_3:                               ; =>This Loop Header: Depth=1
                                        ;     Child Loop BB36_14 Depth 2
                                        ;     Child Loop BB36_23 Depth 2
	v_or_b32_e32 v3, s44, v1
	v_cmp_ne_u64_e32 vcc, 0, v[2:3]
                                        ; implicit-def: $vgpr4_vgpr5
	s_and_saveexec_b64 s[0:1], vcc
	s_xor_b64 s[26:27], exec, s[0:1]
	s_cbranch_execz .LBB36_5
; %bb.4:                                ;   in Loop: Header=BB36_3 Depth=1
	s_add_u32 s0, s33, s24
	s_mov_b32 s25, s24
	s_addc_u32 s1, s44, s24
	s_xor_b64 s[28:29], s[0:1], s[24:25]
	v_cvt_f32_u32_e32 v3, s28
	v_cvt_f32_u32_e32 v4, s29
	s_sub_u32 s16, 0, s28
	s_subb_u32 s25, 0, s29
	v_ashrrev_i32_e32 v7, 31, v1
	v_mac_f32_e32 v3, 0x4f800000, v4
	v_rcp_f32_e32 v3, v3
	v_mul_f32_e32 v3, 0x5f7ffffc, v3
	v_mul_f32_e32 v4, 0x2f800000, v3
	v_trunc_f32_e32 v4, v4
	v_mac_f32_e32 v3, 0xcf800000, v4
	v_cvt_u32_f32_e32 v4, v4
	v_cvt_u32_f32_e32 v3, v3
	v_readfirstlane_b32 s30, v4
	v_readfirstlane_b32 s0, v3
	s_mul_i32 s1, s16, s30
	s_mul_hi_u32 s34, s16, s0
	s_mul_i32 s31, s25, s0
	s_add_i32 s1, s34, s1
	s_add_i32 s1, s1, s31
	s_mul_i32 s35, s16, s0
	s_mul_i32 s34, s0, s1
	s_mul_hi_u32 s36, s0, s35
	s_mul_hi_u32 s31, s0, s1
	s_add_u32 s34, s36, s34
	s_addc_u32 s31, 0, s31
	s_mul_hi_u32 s37, s30, s35
	s_mul_i32 s35, s30, s35
	s_add_u32 s34, s34, s35
	s_mul_hi_u32 s36, s30, s1
	s_addc_u32 s31, s31, s37
	s_addc_u32 s34, s36, 0
	s_mul_i32 s1, s30, s1
	s_add_u32 s1, s31, s1
	s_addc_u32 s31, 0, s34
	s_add_u32 s34, s0, s1
	s_cselect_b64 s[0:1], -1, 0
	s_cmp_lg_u64 s[0:1], 0
	s_addc_u32 s30, s30, s31
	s_mul_i32 s0, s16, s30
	s_mul_hi_u32 s1, s16, s34
	s_add_i32 s0, s1, s0
	s_mul_i32 s25, s25, s34
	s_add_i32 s0, s0, s25
	s_mul_i32 s16, s16, s34
	s_mul_hi_u32 s25, s30, s16
	s_mul_i32 s31, s30, s16
	s_mul_i32 s36, s34, s0
	s_mul_hi_u32 s16, s34, s16
	s_mul_hi_u32 s35, s34, s0
	s_add_u32 s16, s16, s36
	s_addc_u32 s35, 0, s35
	s_add_u32 s16, s16, s31
	s_mul_hi_u32 s1, s30, s0
	s_addc_u32 s16, s35, s25
	s_addc_u32 s1, s1, 0
	s_mul_i32 s0, s30, s0
	s_add_u32 s0, s16, s0
	s_addc_u32 s16, 0, s1
	s_add_u32 s25, s34, s0
	s_cselect_b64 s[0:1], -1, 0
	s_cmp_lg_u64 s[0:1], 0
	v_add_co_u32_e32 v3, vcc, v0, v7
	s_addc_u32 s16, s30, s16
	v_xor_b32_e32 v8, v3, v7
	v_mad_u64_u32 v[3:4], s[0:1], v8, s16, 0
	v_mul_hi_u32 v6, v8, s25
	v_addc_co_u32_e32 v5, vcc, v1, v7, vcc
	v_xor_b32_e32 v9, v5, v7
	v_add_co_u32_e32 v10, vcc, v6, v3
	v_addc_co_u32_e32 v11, vcc, 0, v4, vcc
	v_mad_u64_u32 v[3:4], s[0:1], v9, s25, 0
	v_mad_u64_u32 v[5:6], s[0:1], v9, s16, 0
	v_add_co_u32_e32 v3, vcc, v10, v3
	v_addc_co_u32_e32 v3, vcc, v11, v4, vcc
	v_addc_co_u32_e32 v4, vcc, 0, v6, vcc
	v_add_co_u32_e32 v5, vcc, v3, v5
	v_addc_co_u32_e32 v6, vcc, 0, v4, vcc
	v_mul_lo_u32 v10, s29, v5
	v_mul_lo_u32 v11, s28, v6
	v_mad_u64_u32 v[3:4], s[0:1], s28, v5, 0
	v_add3_u32 v4, v4, v11, v10
	v_sub_u32_e32 v10, v9, v4
	v_mov_b32_e32 v11, s29
	v_sub_co_u32_e32 v3, vcc, v8, v3
	v_subb_co_u32_e64 v8, s[0:1], v10, v11, vcc
	v_subrev_co_u32_e64 v10, s[0:1], s28, v3
	v_subbrev_co_u32_e64 v8, s[0:1], 0, v8, s[0:1]
	v_cmp_le_u32_e64 s[0:1], s29, v8
	v_cndmask_b32_e64 v11, 0, -1, s[0:1]
	v_cmp_le_u32_e64 s[0:1], s28, v10
	v_cndmask_b32_e64 v10, 0, -1, s[0:1]
	v_cmp_eq_u32_e64 s[0:1], s29, v8
	v_cndmask_b32_e64 v8, v11, v10, s[0:1]
	v_add_co_u32_e64 v10, s[0:1], 2, v5
	v_subb_co_u32_e32 v4, vcc, v9, v4, vcc
	v_addc_co_u32_e64 v11, s[0:1], 0, v6, s[0:1]
	v_cmp_le_u32_e32 vcc, s29, v4
	v_add_co_u32_e64 v12, s[0:1], 1, v5
	v_cndmask_b32_e64 v9, 0, -1, vcc
	v_cmp_le_u32_e32 vcc, s28, v3
	v_addc_co_u32_e64 v13, s[0:1], 0, v6, s[0:1]
	v_cndmask_b32_e64 v3, 0, -1, vcc
	v_cmp_eq_u32_e32 vcc, s29, v4
	v_cmp_ne_u32_e64 s[0:1], 0, v8
	v_cndmask_b32_e32 v3, v9, v3, vcc
	v_cmp_ne_u32_e32 vcc, 0, v3
	v_cndmask_b32_e64 v4, v12, v10, s[0:1]
	v_cndmask_b32_e64 v8, v13, v11, s[0:1]
	v_cndmask_b32_e32 v4, v5, v4, vcc
	v_xor_b32_e32 v5, s24, v7
	v_cndmask_b32_e32 v3, v6, v8, vcc
	v_xor_b32_e32 v4, v4, v5
	v_xor_b32_e32 v3, v3, v5
	v_sub_co_u32_e32 v4, vcc, v4, v5
	v_subb_co_u32_e32 v5, vcc, v3, v5, vcc
.LBB36_5:                               ;   in Loop: Header=BB36_3 Depth=1
	s_andn2_saveexec_b64 s[0:1], s[26:27]
	s_cbranch_execz .LBB36_7
; %bb.6:                                ;   in Loop: Header=BB36_3 Depth=1
	v_cvt_f32_u32_e32 v3, s33
	s_sub_i32 s16, 0, s33
	v_rcp_iflag_f32_e32 v3, v3
	v_mul_f32_e32 v3, 0x4f7ffffe, v3
	v_cvt_u32_f32_e32 v3, v3
	v_mul_lo_u32 v4, s16, v3
	v_mul_hi_u32 v4, v3, v4
	v_add_u32_e32 v3, v3, v4
	v_mul_hi_u32 v3, v0, v3
	v_mul_lo_u32 v4, v3, s33
	v_add_u32_e32 v5, 1, v3
	v_sub_u32_e32 v4, v0, v4
	v_subrev_u32_e32 v6, s33, v4
	v_cmp_le_u32_e32 vcc, s33, v4
	v_cndmask_b32_e32 v4, v4, v6, vcc
	v_cndmask_b32_e32 v3, v3, v5, vcc
	v_add_u32_e32 v5, 1, v3
	v_cmp_le_u32_e32 vcc, s33, v4
	v_cndmask_b32_e32 v4, v3, v5, vcc
	v_mov_b32_e32 v5, v2
.LBB36_7:                               ;   in Loop: Header=BB36_3 Depth=1
	s_or_b64 exec, exec, s[0:1]
	v_or_b32_e32 v3, s46, v5
	v_cmp_ne_u64_e32 vcc, 0, v[2:3]
                                        ; implicit-def: $vgpr8_vgpr9
	s_and_saveexec_b64 s[0:1], vcc
	s_xor_b64 s[26:27], exec, s[0:1]
	s_cbranch_execz .LBB36_9
; %bb.8:                                ;   in Loop: Header=BB36_3 Depth=1
	s_ashr_i32 s28, s46, 31
	s_add_u32 s0, s45, s28
	s_mov_b32 s29, s28
	s_addc_u32 s1, s46, s28
	s_xor_b64 s[30:31], s[0:1], s[28:29]
	v_cvt_f32_u32_e32 v3, s30
	v_cvt_f32_u32_e32 v6, s31
	s_sub_u32 s16, 0, s30
	s_subb_u32 s25, 0, s31
	v_mac_f32_e32 v3, 0x4f800000, v6
	v_rcp_f32_e32 v3, v3
	v_mul_f32_e32 v3, 0x5f7ffffc, v3
	v_mul_f32_e32 v6, 0x2f800000, v3
	v_trunc_f32_e32 v6, v6
	v_mac_f32_e32 v3, 0xcf800000, v6
	v_cvt_u32_f32_e32 v6, v6
	v_cvt_u32_f32_e32 v3, v3
	v_readfirstlane_b32 s29, v6
	v_readfirstlane_b32 s0, v3
	s_mul_i32 s1, s16, s29
	s_mul_hi_u32 s35, s16, s0
	s_mul_i32 s34, s25, s0
	s_add_i32 s1, s35, s1
	s_add_i32 s1, s1, s34
	s_mul_i32 s36, s16, s0
	s_mul_i32 s35, s0, s1
	s_mul_hi_u32 s37, s0, s36
	s_mul_hi_u32 s34, s0, s1
	s_add_u32 s35, s37, s35
	s_addc_u32 s34, 0, s34
	s_mul_hi_u32 s38, s29, s36
	s_mul_i32 s36, s29, s36
	s_add_u32 s35, s35, s36
	s_mul_hi_u32 s37, s29, s1
	s_addc_u32 s34, s34, s38
	s_addc_u32 s35, s37, 0
	s_mul_i32 s1, s29, s1
	s_add_u32 s1, s34, s1
	s_addc_u32 s34, 0, s35
	s_add_u32 s35, s0, s1
	s_cselect_b64 s[0:1], -1, 0
	s_cmp_lg_u64 s[0:1], 0
	s_addc_u32 s29, s29, s34
	s_mul_i32 s0, s16, s29
	s_mul_hi_u32 s1, s16, s35
	s_add_i32 s0, s1, s0
	s_mul_i32 s25, s25, s35
	s_add_i32 s0, s0, s25
	s_mul_i32 s16, s16, s35
	s_mul_hi_u32 s25, s29, s16
	s_mul_i32 s34, s29, s16
	s_mul_i32 s37, s35, s0
	s_mul_hi_u32 s16, s35, s16
	s_mul_hi_u32 s36, s35, s0
	s_add_u32 s16, s16, s37
	s_addc_u32 s36, 0, s36
	s_add_u32 s16, s16, s34
	s_mul_hi_u32 s1, s29, s0
	s_addc_u32 s16, s36, s25
	s_addc_u32 s1, s1, 0
	s_mul_i32 s0, s29, s0
	s_add_u32 s0, s16, s0
	s_addc_u32 s16, 0, s1
	s_add_u32 s25, s35, s0
	s_cselect_b64 s[0:1], -1, 0
	v_ashrrev_i32_e32 v3, 31, v5
	s_cmp_lg_u64 s[0:1], 0
	v_add_co_u32_e32 v6, vcc, v4, v3
	s_addc_u32 s16, s29, s16
	v_xor_b32_e32 v9, v6, v3
	v_addc_co_u32_e32 v7, vcc, v5, v3, vcc
	v_mad_u64_u32 v[5:6], s[0:1], v9, s16, 0
	v_mul_hi_u32 v8, v9, s25
	v_xor_b32_e32 v10, v7, v3
	v_xor_b32_e32 v3, s28, v3
	v_add_co_u32_e32 v11, vcc, v8, v5
	v_addc_co_u32_e32 v12, vcc, 0, v6, vcc
	v_mad_u64_u32 v[5:6], s[0:1], v10, s25, 0
	v_mad_u64_u32 v[7:8], s[0:1], v10, s16, 0
	v_add_co_u32_e32 v5, vcc, v11, v5
	v_addc_co_u32_e32 v5, vcc, v12, v6, vcc
	v_addc_co_u32_e32 v6, vcc, 0, v8, vcc
	v_add_co_u32_e32 v7, vcc, v5, v7
	v_addc_co_u32_e32 v8, vcc, 0, v6, vcc
	v_mul_lo_u32 v11, s31, v7
	v_mul_lo_u32 v12, s30, v8
	v_mad_u64_u32 v[5:6], s[0:1], s30, v7, 0
	v_add3_u32 v6, v6, v12, v11
	v_sub_u32_e32 v11, v10, v6
	v_mov_b32_e32 v12, s31
	v_sub_co_u32_e32 v5, vcc, v9, v5
	v_subb_co_u32_e64 v9, s[0:1], v11, v12, vcc
	v_subrev_co_u32_e64 v11, s[0:1], s30, v5
	v_subbrev_co_u32_e64 v9, s[0:1], 0, v9, s[0:1]
	v_cmp_le_u32_e64 s[0:1], s31, v9
	v_cndmask_b32_e64 v12, 0, -1, s[0:1]
	v_cmp_le_u32_e64 s[0:1], s30, v11
	v_cndmask_b32_e64 v11, 0, -1, s[0:1]
	v_cmp_eq_u32_e64 s[0:1], s31, v9
	v_cndmask_b32_e64 v9, v12, v11, s[0:1]
	v_add_co_u32_e64 v11, s[0:1], 2, v7
	v_subb_co_u32_e32 v6, vcc, v10, v6, vcc
	v_addc_co_u32_e64 v12, s[0:1], 0, v8, s[0:1]
	v_cmp_le_u32_e32 vcc, s31, v6
	v_add_co_u32_e64 v13, s[0:1], 1, v7
	v_cndmask_b32_e64 v10, 0, -1, vcc
	v_cmp_le_u32_e32 vcc, s30, v5
	v_addc_co_u32_e64 v14, s[0:1], 0, v8, s[0:1]
	v_cndmask_b32_e64 v5, 0, -1, vcc
	v_cmp_eq_u32_e32 vcc, s31, v6
	v_cmp_ne_u32_e64 s[0:1], 0, v9
	v_cndmask_b32_e32 v5, v10, v5, vcc
	v_cmp_ne_u32_e32 vcc, 0, v5
	v_cndmask_b32_e64 v6, v13, v11, s[0:1]
	v_cndmask_b32_e64 v9, v14, v12, s[0:1]
	v_cndmask_b32_e32 v6, v7, v6, vcc
	v_cndmask_b32_e32 v5, v8, v9, vcc
	v_xor_b32_e32 v6, v6, v3
	v_xor_b32_e32 v5, v5, v3
	v_sub_co_u32_e32 v8, vcc, v6, v3
	v_subb_co_u32_e32 v9, vcc, v5, v3, vcc
.LBB36_9:                               ;   in Loop: Header=BB36_3 Depth=1
	s_andn2_saveexec_b64 s[0:1], s[26:27]
	s_cbranch_execz .LBB36_11
; %bb.10:                               ;   in Loop: Header=BB36_3 Depth=1
	v_cvt_f32_u32_e32 v3, s45
	s_sub_i32 s16, 0, s45
	v_mov_b32_e32 v9, v2
	v_rcp_iflag_f32_e32 v3, v3
	v_mul_f32_e32 v3, 0x4f7ffffe, v3
	v_cvt_u32_f32_e32 v3, v3
	v_mul_lo_u32 v5, s16, v3
	v_mul_hi_u32 v5, v3, v5
	v_add_u32_e32 v3, v3, v5
	v_mul_hi_u32 v3, v4, v3
	v_mul_lo_u32 v5, v3, s45
	v_add_u32_e32 v6, 1, v3
	v_sub_u32_e32 v5, v4, v5
	v_subrev_u32_e32 v7, s45, v5
	v_cmp_le_u32_e32 vcc, s45, v5
	v_cndmask_b32_e32 v5, v5, v7, vcc
	v_cndmask_b32_e32 v3, v3, v6, vcc
	v_add_u32_e32 v6, 1, v3
	v_cmp_le_u32_e32 vcc, s45, v5
	v_cndmask_b32_e32 v8, v3, v6, vcc
.LBB36_11:                              ;   in Loop: Header=BB36_3 Depth=1
	s_or_b64 exec, exec, s[0:1]
	v_mad_u64_u32 v[5:6], s[0:1], v4, s33, 0
	v_mad_u64_u32 v[6:7], s[0:1], v8, s45, 0
	v_sub_co_u32_e32 v27, vcc, v0, v5
	v_sub_co_u32_e32 v26, vcc, v4, v6
	v_sub_u32_e32 v4, v27, v26
	v_add_u32_e32 v5, 2, v4
	v_ashrrev_i32_e32 v6, 31, v5
	v_cmp_lt_i64_e32 vcc, s[8:9], v[5:6]
	s_and_saveexec_b64 s[26:27], vcc
	s_cbranch_execz .LBB36_2
; %bb.12:                               ;   in Loop: Header=BB36_3 Depth=1
	s_load_dwordx2 s[28:29], s[14:15], 0x64
	s_andn2_b64 vcc, exec, s[6:7]
	s_waitcnt lgkmcnt(0)
	v_mul_lo_u32 v3, s29, v27
	v_mad_u64_u32 v[6:7], s[0:1], s28, v26, v[3:4]
	s_cbranch_vccnz .LBB36_57
; %bb.13:                               ;   in Loop: Header=BB36_3 Depth=1
	s_andn2_b64 vcc, exec, s[18:19]
	s_mov_b32 s25, s49
	s_mov_b32 s16, s47
	;; [unrolled: 1-line block ×3, first 2 shown]
	s_cbranch_vccnz .LBB36_21
.LBB36_14:                              ;   Parent Loop BB36_3 Depth=1
                                        ; =>  This Inner Loop Header: Depth=2
	s_lshl_b64 s[30:31], s[16:17], 2
	s_add_u32 s0, s42, s30
	s_addc_u32 s1, s43, s31
	s_load_dword s28, s[0:1], 0x8
                                        ; implicit-def: $vgpr10_vgpr11
	s_waitcnt lgkmcnt(0)
	s_ashr_i32 s0, s28, 31
	v_or_b32_e32 v3, s0, v9
	v_cmp_ne_u64_e32 vcc, 0, v[2:3]
	s_and_saveexec_b64 s[34:35], vcc
	s_xor_b64 s[34:35], exec, s[34:35]
	s_cbranch_execz .LBB36_16
; %bb.15:                               ;   in Loop: Header=BB36_14 Depth=2
	s_ashr_i32 s36, s0, 31
	s_add_u32 s38, s28, s36
	s_mov_b32 s37, s36
	s_addc_u32 s39, s0, s36
	s_xor_b64 s[38:39], s[38:39], s[36:37]
	v_cvt_f32_u32_e32 v3, s38
	v_cvt_f32_u32_e32 v5, s39
	s_sub_u32 s37, 0, s38
	s_subb_u32 s40, 0, s39
	v_mac_f32_e32 v3, 0x4f800000, v5
	v_rcp_f32_e32 v3, v3
	v_mul_f32_e32 v3, 0x5f7ffffc, v3
	v_mul_f32_e32 v5, 0x2f800000, v3
	v_trunc_f32_e32 v5, v5
	v_mac_f32_e32 v3, 0xcf800000, v5
	v_cvt_u32_f32_e32 v5, v5
	v_cvt_u32_f32_e32 v3, v3
	v_readfirstlane_b32 s41, v5
	v_readfirstlane_b32 s0, v3
	s_mul_i32 s1, s37, s41
	s_mul_hi_u32 s51, s37, s0
	s_mul_i32 s50, s40, s0
	s_add_i32 s1, s51, s1
	s_add_i32 s1, s1, s50
	s_mul_i32 s52, s37, s0
	s_mul_i32 s51, s0, s1
	s_mul_hi_u32 s53, s0, s52
	s_mul_hi_u32 s50, s0, s1
	s_add_u32 s51, s53, s51
	s_addc_u32 s50, 0, s50
	s_mul_hi_u32 s54, s41, s52
	s_mul_i32 s52, s41, s52
	s_add_u32 s51, s51, s52
	s_mul_hi_u32 s53, s41, s1
	s_addc_u32 s50, s50, s54
	s_addc_u32 s51, s53, 0
	s_mul_i32 s1, s41, s1
	s_add_u32 s1, s50, s1
	s_addc_u32 s50, 0, s51
	s_add_u32 s51, s0, s1
	s_cselect_b64 s[0:1], -1, 0
	s_cmp_lg_u64 s[0:1], 0
	s_addc_u32 s41, s41, s50
	s_mul_i32 s0, s37, s41
	s_mul_hi_u32 s1, s37, s51
	s_add_i32 s0, s1, s0
	s_mul_i32 s40, s40, s51
	s_add_i32 s0, s0, s40
	s_mul_i32 s37, s37, s51
	s_mul_hi_u32 s40, s41, s37
	s_mul_i32 s50, s41, s37
	s_mul_i32 s53, s51, s0
	s_mul_hi_u32 s37, s51, s37
	s_mul_hi_u32 s52, s51, s0
	s_add_u32 s37, s37, s53
	s_addc_u32 s52, 0, s52
	s_add_u32 s37, s37, s50
	s_mul_hi_u32 s1, s41, s0
	s_addc_u32 s37, s52, s40
	s_addc_u32 s1, s1, 0
	s_mul_i32 s0, s41, s0
	s_add_u32 s0, s37, s0
	s_addc_u32 s37, 0, s1
	s_add_u32 s40, s51, s0
	s_cselect_b64 s[0:1], -1, 0
	v_ashrrev_i32_e32 v3, 31, v9
	s_cmp_lg_u64 s[0:1], 0
	v_add_co_u32_e32 v5, vcc, v8, v3
	s_addc_u32 s37, s41, s37
	v_xor_b32_e32 v5, v5, v3
	v_addc_co_u32_e32 v7, vcc, v9, v3, vcc
	v_mad_u64_u32 v[9:10], s[0:1], v5, s37, 0
	v_mul_hi_u32 v11, v5, s40
	v_xor_b32_e32 v7, v7, v3
	v_xor_b32_e32 v3, s36, v3
	v_add_co_u32_e32 v13, vcc, v11, v9
	v_addc_co_u32_e32 v14, vcc, 0, v10, vcc
	v_mad_u64_u32 v[9:10], s[0:1], v7, s40, 0
	v_mad_u64_u32 v[11:12], s[0:1], v7, s37, 0
	v_add_co_u32_e32 v9, vcc, v13, v9
	v_addc_co_u32_e32 v9, vcc, v14, v10, vcc
	v_addc_co_u32_e32 v10, vcc, 0, v12, vcc
	v_add_co_u32_e32 v11, vcc, v9, v11
	v_addc_co_u32_e32 v12, vcc, 0, v10, vcc
	v_mul_lo_u32 v13, s39, v11
	v_mul_lo_u32 v14, s38, v12
	v_mad_u64_u32 v[9:10], s[0:1], s38, v11, 0
	v_add3_u32 v10, v10, v14, v13
	v_sub_u32_e32 v13, v7, v10
	v_mov_b32_e32 v14, s39
	v_sub_co_u32_e32 v5, vcc, v5, v9
	v_subb_co_u32_e64 v9, s[0:1], v13, v14, vcc
	v_subrev_co_u32_e64 v13, s[0:1], s38, v5
	v_subbrev_co_u32_e64 v9, s[0:1], 0, v9, s[0:1]
	v_cmp_le_u32_e64 s[0:1], s39, v9
	v_cndmask_b32_e64 v14, 0, -1, s[0:1]
	v_cmp_le_u32_e64 s[0:1], s38, v13
	v_cndmask_b32_e64 v13, 0, -1, s[0:1]
	v_cmp_eq_u32_e64 s[0:1], s39, v9
	v_cndmask_b32_e64 v9, v14, v13, s[0:1]
	v_add_co_u32_e64 v13, s[0:1], 2, v11
	v_subb_co_u32_e32 v7, vcc, v7, v10, vcc
	v_addc_co_u32_e64 v14, s[0:1], 0, v12, s[0:1]
	v_cmp_le_u32_e32 vcc, s39, v7
	v_add_co_u32_e64 v15, s[0:1], 1, v11
	v_cndmask_b32_e64 v10, 0, -1, vcc
	v_cmp_le_u32_e32 vcc, s38, v5
	v_addc_co_u32_e64 v16, s[0:1], 0, v12, s[0:1]
	v_cndmask_b32_e64 v5, 0, -1, vcc
	v_cmp_eq_u32_e32 vcc, s39, v7
	v_cmp_ne_u32_e64 s[0:1], 0, v9
	v_cndmask_b32_e32 v5, v10, v5, vcc
	v_cmp_ne_u32_e32 vcc, 0, v5
	v_cndmask_b32_e64 v7, v15, v13, s[0:1]
	v_cndmask_b32_e64 v9, v16, v14, s[0:1]
	v_cndmask_b32_e32 v7, v11, v7, vcc
	v_cndmask_b32_e32 v5, v12, v9, vcc
	v_xor_b32_e32 v7, v7, v3
	v_xor_b32_e32 v5, v5, v3
	v_sub_co_u32_e32 v10, vcc, v7, v3
	v_subb_co_u32_e32 v11, vcc, v5, v3, vcc
.LBB36_16:                              ;   in Loop: Header=BB36_14 Depth=2
	s_andn2_saveexec_b64 s[0:1], s[34:35]
	s_cbranch_execz .LBB36_18
; %bb.17:                               ;   in Loop: Header=BB36_14 Depth=2
	v_cvt_f32_u32_e32 v3, s28
	s_sub_i32 s34, 0, s28
	v_mov_b32_e32 v11, v2
	v_rcp_iflag_f32_e32 v3, v3
	v_mul_f32_e32 v3, 0x4f7ffffe, v3
	v_cvt_u32_f32_e32 v3, v3
	v_mul_lo_u32 v5, s34, v3
	v_mul_hi_u32 v5, v3, v5
	v_add_u32_e32 v3, v3, v5
	v_mul_hi_u32 v3, v8, v3
	v_mul_lo_u32 v5, v3, s28
	v_add_u32_e32 v7, 1, v3
	v_sub_u32_e32 v5, v8, v5
	v_subrev_u32_e32 v9, s28, v5
	v_cmp_le_u32_e32 vcc, s28, v5
	v_cndmask_b32_e32 v5, v5, v9, vcc
	v_cndmask_b32_e32 v3, v3, v7, vcc
	v_add_u32_e32 v7, 1, v3
	v_cmp_le_u32_e32 vcc, s28, v5
	v_cndmask_b32_e32 v10, v3, v7, vcc
.LBB36_18:                              ;   in Loop: Header=BB36_14 Depth=2
	s_or_b64 exec, exec, s[0:1]
	s_add_u32 s0, s4, s30
	s_addc_u32 s1, s5, s31
	v_mul_lo_u32 v3, v10, s28
	s_load_dword s0, s[0:1], 0x6c
	s_add_i32 s16, s16, -1
	s_add_i32 s25, s25, -1
	v_sub_u32_e32 v3, v8, v3
	s_cmp_lg_u32 s25, 0
	s_waitcnt lgkmcnt(0)
	v_mad_u64_u32 v[6:7], s[0:1], s0, v3, v[6:7]
	s_cbranch_scc0 .LBB36_20
; %bb.19:                               ;   in Loop: Header=BB36_14 Depth=2
	v_mov_b32_e32 v8, v10
	v_mov_b32_e32 v9, v11
	s_branch .LBB36_14
.LBB36_20:                              ;   in Loop: Header=BB36_3 Depth=1
	v_mov_b32_e32 v8, v10
	s_mov_b32 s0, s16
	v_mov_b32_e32 v9, v11
.LBB36_21:                              ;   in Loop: Header=BB36_3 Depth=1
	s_andn2_b64 vcc, exec, s[20:21]
	s_cbranch_vccnz .LBB36_57
; %bb.22:                               ;   in Loop: Header=BB36_3 Depth=1
	s_add_i32 s30, s0, -7
.LBB36_23:                              ;   Parent Loop BB36_3 Depth=1
                                        ; =>  This Inner Loop Header: Depth=2
	s_add_i32 s16, s30, 7
	s_lshl_b64 s[34:35], s[16:17], 2
	s_add_u32 s0, s42, s34
	s_addc_u32 s1, s43, s35
	s_load_dword s25, s[0:1], 0x8
                                        ; implicit-def: $vgpr10_vgpr11
	s_waitcnt lgkmcnt(0)
	s_ashr_i32 s0, s25, 31
	v_or_b32_e32 v3, s0, v9
	v_cmp_ne_u64_e32 vcc, 0, v[2:3]
	s_and_saveexec_b64 s[36:37], vcc
	s_xor_b64 s[36:37], exec, s[36:37]
	s_cbranch_execz .LBB36_25
; %bb.24:                               ;   in Loop: Header=BB36_23 Depth=2
	s_ashr_i32 s38, s0, 31
	s_add_u32 s40, s25, s38
	s_mov_b32 s39, s38
	s_addc_u32 s41, s0, s38
	s_xor_b64 s[40:41], s[40:41], s[38:39]
	v_cvt_f32_u32_e32 v3, s40
	v_cvt_f32_u32_e32 v5, s41
	s_sub_u32 s16, 0, s40
	s_subb_u32 s28, 0, s41
	v_mac_f32_e32 v3, 0x4f800000, v5
	v_rcp_f32_e32 v3, v3
	v_mul_f32_e32 v3, 0x5f7ffffc, v3
	v_mul_f32_e32 v5, 0x2f800000, v3
	v_trunc_f32_e32 v5, v5
	v_mac_f32_e32 v3, 0xcf800000, v5
	v_cvt_u32_f32_e32 v5, v5
	v_cvt_u32_f32_e32 v3, v3
	v_readfirstlane_b32 s31, v5
	v_readfirstlane_b32 s0, v3
	s_mul_i32 s1, s16, s31
	s_mul_hi_u32 s50, s16, s0
	s_mul_i32 s39, s28, s0
	s_add_i32 s1, s50, s1
	s_add_i32 s1, s1, s39
	s_mul_i32 s51, s16, s0
	s_mul_i32 s50, s0, s1
	s_mul_hi_u32 s52, s0, s51
	s_mul_hi_u32 s39, s0, s1
	s_add_u32 s50, s52, s50
	s_addc_u32 s39, 0, s39
	s_mul_hi_u32 s53, s31, s51
	s_mul_i32 s51, s31, s51
	s_add_u32 s50, s50, s51
	s_mul_hi_u32 s52, s31, s1
	s_addc_u32 s39, s39, s53
	s_addc_u32 s50, s52, 0
	s_mul_i32 s1, s31, s1
	s_add_u32 s1, s39, s1
	s_addc_u32 s39, 0, s50
	s_add_u32 s50, s0, s1
	s_cselect_b64 s[0:1], -1, 0
	s_cmp_lg_u64 s[0:1], 0
	s_addc_u32 s31, s31, s39
	s_mul_i32 s0, s16, s31
	s_mul_hi_u32 s1, s16, s50
	s_add_i32 s0, s1, s0
	s_mul_i32 s28, s28, s50
	s_add_i32 s0, s0, s28
	s_mul_i32 s16, s16, s50
	s_mul_hi_u32 s28, s31, s16
	s_mul_i32 s39, s31, s16
	s_mul_i32 s52, s50, s0
	s_mul_hi_u32 s16, s50, s16
	s_mul_hi_u32 s51, s50, s0
	s_add_u32 s16, s16, s52
	s_addc_u32 s51, 0, s51
	s_add_u32 s16, s16, s39
	s_mul_hi_u32 s1, s31, s0
	s_addc_u32 s16, s51, s28
	s_addc_u32 s1, s1, 0
	s_mul_i32 s0, s31, s0
	s_add_u32 s0, s16, s0
	s_addc_u32 s16, 0, s1
	s_add_u32 s28, s50, s0
	s_cselect_b64 s[0:1], -1, 0
	v_ashrrev_i32_e32 v3, 31, v9
	s_cmp_lg_u64 s[0:1], 0
	v_add_co_u32_e32 v5, vcc, v8, v3
	s_addc_u32 s16, s31, s16
	v_xor_b32_e32 v5, v5, v3
	v_addc_co_u32_e32 v7, vcc, v9, v3, vcc
	v_mad_u64_u32 v[9:10], s[0:1], v5, s16, 0
	v_mul_hi_u32 v11, v5, s28
	v_xor_b32_e32 v7, v7, v3
	v_xor_b32_e32 v3, s38, v3
	v_add_co_u32_e32 v13, vcc, v11, v9
	v_addc_co_u32_e32 v14, vcc, 0, v10, vcc
	v_mad_u64_u32 v[9:10], s[0:1], v7, s28, 0
	v_mad_u64_u32 v[11:12], s[0:1], v7, s16, 0
	v_add_co_u32_e32 v9, vcc, v13, v9
	v_addc_co_u32_e32 v9, vcc, v14, v10, vcc
	v_addc_co_u32_e32 v10, vcc, 0, v12, vcc
	v_add_co_u32_e32 v11, vcc, v9, v11
	v_addc_co_u32_e32 v12, vcc, 0, v10, vcc
	v_mul_lo_u32 v13, s41, v11
	v_mul_lo_u32 v14, s40, v12
	v_mad_u64_u32 v[9:10], s[0:1], s40, v11, 0
	v_add3_u32 v10, v10, v14, v13
	v_sub_u32_e32 v13, v7, v10
	v_mov_b32_e32 v14, s41
	v_sub_co_u32_e32 v5, vcc, v5, v9
	v_subb_co_u32_e64 v9, s[0:1], v13, v14, vcc
	v_subrev_co_u32_e64 v13, s[0:1], s40, v5
	v_subbrev_co_u32_e64 v9, s[0:1], 0, v9, s[0:1]
	v_cmp_le_u32_e64 s[0:1], s41, v9
	v_cndmask_b32_e64 v14, 0, -1, s[0:1]
	v_cmp_le_u32_e64 s[0:1], s40, v13
	v_cndmask_b32_e64 v13, 0, -1, s[0:1]
	v_cmp_eq_u32_e64 s[0:1], s41, v9
	v_cndmask_b32_e64 v9, v14, v13, s[0:1]
	v_add_co_u32_e64 v13, s[0:1], 2, v11
	v_subb_co_u32_e32 v7, vcc, v7, v10, vcc
	v_addc_co_u32_e64 v14, s[0:1], 0, v12, s[0:1]
	v_cmp_le_u32_e32 vcc, s41, v7
	v_add_co_u32_e64 v15, s[0:1], 1, v11
	v_cndmask_b32_e64 v10, 0, -1, vcc
	v_cmp_le_u32_e32 vcc, s40, v5
	v_addc_co_u32_e64 v16, s[0:1], 0, v12, s[0:1]
	v_cndmask_b32_e64 v5, 0, -1, vcc
	v_cmp_eq_u32_e32 vcc, s41, v7
	v_cmp_ne_u32_e64 s[0:1], 0, v9
	v_cndmask_b32_e32 v5, v10, v5, vcc
	v_cmp_ne_u32_e32 vcc, 0, v5
	v_cndmask_b32_e64 v7, v15, v13, s[0:1]
	v_cndmask_b32_e64 v9, v16, v14, s[0:1]
	v_cndmask_b32_e32 v7, v11, v7, vcc
	v_cndmask_b32_e32 v5, v12, v9, vcc
	v_xor_b32_e32 v7, v7, v3
	v_xor_b32_e32 v5, v5, v3
	v_sub_co_u32_e32 v10, vcc, v7, v3
	v_subb_co_u32_e32 v11, vcc, v5, v3, vcc
.LBB36_25:                              ;   in Loop: Header=BB36_23 Depth=2
	s_andn2_saveexec_b64 s[0:1], s[36:37]
	s_cbranch_execz .LBB36_27
; %bb.26:                               ;   in Loop: Header=BB36_23 Depth=2
	v_cvt_f32_u32_e32 v3, s25
	s_sub_i32 s16, 0, s25
	v_mov_b32_e32 v11, v2
	v_rcp_iflag_f32_e32 v3, v3
	v_mul_f32_e32 v3, 0x4f7ffffe, v3
	v_cvt_u32_f32_e32 v3, v3
	v_mul_lo_u32 v5, s16, v3
	v_mul_hi_u32 v5, v3, v5
	v_add_u32_e32 v3, v3, v5
	v_mul_hi_u32 v3, v8, v3
	v_mul_lo_u32 v5, v3, s25
	v_add_u32_e32 v7, 1, v3
	v_sub_u32_e32 v5, v8, v5
	v_subrev_u32_e32 v9, s25, v5
	v_cmp_le_u32_e32 vcc, s25, v5
	v_cndmask_b32_e32 v5, v5, v9, vcc
	v_cndmask_b32_e32 v3, v3, v7, vcc
	v_add_u32_e32 v7, 1, v3
	v_cmp_le_u32_e32 vcc, s25, v5
	v_cndmask_b32_e32 v10, v3, v7, vcc
.LBB36_27:                              ;   in Loop: Header=BB36_23 Depth=2
	s_or_b64 exec, exec, s[0:1]
	s_add_u32 s0, s4, s34
	s_addc_u32 s1, s5, s35
	s_add_i32 s16, s30, 6
	s_lshl_b64 s[34:35], s[16:17], 2
	s_add_u32 s36, s42, s34
	s_addc_u32 s37, s43, s35
	s_load_dword s50, s[36:37], 0x8
	s_load_dword s28, s[0:1], 0x6c
                                        ; implicit-def: $vgpr12_vgpr13
	s_waitcnt lgkmcnt(0)
	s_ashr_i32 s0, s50, 31
	v_or_b32_e32 v3, s0, v11
	v_cmp_ne_u64_e32 vcc, 0, v[2:3]
	s_and_saveexec_b64 s[36:37], vcc
	s_xor_b64 s[36:37], exec, s[36:37]
	s_cbranch_execz .LBB36_29
; %bb.28:                               ;   in Loop: Header=BB36_23 Depth=2
	s_ashr_i32 s38, s0, 31
	s_add_u32 s40, s50, s38
	s_mov_b32 s39, s38
	s_addc_u32 s41, s0, s38
	s_xor_b64 s[40:41], s[40:41], s[38:39]
	v_cvt_f32_u32_e32 v3, s40
	v_cvt_f32_u32_e32 v5, s41
	s_sub_u32 s16, 0, s40
	s_subb_u32 s31, 0, s41
	v_mac_f32_e32 v3, 0x4f800000, v5
	v_rcp_f32_e32 v3, v3
	v_mul_f32_e32 v3, 0x5f7ffffc, v3
	v_mul_f32_e32 v5, 0x2f800000, v3
	v_trunc_f32_e32 v5, v5
	v_mac_f32_e32 v3, 0xcf800000, v5
	v_cvt_u32_f32_e32 v5, v5
	v_cvt_u32_f32_e32 v3, v3
	v_readfirstlane_b32 s39, v5
	v_readfirstlane_b32 s0, v3
	s_mul_i32 s1, s16, s39
	s_mul_hi_u32 s52, s16, s0
	s_mul_i32 s51, s31, s0
	s_add_i32 s1, s52, s1
	s_add_i32 s1, s1, s51
	s_mul_i32 s53, s16, s0
	s_mul_i32 s52, s0, s1
	s_mul_hi_u32 s54, s0, s53
	s_mul_hi_u32 s51, s0, s1
	s_add_u32 s52, s54, s52
	s_addc_u32 s51, 0, s51
	s_mul_hi_u32 s55, s39, s53
	s_mul_i32 s53, s39, s53
	s_add_u32 s52, s52, s53
	s_mul_hi_u32 s54, s39, s1
	s_addc_u32 s51, s51, s55
	s_addc_u32 s52, s54, 0
	s_mul_i32 s1, s39, s1
	s_add_u32 s1, s51, s1
	s_addc_u32 s51, 0, s52
	s_add_u32 s52, s0, s1
	s_cselect_b64 s[0:1], -1, 0
	s_cmp_lg_u64 s[0:1], 0
	s_addc_u32 s39, s39, s51
	s_mul_i32 s0, s16, s39
	s_mul_hi_u32 s1, s16, s52
	s_add_i32 s0, s1, s0
	s_mul_i32 s31, s31, s52
	s_add_i32 s0, s0, s31
	s_mul_i32 s16, s16, s52
	s_mul_hi_u32 s31, s39, s16
	s_mul_i32 s51, s39, s16
	s_mul_i32 s54, s52, s0
	s_mul_hi_u32 s16, s52, s16
	s_mul_hi_u32 s53, s52, s0
	s_add_u32 s16, s16, s54
	s_addc_u32 s53, 0, s53
	s_add_u32 s16, s16, s51
	s_mul_hi_u32 s1, s39, s0
	s_addc_u32 s16, s53, s31
	s_addc_u32 s1, s1, 0
	s_mul_i32 s0, s39, s0
	s_add_u32 s0, s16, s0
	s_addc_u32 s16, 0, s1
	s_add_u32 s31, s52, s0
	s_cselect_b64 s[0:1], -1, 0
	v_ashrrev_i32_e32 v3, 31, v11
	s_cmp_lg_u64 s[0:1], 0
	v_add_co_u32_e32 v5, vcc, v10, v3
	s_addc_u32 s16, s39, s16
	v_xor_b32_e32 v5, v5, v3
	v_addc_co_u32_e32 v7, vcc, v11, v3, vcc
	v_mad_u64_u32 v[11:12], s[0:1], v5, s16, 0
	v_mul_hi_u32 v9, v5, s31
	v_xor_b32_e32 v7, v7, v3
	v_mad_u64_u32 v[13:14], s[0:1], v7, s16, 0
	v_add_co_u32_e32 v9, vcc, v9, v11
	v_addc_co_u32_e32 v15, vcc, 0, v12, vcc
	v_mad_u64_u32 v[11:12], s[0:1], v7, s31, 0
	v_xor_b32_e32 v3, s38, v3
	v_add_co_u32_e32 v9, vcc, v9, v11
	v_addc_co_u32_e32 v9, vcc, v15, v12, vcc
	v_addc_co_u32_e32 v11, vcc, 0, v14, vcc
	v_add_co_u32_e32 v9, vcc, v9, v13
	v_addc_co_u32_e32 v13, vcc, 0, v11, vcc
	v_mul_lo_u32 v14, s41, v9
	v_mul_lo_u32 v15, s40, v13
	v_mad_u64_u32 v[11:12], s[0:1], s40, v9, 0
	v_add3_u32 v12, v12, v15, v14
	v_sub_u32_e32 v14, v7, v12
	v_mov_b32_e32 v15, s41
	v_sub_co_u32_e32 v5, vcc, v5, v11
	v_subb_co_u32_e64 v11, s[0:1], v14, v15, vcc
	v_subrev_co_u32_e64 v14, s[0:1], s40, v5
	v_subbrev_co_u32_e64 v11, s[0:1], 0, v11, s[0:1]
	v_cmp_le_u32_e64 s[0:1], s41, v11
	v_cndmask_b32_e64 v15, 0, -1, s[0:1]
	v_cmp_le_u32_e64 s[0:1], s40, v14
	v_cndmask_b32_e64 v14, 0, -1, s[0:1]
	v_cmp_eq_u32_e64 s[0:1], s41, v11
	v_cndmask_b32_e64 v11, v15, v14, s[0:1]
	v_add_co_u32_e64 v14, s[0:1], 2, v9
	v_subb_co_u32_e32 v7, vcc, v7, v12, vcc
	v_addc_co_u32_e64 v15, s[0:1], 0, v13, s[0:1]
	v_cmp_le_u32_e32 vcc, s41, v7
	v_add_co_u32_e64 v16, s[0:1], 1, v9
	v_cndmask_b32_e64 v12, 0, -1, vcc
	v_cmp_le_u32_e32 vcc, s40, v5
	v_addc_co_u32_e64 v17, s[0:1], 0, v13, s[0:1]
	v_cndmask_b32_e64 v5, 0, -1, vcc
	v_cmp_eq_u32_e32 vcc, s41, v7
	v_cmp_ne_u32_e64 s[0:1], 0, v11
	v_cndmask_b32_e32 v5, v12, v5, vcc
	v_cmp_ne_u32_e32 vcc, 0, v5
	v_cndmask_b32_e64 v7, v16, v14, s[0:1]
	v_cndmask_b32_e64 v11, v17, v15, s[0:1]
	v_cndmask_b32_e32 v7, v9, v7, vcc
	v_cndmask_b32_e32 v5, v13, v11, vcc
	v_xor_b32_e32 v7, v7, v3
	v_xor_b32_e32 v5, v5, v3
	v_sub_co_u32_e32 v12, vcc, v7, v3
	v_subb_co_u32_e32 v13, vcc, v5, v3, vcc
.LBB36_29:                              ;   in Loop: Header=BB36_23 Depth=2
	s_andn2_saveexec_b64 s[0:1], s[36:37]
	s_cbranch_execz .LBB36_31
; %bb.30:                               ;   in Loop: Header=BB36_23 Depth=2
	v_cvt_f32_u32_e32 v3, s50
	s_sub_i32 s16, 0, s50
	v_mov_b32_e32 v13, v2
	v_rcp_iflag_f32_e32 v3, v3
	v_mul_f32_e32 v3, 0x4f7ffffe, v3
	v_cvt_u32_f32_e32 v3, v3
	v_mul_lo_u32 v5, s16, v3
	v_mul_hi_u32 v5, v3, v5
	v_add_u32_e32 v3, v3, v5
	v_mul_hi_u32 v3, v10, v3
	v_mul_lo_u32 v5, v3, s50
	v_add_u32_e32 v7, 1, v3
	v_sub_u32_e32 v5, v10, v5
	v_subrev_u32_e32 v9, s50, v5
	v_cmp_le_u32_e32 vcc, s50, v5
	v_cndmask_b32_e32 v5, v5, v9, vcc
	v_cndmask_b32_e32 v3, v3, v7, vcc
	v_add_u32_e32 v7, 1, v3
	v_cmp_le_u32_e32 vcc, s50, v5
	v_cndmask_b32_e32 v12, v3, v7, vcc
.LBB36_31:                              ;   in Loop: Header=BB36_23 Depth=2
	s_or_b64 exec, exec, s[0:1]
	s_add_u32 s0, s4, s34
	s_addc_u32 s1, s5, s35
	s_add_i32 s16, s30, 5
	s_lshl_b64 s[34:35], s[16:17], 2
	s_add_u32 s36, s42, s34
	s_addc_u32 s37, s43, s35
	s_load_dword s52, s[36:37], 0x8
	s_load_dword s51, s[0:1], 0x6c
                                        ; implicit-def: $vgpr14_vgpr15
	s_waitcnt lgkmcnt(0)
	s_ashr_i32 s0, s52, 31
	v_or_b32_e32 v3, s0, v13
	v_cmp_ne_u64_e32 vcc, 0, v[2:3]
	s_and_saveexec_b64 s[36:37], vcc
	s_xor_b64 s[36:37], exec, s[36:37]
	s_cbranch_execz .LBB36_33
; %bb.32:                               ;   in Loop: Header=BB36_23 Depth=2
	s_ashr_i32 s38, s0, 31
	s_add_u32 s40, s52, s38
	s_mov_b32 s39, s38
	s_addc_u32 s41, s0, s38
	s_xor_b64 s[40:41], s[40:41], s[38:39]
	v_cvt_f32_u32_e32 v3, s40
	v_cvt_f32_u32_e32 v5, s41
	s_sub_u32 s16, 0, s40
	s_subb_u32 s31, 0, s41
	v_mac_f32_e32 v3, 0x4f800000, v5
	v_rcp_f32_e32 v3, v3
	v_mul_f32_e32 v3, 0x5f7ffffc, v3
	v_mul_f32_e32 v5, 0x2f800000, v3
	v_trunc_f32_e32 v5, v5
	v_mac_f32_e32 v3, 0xcf800000, v5
	v_cvt_u32_f32_e32 v5, v5
	v_cvt_u32_f32_e32 v3, v3
	v_readfirstlane_b32 s39, v5
	v_readfirstlane_b32 s0, v3
	s_mul_i32 s1, s16, s39
	s_mul_hi_u32 s54, s16, s0
	s_mul_i32 s53, s31, s0
	s_add_i32 s1, s54, s1
	s_add_i32 s1, s1, s53
	s_mul_i32 s55, s16, s0
	s_mul_i32 s54, s0, s1
	s_mul_hi_u32 s56, s0, s55
	s_mul_hi_u32 s53, s0, s1
	s_add_u32 s54, s56, s54
	s_addc_u32 s53, 0, s53
	s_mul_hi_u32 s57, s39, s55
	s_mul_i32 s55, s39, s55
	s_add_u32 s54, s54, s55
	s_mul_hi_u32 s56, s39, s1
	s_addc_u32 s53, s53, s57
	s_addc_u32 s54, s56, 0
	s_mul_i32 s1, s39, s1
	s_add_u32 s1, s53, s1
	s_addc_u32 s53, 0, s54
	s_add_u32 s54, s0, s1
	s_cselect_b64 s[0:1], -1, 0
	s_cmp_lg_u64 s[0:1], 0
	s_addc_u32 s39, s39, s53
	s_mul_i32 s0, s16, s39
	s_mul_hi_u32 s1, s16, s54
	s_add_i32 s0, s1, s0
	s_mul_i32 s31, s31, s54
	s_add_i32 s0, s0, s31
	s_mul_i32 s16, s16, s54
	s_mul_hi_u32 s31, s39, s16
	s_mul_i32 s53, s39, s16
	s_mul_i32 s56, s54, s0
	s_mul_hi_u32 s16, s54, s16
	s_mul_hi_u32 s55, s54, s0
	s_add_u32 s16, s16, s56
	s_addc_u32 s55, 0, s55
	s_add_u32 s16, s16, s53
	s_mul_hi_u32 s1, s39, s0
	s_addc_u32 s16, s55, s31
	s_addc_u32 s1, s1, 0
	s_mul_i32 s0, s39, s0
	s_add_u32 s0, s16, s0
	s_addc_u32 s16, 0, s1
	s_add_u32 s31, s54, s0
	s_cselect_b64 s[0:1], -1, 0
	v_ashrrev_i32_e32 v3, 31, v13
	s_cmp_lg_u64 s[0:1], 0
	v_add_co_u32_e32 v5, vcc, v12, v3
	s_addc_u32 s16, s39, s16
	v_xor_b32_e32 v5, v5, v3
	v_addc_co_u32_e32 v7, vcc, v13, v3, vcc
	v_mad_u64_u32 v[13:14], s[0:1], v5, s16, 0
	v_mul_hi_u32 v9, v5, s31
	v_xor_b32_e32 v7, v7, v3
	v_mad_u64_u32 v[15:16], s[0:1], v7, s16, 0
	v_add_co_u32_e32 v9, vcc, v9, v13
	v_addc_co_u32_e32 v11, vcc, 0, v14, vcc
	v_mad_u64_u32 v[13:14], s[0:1], v7, s31, 0
	v_xor_b32_e32 v3, s38, v3
	v_add_co_u32_e32 v9, vcc, v9, v13
	v_addc_co_u32_e32 v9, vcc, v11, v14, vcc
	v_addc_co_u32_e32 v11, vcc, 0, v16, vcc
	v_add_co_u32_e32 v9, vcc, v9, v15
	v_addc_co_u32_e32 v11, vcc, 0, v11, vcc
	v_mul_lo_u32 v15, s41, v9
	v_mul_lo_u32 v16, s40, v11
	v_mad_u64_u32 v[13:14], s[0:1], s40, v9, 0
	v_add3_u32 v14, v14, v16, v15
	v_sub_u32_e32 v15, v7, v14
	v_mov_b32_e32 v16, s41
	v_sub_co_u32_e32 v5, vcc, v5, v13
	v_subb_co_u32_e64 v13, s[0:1], v15, v16, vcc
	v_subrev_co_u32_e64 v15, s[0:1], s40, v5
	v_subbrev_co_u32_e64 v13, s[0:1], 0, v13, s[0:1]
	v_cmp_le_u32_e64 s[0:1], s41, v13
	v_cndmask_b32_e64 v16, 0, -1, s[0:1]
	v_cmp_le_u32_e64 s[0:1], s40, v15
	v_cndmask_b32_e64 v15, 0, -1, s[0:1]
	v_cmp_eq_u32_e64 s[0:1], s41, v13
	v_cndmask_b32_e64 v13, v16, v15, s[0:1]
	v_add_co_u32_e64 v15, s[0:1], 2, v9
	v_subb_co_u32_e32 v7, vcc, v7, v14, vcc
	v_addc_co_u32_e64 v16, s[0:1], 0, v11, s[0:1]
	v_cmp_le_u32_e32 vcc, s41, v7
	v_add_co_u32_e64 v17, s[0:1], 1, v9
	v_cndmask_b32_e64 v14, 0, -1, vcc
	v_cmp_le_u32_e32 vcc, s40, v5
	v_addc_co_u32_e64 v18, s[0:1], 0, v11, s[0:1]
	v_cndmask_b32_e64 v5, 0, -1, vcc
	v_cmp_eq_u32_e32 vcc, s41, v7
	v_cmp_ne_u32_e64 s[0:1], 0, v13
	v_cndmask_b32_e32 v5, v14, v5, vcc
	v_cmp_ne_u32_e32 vcc, 0, v5
	v_cndmask_b32_e64 v7, v17, v15, s[0:1]
	v_cndmask_b32_e64 v13, v18, v16, s[0:1]
	v_cndmask_b32_e32 v7, v9, v7, vcc
	v_cndmask_b32_e32 v5, v11, v13, vcc
	v_xor_b32_e32 v7, v7, v3
	v_xor_b32_e32 v5, v5, v3
	v_sub_co_u32_e32 v14, vcc, v7, v3
	v_subb_co_u32_e32 v15, vcc, v5, v3, vcc
.LBB36_33:                              ;   in Loop: Header=BB36_23 Depth=2
	s_andn2_saveexec_b64 s[0:1], s[36:37]
	s_cbranch_execz .LBB36_35
; %bb.34:                               ;   in Loop: Header=BB36_23 Depth=2
	v_cvt_f32_u32_e32 v3, s52
	s_sub_i32 s16, 0, s52
	v_mov_b32_e32 v15, v2
	v_rcp_iflag_f32_e32 v3, v3
	v_mul_f32_e32 v3, 0x4f7ffffe, v3
	v_cvt_u32_f32_e32 v3, v3
	v_mul_lo_u32 v5, s16, v3
	v_mul_hi_u32 v5, v3, v5
	v_add_u32_e32 v3, v3, v5
	v_mul_hi_u32 v3, v12, v3
	v_mul_lo_u32 v5, v3, s52
	v_add_u32_e32 v7, 1, v3
	v_sub_u32_e32 v5, v12, v5
	v_subrev_u32_e32 v9, s52, v5
	v_cmp_le_u32_e32 vcc, s52, v5
	v_cndmask_b32_e32 v5, v5, v9, vcc
	v_cndmask_b32_e32 v3, v3, v7, vcc
	v_add_u32_e32 v7, 1, v3
	v_cmp_le_u32_e32 vcc, s52, v5
	v_cndmask_b32_e32 v14, v3, v7, vcc
.LBB36_35:                              ;   in Loop: Header=BB36_23 Depth=2
	s_or_b64 exec, exec, s[0:1]
	s_add_u32 s0, s4, s34
	s_addc_u32 s1, s5, s35
	s_add_i32 s16, s30, 4
	s_lshl_b64 s[34:35], s[16:17], 2
	s_add_u32 s36, s42, s34
	s_addc_u32 s37, s43, s35
	s_load_dword s54, s[36:37], 0x8
	s_load_dword s53, s[0:1], 0x6c
                                        ; implicit-def: $vgpr16_vgpr17
	s_waitcnt lgkmcnt(0)
	s_ashr_i32 s0, s54, 31
	v_or_b32_e32 v3, s0, v15
	v_cmp_ne_u64_e32 vcc, 0, v[2:3]
	s_and_saveexec_b64 s[36:37], vcc
	s_xor_b64 s[36:37], exec, s[36:37]
	s_cbranch_execz .LBB36_37
; %bb.36:                               ;   in Loop: Header=BB36_23 Depth=2
	s_ashr_i32 s38, s0, 31
	s_add_u32 s40, s54, s38
	s_mov_b32 s39, s38
	s_addc_u32 s41, s0, s38
	s_xor_b64 s[40:41], s[40:41], s[38:39]
	v_cvt_f32_u32_e32 v3, s40
	v_cvt_f32_u32_e32 v5, s41
	s_sub_u32 s16, 0, s40
	s_subb_u32 s31, 0, s41
	v_mac_f32_e32 v3, 0x4f800000, v5
	v_rcp_f32_e32 v3, v3
	v_mul_f32_e32 v3, 0x5f7ffffc, v3
	v_mul_f32_e32 v5, 0x2f800000, v3
	v_trunc_f32_e32 v5, v5
	v_mac_f32_e32 v3, 0xcf800000, v5
	v_cvt_u32_f32_e32 v5, v5
	v_cvt_u32_f32_e32 v3, v3
	v_readfirstlane_b32 s39, v5
	v_readfirstlane_b32 s0, v3
	s_mul_i32 s1, s16, s39
	s_mul_hi_u32 s56, s16, s0
	s_mul_i32 s55, s31, s0
	s_add_i32 s1, s56, s1
	s_add_i32 s1, s1, s55
	s_mul_i32 s57, s16, s0
	s_mul_i32 s56, s0, s1
	s_mul_hi_u32 s58, s0, s57
	s_mul_hi_u32 s55, s0, s1
	s_add_u32 s56, s58, s56
	s_addc_u32 s55, 0, s55
	s_mul_hi_u32 s59, s39, s57
	s_mul_i32 s57, s39, s57
	s_add_u32 s56, s56, s57
	s_mul_hi_u32 s58, s39, s1
	s_addc_u32 s55, s55, s59
	s_addc_u32 s56, s58, 0
	s_mul_i32 s1, s39, s1
	s_add_u32 s1, s55, s1
	s_addc_u32 s55, 0, s56
	s_add_u32 s56, s0, s1
	s_cselect_b64 s[0:1], -1, 0
	s_cmp_lg_u64 s[0:1], 0
	s_addc_u32 s39, s39, s55
	s_mul_i32 s0, s16, s39
	s_mul_hi_u32 s1, s16, s56
	s_add_i32 s0, s1, s0
	s_mul_i32 s31, s31, s56
	s_add_i32 s0, s0, s31
	s_mul_i32 s16, s16, s56
	s_mul_hi_u32 s31, s39, s16
	s_mul_i32 s55, s39, s16
	s_mul_i32 s58, s56, s0
	s_mul_hi_u32 s16, s56, s16
	s_mul_hi_u32 s57, s56, s0
	s_add_u32 s16, s16, s58
	s_addc_u32 s57, 0, s57
	s_add_u32 s16, s16, s55
	s_mul_hi_u32 s1, s39, s0
	s_addc_u32 s16, s57, s31
	s_addc_u32 s1, s1, 0
	s_mul_i32 s0, s39, s0
	s_add_u32 s0, s16, s0
	s_addc_u32 s16, 0, s1
	s_add_u32 s31, s56, s0
	s_cselect_b64 s[0:1], -1, 0
	v_ashrrev_i32_e32 v3, 31, v15
	s_cmp_lg_u64 s[0:1], 0
	v_add_co_u32_e32 v5, vcc, v14, v3
	s_addc_u32 s16, s39, s16
	v_xor_b32_e32 v5, v5, v3
	v_addc_co_u32_e32 v7, vcc, v15, v3, vcc
	v_mad_u64_u32 v[15:16], s[0:1], v5, s16, 0
	v_mul_hi_u32 v9, v5, s31
	v_xor_b32_e32 v7, v7, v3
	v_mad_u64_u32 v[17:18], s[0:1], v7, s16, 0
	v_add_co_u32_e32 v9, vcc, v9, v15
	v_addc_co_u32_e32 v11, vcc, 0, v16, vcc
	v_mad_u64_u32 v[15:16], s[0:1], v7, s31, 0
	v_xor_b32_e32 v3, s38, v3
	v_add_co_u32_e32 v9, vcc, v9, v15
	v_addc_co_u32_e32 v9, vcc, v11, v16, vcc
	v_addc_co_u32_e32 v11, vcc, 0, v18, vcc
	v_add_co_u32_e32 v9, vcc, v9, v17
	v_addc_co_u32_e32 v11, vcc, 0, v11, vcc
	v_mul_lo_u32 v13, s41, v9
	v_mul_lo_u32 v17, s40, v11
	v_mad_u64_u32 v[15:16], s[0:1], s40, v9, 0
	v_add3_u32 v13, v16, v17, v13
	v_sub_u32_e32 v16, v7, v13
	v_mov_b32_e32 v17, s41
	v_sub_co_u32_e32 v5, vcc, v5, v15
	v_subb_co_u32_e64 v15, s[0:1], v16, v17, vcc
	v_subrev_co_u32_e64 v16, s[0:1], s40, v5
	v_subbrev_co_u32_e64 v15, s[0:1], 0, v15, s[0:1]
	v_cmp_le_u32_e64 s[0:1], s41, v15
	v_cndmask_b32_e64 v17, 0, -1, s[0:1]
	v_cmp_le_u32_e64 s[0:1], s40, v16
	v_cndmask_b32_e64 v16, 0, -1, s[0:1]
	v_cmp_eq_u32_e64 s[0:1], s41, v15
	v_cndmask_b32_e64 v15, v17, v16, s[0:1]
	v_add_co_u32_e64 v16, s[0:1], 2, v9
	v_subb_co_u32_e32 v7, vcc, v7, v13, vcc
	v_addc_co_u32_e64 v17, s[0:1], 0, v11, s[0:1]
	v_cmp_le_u32_e32 vcc, s41, v7
	v_add_co_u32_e64 v18, s[0:1], 1, v9
	v_cndmask_b32_e64 v13, 0, -1, vcc
	v_cmp_le_u32_e32 vcc, s40, v5
	v_addc_co_u32_e64 v19, s[0:1], 0, v11, s[0:1]
	v_cndmask_b32_e64 v5, 0, -1, vcc
	v_cmp_eq_u32_e32 vcc, s41, v7
	v_cmp_ne_u32_e64 s[0:1], 0, v15
	v_cndmask_b32_e32 v5, v13, v5, vcc
	v_cmp_ne_u32_e32 vcc, 0, v5
	v_cndmask_b32_e64 v7, v18, v16, s[0:1]
	v_cndmask_b32_e64 v15, v19, v17, s[0:1]
	v_cndmask_b32_e32 v7, v9, v7, vcc
	v_cndmask_b32_e32 v5, v11, v15, vcc
	v_xor_b32_e32 v7, v7, v3
	v_xor_b32_e32 v5, v5, v3
	v_sub_co_u32_e32 v16, vcc, v7, v3
	v_subb_co_u32_e32 v17, vcc, v5, v3, vcc
.LBB36_37:                              ;   in Loop: Header=BB36_23 Depth=2
	s_andn2_saveexec_b64 s[0:1], s[36:37]
	s_cbranch_execz .LBB36_39
; %bb.38:                               ;   in Loop: Header=BB36_23 Depth=2
	v_cvt_f32_u32_e32 v3, s54
	s_sub_i32 s16, 0, s54
	v_mov_b32_e32 v17, v2
	v_rcp_iflag_f32_e32 v3, v3
	v_mul_f32_e32 v3, 0x4f7ffffe, v3
	v_cvt_u32_f32_e32 v3, v3
	v_mul_lo_u32 v5, s16, v3
	v_mul_hi_u32 v5, v3, v5
	v_add_u32_e32 v3, v3, v5
	v_mul_hi_u32 v3, v14, v3
	v_mul_lo_u32 v5, v3, s54
	v_add_u32_e32 v7, 1, v3
	v_sub_u32_e32 v5, v14, v5
	v_subrev_u32_e32 v9, s54, v5
	v_cmp_le_u32_e32 vcc, s54, v5
	v_cndmask_b32_e32 v5, v5, v9, vcc
	v_cndmask_b32_e32 v3, v3, v7, vcc
	v_add_u32_e32 v7, 1, v3
	v_cmp_le_u32_e32 vcc, s54, v5
	v_cndmask_b32_e32 v16, v3, v7, vcc
.LBB36_39:                              ;   in Loop: Header=BB36_23 Depth=2
	s_or_b64 exec, exec, s[0:1]
	s_add_u32 s0, s4, s34
	s_addc_u32 s1, s5, s35
	s_add_i32 s16, s30, 3
	s_lshl_b64 s[34:35], s[16:17], 2
	s_add_u32 s36, s42, s34
	s_addc_u32 s37, s43, s35
	s_load_dword s55, s[36:37], 0x8
	s_load_dword s56, s[0:1], 0x6c
                                        ; implicit-def: $vgpr18_vgpr19
	s_waitcnt lgkmcnt(0)
	s_ashr_i32 s0, s55, 31
	v_or_b32_e32 v3, s0, v17
	v_cmp_ne_u64_e32 vcc, 0, v[2:3]
	s_and_saveexec_b64 s[36:37], vcc
	s_xor_b64 s[36:37], exec, s[36:37]
	s_cbranch_execz .LBB36_41
; %bb.40:                               ;   in Loop: Header=BB36_23 Depth=2
	s_ashr_i32 s38, s0, 31
	s_add_u32 s40, s55, s38
	s_mov_b32 s39, s38
	s_addc_u32 s41, s0, s38
	s_xor_b64 s[40:41], s[40:41], s[38:39]
	v_cvt_f32_u32_e32 v3, s40
	v_cvt_f32_u32_e32 v5, s41
	s_sub_u32 s16, 0, s40
	s_subb_u32 s31, 0, s41
	v_mac_f32_e32 v3, 0x4f800000, v5
	v_rcp_f32_e32 v3, v3
	v_mul_f32_e32 v3, 0x5f7ffffc, v3
	v_mul_f32_e32 v5, 0x2f800000, v3
	v_trunc_f32_e32 v5, v5
	v_mac_f32_e32 v3, 0xcf800000, v5
	v_cvt_u32_f32_e32 v5, v5
	v_cvt_u32_f32_e32 v3, v3
	v_readfirstlane_b32 s39, v5
	v_readfirstlane_b32 s0, v3
	s_mul_i32 s1, s16, s39
	s_mul_hi_u32 s58, s16, s0
	s_mul_i32 s57, s31, s0
	s_add_i32 s1, s58, s1
	s_add_i32 s1, s1, s57
	s_mul_i32 s59, s16, s0
	s_mul_i32 s58, s0, s1
	s_mul_hi_u32 s60, s0, s59
	s_mul_hi_u32 s57, s0, s1
	s_add_u32 s58, s60, s58
	s_addc_u32 s57, 0, s57
	s_mul_hi_u32 s61, s39, s59
	s_mul_i32 s59, s39, s59
	s_add_u32 s58, s58, s59
	s_mul_hi_u32 s60, s39, s1
	s_addc_u32 s57, s57, s61
	s_addc_u32 s58, s60, 0
	s_mul_i32 s1, s39, s1
	s_add_u32 s1, s57, s1
	s_addc_u32 s57, 0, s58
	s_add_u32 s58, s0, s1
	s_cselect_b64 s[0:1], -1, 0
	s_cmp_lg_u64 s[0:1], 0
	s_addc_u32 s39, s39, s57
	s_mul_i32 s0, s16, s39
	s_mul_hi_u32 s1, s16, s58
	s_add_i32 s0, s1, s0
	s_mul_i32 s31, s31, s58
	s_add_i32 s0, s0, s31
	s_mul_i32 s16, s16, s58
	s_mul_hi_u32 s31, s39, s16
	s_mul_i32 s57, s39, s16
	s_mul_i32 s60, s58, s0
	s_mul_hi_u32 s16, s58, s16
	s_mul_hi_u32 s59, s58, s0
	s_add_u32 s16, s16, s60
	s_addc_u32 s59, 0, s59
	s_add_u32 s16, s16, s57
	s_mul_hi_u32 s1, s39, s0
	s_addc_u32 s16, s59, s31
	s_addc_u32 s1, s1, 0
	s_mul_i32 s0, s39, s0
	s_add_u32 s0, s16, s0
	s_addc_u32 s16, 0, s1
	s_add_u32 s31, s58, s0
	s_cselect_b64 s[0:1], -1, 0
	v_ashrrev_i32_e32 v3, 31, v17
	s_cmp_lg_u64 s[0:1], 0
	v_add_co_u32_e32 v5, vcc, v16, v3
	s_addc_u32 s16, s39, s16
	v_xor_b32_e32 v5, v5, v3
	v_addc_co_u32_e32 v7, vcc, v17, v3, vcc
	v_mad_u64_u32 v[17:18], s[0:1], v5, s16, 0
	v_mul_hi_u32 v9, v5, s31
	v_xor_b32_e32 v7, v7, v3
	v_mad_u64_u32 v[19:20], s[0:1], v7, s16, 0
	v_add_co_u32_e32 v9, vcc, v9, v17
	v_addc_co_u32_e32 v11, vcc, 0, v18, vcc
	v_mad_u64_u32 v[17:18], s[0:1], v7, s31, 0
	v_xor_b32_e32 v3, s38, v3
	v_add_co_u32_e32 v9, vcc, v9, v17
	v_addc_co_u32_e32 v9, vcc, v11, v18, vcc
	v_addc_co_u32_e32 v11, vcc, 0, v20, vcc
	v_add_co_u32_e32 v9, vcc, v9, v19
	v_addc_co_u32_e32 v11, vcc, 0, v11, vcc
	v_mul_lo_u32 v13, s41, v9
	v_mul_lo_u32 v15, s40, v11
	v_mad_u64_u32 v[17:18], s[0:1], s40, v9, 0
	v_add3_u32 v13, v18, v15, v13
	v_sub_u32_e32 v15, v7, v13
	v_mov_b32_e32 v18, s41
	v_sub_co_u32_e32 v5, vcc, v5, v17
	v_subb_co_u32_e64 v15, s[0:1], v15, v18, vcc
	v_subrev_co_u32_e64 v17, s[0:1], s40, v5
	v_subbrev_co_u32_e64 v15, s[0:1], 0, v15, s[0:1]
	v_cmp_le_u32_e64 s[0:1], s41, v15
	v_cndmask_b32_e64 v18, 0, -1, s[0:1]
	v_cmp_le_u32_e64 s[0:1], s40, v17
	v_cndmask_b32_e64 v17, 0, -1, s[0:1]
	v_cmp_eq_u32_e64 s[0:1], s41, v15
	v_cndmask_b32_e64 v15, v18, v17, s[0:1]
	v_add_co_u32_e64 v17, s[0:1], 2, v9
	v_subb_co_u32_e32 v7, vcc, v7, v13, vcc
	v_addc_co_u32_e64 v18, s[0:1], 0, v11, s[0:1]
	v_cmp_le_u32_e32 vcc, s41, v7
	v_add_co_u32_e64 v19, s[0:1], 1, v9
	v_cndmask_b32_e64 v13, 0, -1, vcc
	v_cmp_le_u32_e32 vcc, s40, v5
	v_addc_co_u32_e64 v20, s[0:1], 0, v11, s[0:1]
	v_cndmask_b32_e64 v5, 0, -1, vcc
	v_cmp_eq_u32_e32 vcc, s41, v7
	v_cmp_ne_u32_e64 s[0:1], 0, v15
	v_cndmask_b32_e32 v5, v13, v5, vcc
	v_cmp_ne_u32_e32 vcc, 0, v5
	v_cndmask_b32_e64 v7, v19, v17, s[0:1]
	v_cndmask_b32_e64 v15, v20, v18, s[0:1]
	v_cndmask_b32_e32 v7, v9, v7, vcc
	v_cndmask_b32_e32 v5, v11, v15, vcc
	v_xor_b32_e32 v7, v7, v3
	v_xor_b32_e32 v5, v5, v3
	v_sub_co_u32_e32 v18, vcc, v7, v3
	v_subb_co_u32_e32 v19, vcc, v5, v3, vcc
.LBB36_41:                              ;   in Loop: Header=BB36_23 Depth=2
	s_andn2_saveexec_b64 s[0:1], s[36:37]
	s_cbranch_execz .LBB36_43
; %bb.42:                               ;   in Loop: Header=BB36_23 Depth=2
	v_cvt_f32_u32_e32 v3, s55
	s_sub_i32 s16, 0, s55
	v_mov_b32_e32 v19, v2
	v_rcp_iflag_f32_e32 v3, v3
	v_mul_f32_e32 v3, 0x4f7ffffe, v3
	v_cvt_u32_f32_e32 v3, v3
	v_mul_lo_u32 v5, s16, v3
	v_mul_hi_u32 v5, v3, v5
	v_add_u32_e32 v3, v3, v5
	v_mul_hi_u32 v3, v16, v3
	v_mul_lo_u32 v5, v3, s55
	v_add_u32_e32 v7, 1, v3
	v_sub_u32_e32 v5, v16, v5
	v_subrev_u32_e32 v9, s55, v5
	v_cmp_le_u32_e32 vcc, s55, v5
	v_cndmask_b32_e32 v5, v5, v9, vcc
	v_cndmask_b32_e32 v3, v3, v7, vcc
	v_add_u32_e32 v7, 1, v3
	v_cmp_le_u32_e32 vcc, s55, v5
	v_cndmask_b32_e32 v18, v3, v7, vcc
.LBB36_43:                              ;   in Loop: Header=BB36_23 Depth=2
	s_or_b64 exec, exec, s[0:1]
	s_add_u32 s0, s4, s34
	s_addc_u32 s1, s5, s35
	s_add_i32 s16, s30, 2
	s_lshl_b64 s[34:35], s[16:17], 2
	s_add_u32 s36, s42, s34
	s_addc_u32 s37, s43, s35
	s_load_dword s58, s[36:37], 0x8
	s_load_dword s57, s[0:1], 0x6c
                                        ; implicit-def: $vgpr20_vgpr21
	s_waitcnt lgkmcnt(0)
	s_ashr_i32 s0, s58, 31
	v_or_b32_e32 v3, s0, v19
	v_cmp_ne_u64_e32 vcc, 0, v[2:3]
	s_and_saveexec_b64 s[36:37], vcc
	s_xor_b64 s[36:37], exec, s[36:37]
	s_cbranch_execz .LBB36_45
; %bb.44:                               ;   in Loop: Header=BB36_23 Depth=2
	s_ashr_i32 s38, s0, 31
	s_add_u32 s40, s58, s38
	s_mov_b32 s39, s38
	s_addc_u32 s41, s0, s38
	s_xor_b64 s[40:41], s[40:41], s[38:39]
	v_cvt_f32_u32_e32 v3, s40
	v_cvt_f32_u32_e32 v5, s41
	s_sub_u32 s16, 0, s40
	s_subb_u32 s31, 0, s41
	v_mov_b32_e32 v17, s41
	v_mac_f32_e32 v3, 0x4f800000, v5
	v_rcp_f32_e32 v3, v3
	v_mul_f32_e32 v3, 0x5f7ffffc, v3
	v_mul_f32_e32 v5, 0x2f800000, v3
	v_trunc_f32_e32 v5, v5
	v_mac_f32_e32 v3, 0xcf800000, v5
	v_cvt_u32_f32_e32 v5, v5
	v_cvt_u32_f32_e32 v3, v3
	v_readfirstlane_b32 s39, v5
	v_readfirstlane_b32 s0, v3
	s_mul_i32 s1, s16, s39
	s_mul_hi_u32 s60, s16, s0
	s_mul_i32 s59, s31, s0
	s_add_i32 s1, s60, s1
	s_add_i32 s1, s1, s59
	s_mul_i32 s61, s16, s0
	s_mul_i32 s60, s0, s1
	s_mul_hi_u32 s62, s0, s61
	s_mul_hi_u32 s59, s0, s1
	s_add_u32 s60, s62, s60
	s_addc_u32 s59, 0, s59
	s_mul_hi_u32 s63, s39, s61
	s_mul_i32 s61, s39, s61
	s_add_u32 s60, s60, s61
	s_mul_hi_u32 s62, s39, s1
	s_addc_u32 s59, s59, s63
	s_addc_u32 s60, s62, 0
	s_mul_i32 s1, s39, s1
	s_add_u32 s1, s59, s1
	s_addc_u32 s59, 0, s60
	s_add_u32 s60, s0, s1
	s_cselect_b64 s[0:1], -1, 0
	s_cmp_lg_u64 s[0:1], 0
	s_addc_u32 s39, s39, s59
	s_mul_i32 s0, s16, s39
	s_mul_hi_u32 s1, s16, s60
	s_add_i32 s0, s1, s0
	s_mul_i32 s31, s31, s60
	s_add_i32 s0, s0, s31
	s_mul_i32 s16, s16, s60
	s_mul_hi_u32 s31, s39, s16
	s_mul_i32 s59, s39, s16
	s_mul_i32 s62, s60, s0
	s_mul_hi_u32 s16, s60, s16
	s_mul_hi_u32 s61, s60, s0
	s_add_u32 s16, s16, s62
	s_addc_u32 s61, 0, s61
	s_add_u32 s16, s16, s59
	s_mul_hi_u32 s1, s39, s0
	s_addc_u32 s16, s61, s31
	s_addc_u32 s1, s1, 0
	s_mul_i32 s0, s39, s0
	s_add_u32 s0, s16, s0
	s_addc_u32 s16, 0, s1
	s_add_u32 s31, s60, s0
	s_cselect_b64 s[0:1], -1, 0
	v_ashrrev_i32_e32 v3, 31, v19
	s_cmp_lg_u64 s[0:1], 0
	v_add_co_u32_e32 v5, vcc, v18, v3
	s_addc_u32 s16, s39, s16
	v_xor_b32_e32 v5, v5, v3
	v_addc_co_u32_e32 v7, vcc, v19, v3, vcc
	v_mad_u64_u32 v[19:20], s[0:1], v5, s16, 0
	v_mul_hi_u32 v9, v5, s31
	v_xor_b32_e32 v7, v7, v3
	v_mad_u64_u32 v[21:22], s[0:1], v7, s16, 0
	v_add_co_u32_e32 v9, vcc, v9, v19
	v_addc_co_u32_e32 v11, vcc, 0, v20, vcc
	v_mad_u64_u32 v[19:20], s[0:1], v7, s31, 0
	v_xor_b32_e32 v3, s38, v3
	v_add_co_u32_e32 v9, vcc, v9, v19
	v_addc_co_u32_e32 v9, vcc, v11, v20, vcc
	v_addc_co_u32_e32 v11, vcc, 0, v22, vcc
	v_add_co_u32_e32 v9, vcc, v9, v21
	v_addc_co_u32_e32 v11, vcc, 0, v11, vcc
	v_mul_lo_u32 v13, s41, v9
	v_mul_lo_u32 v15, s40, v11
	v_mad_u64_u32 v[19:20], s[0:1], s40, v9, 0
	v_add3_u32 v13, v20, v15, v13
	v_sub_u32_e32 v15, v7, v13
	v_sub_co_u32_e32 v5, vcc, v5, v19
	v_subb_co_u32_e64 v15, s[0:1], v15, v17, vcc
	v_subrev_co_u32_e64 v17, s[0:1], s40, v5
	v_subbrev_co_u32_e64 v15, s[0:1], 0, v15, s[0:1]
	v_cmp_le_u32_e64 s[0:1], s41, v15
	v_cndmask_b32_e64 v19, 0, -1, s[0:1]
	v_cmp_le_u32_e64 s[0:1], s40, v17
	v_cndmask_b32_e64 v17, 0, -1, s[0:1]
	v_cmp_eq_u32_e64 s[0:1], s41, v15
	v_cndmask_b32_e64 v15, v19, v17, s[0:1]
	v_add_co_u32_e64 v17, s[0:1], 2, v9
	v_subb_co_u32_e32 v7, vcc, v7, v13, vcc
	v_addc_co_u32_e64 v19, s[0:1], 0, v11, s[0:1]
	v_cmp_le_u32_e32 vcc, s41, v7
	v_add_co_u32_e64 v20, s[0:1], 1, v9
	v_cndmask_b32_e64 v13, 0, -1, vcc
	v_cmp_le_u32_e32 vcc, s40, v5
	v_addc_co_u32_e64 v21, s[0:1], 0, v11, s[0:1]
	v_cndmask_b32_e64 v5, 0, -1, vcc
	v_cmp_eq_u32_e32 vcc, s41, v7
	v_cmp_ne_u32_e64 s[0:1], 0, v15
	v_cndmask_b32_e32 v5, v13, v5, vcc
	v_cmp_ne_u32_e32 vcc, 0, v5
	v_cndmask_b32_e64 v7, v20, v17, s[0:1]
	v_cndmask_b32_e64 v15, v21, v19, s[0:1]
	v_cndmask_b32_e32 v7, v9, v7, vcc
	v_cndmask_b32_e32 v5, v11, v15, vcc
	v_xor_b32_e32 v7, v7, v3
	v_xor_b32_e32 v5, v5, v3
	v_sub_co_u32_e32 v20, vcc, v7, v3
	v_subb_co_u32_e32 v21, vcc, v5, v3, vcc
.LBB36_45:                              ;   in Loop: Header=BB36_23 Depth=2
	s_andn2_saveexec_b64 s[0:1], s[36:37]
	s_cbranch_execz .LBB36_47
; %bb.46:                               ;   in Loop: Header=BB36_23 Depth=2
	v_cvt_f32_u32_e32 v3, s58
	s_sub_i32 s16, 0, s58
	v_mov_b32_e32 v21, v2
	v_rcp_iflag_f32_e32 v3, v3
	v_mul_f32_e32 v3, 0x4f7ffffe, v3
	v_cvt_u32_f32_e32 v3, v3
	v_mul_lo_u32 v5, s16, v3
	v_mul_hi_u32 v5, v3, v5
	v_add_u32_e32 v3, v3, v5
	v_mul_hi_u32 v3, v18, v3
	v_mul_lo_u32 v5, v3, s58
	v_add_u32_e32 v7, 1, v3
	v_sub_u32_e32 v5, v18, v5
	v_subrev_u32_e32 v9, s58, v5
	v_cmp_le_u32_e32 vcc, s58, v5
	v_cndmask_b32_e32 v5, v5, v9, vcc
	v_cndmask_b32_e32 v3, v3, v7, vcc
	v_add_u32_e32 v7, 1, v3
	v_cmp_le_u32_e32 vcc, s58, v5
	v_cndmask_b32_e32 v20, v3, v7, vcc
.LBB36_47:                              ;   in Loop: Header=BB36_23 Depth=2
	s_or_b64 exec, exec, s[0:1]
	s_add_u32 s0, s4, s34
	s_addc_u32 s1, s5, s35
	s_add_i32 s16, s30, 1
	s_lshl_b64 s[34:35], s[16:17], 2
	s_add_u32 s36, s42, s34
	s_addc_u32 s37, s43, s35
	s_load_dword s59, s[36:37], 0x8
	s_load_dword s16, s[0:1], 0x6c
                                        ; implicit-def: $vgpr22_vgpr23
	s_waitcnt lgkmcnt(0)
	s_ashr_i32 s0, s59, 31
	v_or_b32_e32 v3, s0, v21
	v_cmp_ne_u64_e32 vcc, 0, v[2:3]
	s_and_saveexec_b64 s[36:37], vcc
	s_xor_b64 s[36:37], exec, s[36:37]
	s_cbranch_execz .LBB36_49
; %bb.48:                               ;   in Loop: Header=BB36_23 Depth=2
	s_ashr_i32 s38, s0, 31
	s_add_u32 s40, s59, s38
	s_mov_b32 s39, s38
	s_addc_u32 s41, s0, s38
	s_xor_b64 s[40:41], s[40:41], s[38:39]
	v_cvt_f32_u32_e32 v3, s40
	v_cvt_f32_u32_e32 v5, s41
	s_sub_u32 s31, 0, s40
	s_subb_u32 s39, 0, s41
	v_mov_b32_e32 v17, s41
	v_mac_f32_e32 v3, 0x4f800000, v5
	v_rcp_f32_e32 v3, v3
	v_mul_f32_e32 v3, 0x5f7ffffc, v3
	v_mul_f32_e32 v5, 0x2f800000, v3
	v_trunc_f32_e32 v5, v5
	v_mac_f32_e32 v3, 0xcf800000, v5
	v_cvt_u32_f32_e32 v5, v5
	v_cvt_u32_f32_e32 v3, v3
	v_readfirstlane_b32 s60, v5
	v_readfirstlane_b32 s0, v3
	s_mul_i32 s1, s31, s60
	s_mul_hi_u32 s62, s31, s0
	s_mul_i32 s61, s39, s0
	s_add_i32 s1, s62, s1
	s_add_i32 s1, s1, s61
	s_mul_i32 s63, s31, s0
	s_mul_i32 s62, s0, s1
	s_mul_hi_u32 s64, s0, s63
	s_mul_hi_u32 s61, s0, s1
	s_add_u32 s62, s64, s62
	s_addc_u32 s61, 0, s61
	s_mul_hi_u32 s65, s60, s63
	s_mul_i32 s63, s60, s63
	s_add_u32 s62, s62, s63
	s_mul_hi_u32 s64, s60, s1
	s_addc_u32 s61, s61, s65
	s_addc_u32 s62, s64, 0
	s_mul_i32 s1, s60, s1
	s_add_u32 s1, s61, s1
	s_addc_u32 s61, 0, s62
	s_add_u32 s62, s0, s1
	s_cselect_b64 s[0:1], -1, 0
	s_cmp_lg_u64 s[0:1], 0
	s_addc_u32 s60, s60, s61
	s_mul_i32 s0, s31, s60
	s_mul_hi_u32 s1, s31, s62
	s_add_i32 s0, s1, s0
	s_mul_i32 s39, s39, s62
	s_add_i32 s0, s0, s39
	s_mul_i32 s31, s31, s62
	s_mul_hi_u32 s39, s60, s31
	s_mul_i32 s61, s60, s31
	s_mul_i32 s64, s62, s0
	s_mul_hi_u32 s31, s62, s31
	s_mul_hi_u32 s63, s62, s0
	s_add_u32 s31, s31, s64
	s_addc_u32 s63, 0, s63
	s_add_u32 s31, s31, s61
	s_mul_hi_u32 s1, s60, s0
	s_addc_u32 s31, s63, s39
	s_addc_u32 s1, s1, 0
	s_mul_i32 s0, s60, s0
	s_add_u32 s0, s31, s0
	s_addc_u32 s31, 0, s1
	s_add_u32 s39, s62, s0
	s_cselect_b64 s[0:1], -1, 0
	v_ashrrev_i32_e32 v3, 31, v21
	s_cmp_lg_u64 s[0:1], 0
	v_add_co_u32_e32 v5, vcc, v20, v3
	s_addc_u32 s31, s60, s31
	v_xor_b32_e32 v5, v5, v3
	v_addc_co_u32_e32 v7, vcc, v21, v3, vcc
	v_mad_u64_u32 v[21:22], s[0:1], v5, s31, 0
	v_mul_hi_u32 v9, v5, s39
	v_xor_b32_e32 v7, v7, v3
	v_mad_u64_u32 v[23:24], s[0:1], v7, s31, 0
	v_add_co_u32_e32 v9, vcc, v9, v21
	v_addc_co_u32_e32 v11, vcc, 0, v22, vcc
	v_mad_u64_u32 v[21:22], s[0:1], v7, s39, 0
	v_xor_b32_e32 v3, s38, v3
	v_add_co_u32_e32 v9, vcc, v9, v21
	v_addc_co_u32_e32 v9, vcc, v11, v22, vcc
	v_addc_co_u32_e32 v11, vcc, 0, v24, vcc
	v_add_co_u32_e32 v9, vcc, v9, v23
	v_addc_co_u32_e32 v11, vcc, 0, v11, vcc
	v_mul_lo_u32 v13, s41, v9
	v_mul_lo_u32 v15, s40, v11
	v_mad_u64_u32 v[21:22], s[0:1], s40, v9, 0
	v_add3_u32 v13, v22, v15, v13
	v_sub_u32_e32 v15, v7, v13
	v_sub_co_u32_e32 v5, vcc, v5, v21
	v_subb_co_u32_e64 v15, s[0:1], v15, v17, vcc
	v_subrev_co_u32_e64 v17, s[0:1], s40, v5
	v_subbrev_co_u32_e64 v15, s[0:1], 0, v15, s[0:1]
	v_cmp_le_u32_e64 s[0:1], s41, v15
	v_cndmask_b32_e64 v19, 0, -1, s[0:1]
	v_cmp_le_u32_e64 s[0:1], s40, v17
	v_cndmask_b32_e64 v17, 0, -1, s[0:1]
	v_cmp_eq_u32_e64 s[0:1], s41, v15
	v_cndmask_b32_e64 v15, v19, v17, s[0:1]
	v_add_co_u32_e64 v17, s[0:1], 2, v9
	v_subb_co_u32_e32 v7, vcc, v7, v13, vcc
	v_addc_co_u32_e64 v19, s[0:1], 0, v11, s[0:1]
	v_cmp_le_u32_e32 vcc, s41, v7
	v_add_co_u32_e64 v21, s[0:1], 1, v9
	v_cndmask_b32_e64 v13, 0, -1, vcc
	v_cmp_le_u32_e32 vcc, s40, v5
	v_addc_co_u32_e64 v22, s[0:1], 0, v11, s[0:1]
	v_cndmask_b32_e64 v5, 0, -1, vcc
	v_cmp_eq_u32_e32 vcc, s41, v7
	v_cmp_ne_u32_e64 s[0:1], 0, v15
	v_cndmask_b32_e32 v5, v13, v5, vcc
	v_cmp_ne_u32_e32 vcc, 0, v5
	v_cndmask_b32_e64 v7, v21, v17, s[0:1]
	v_cndmask_b32_e64 v15, v22, v19, s[0:1]
	v_cndmask_b32_e32 v7, v9, v7, vcc
	v_cndmask_b32_e32 v5, v11, v15, vcc
	v_xor_b32_e32 v7, v7, v3
	v_xor_b32_e32 v5, v5, v3
	v_sub_co_u32_e32 v22, vcc, v7, v3
	v_subb_co_u32_e32 v23, vcc, v5, v3, vcc
.LBB36_49:                              ;   in Loop: Header=BB36_23 Depth=2
	s_andn2_saveexec_b64 s[0:1], s[36:37]
	s_cbranch_execz .LBB36_51
; %bb.50:                               ;   in Loop: Header=BB36_23 Depth=2
	v_cvt_f32_u32_e32 v3, s59
	s_sub_i32 s31, 0, s59
	v_mov_b32_e32 v23, v2
	v_rcp_iflag_f32_e32 v3, v3
	v_mul_f32_e32 v3, 0x4f7ffffe, v3
	v_cvt_u32_f32_e32 v3, v3
	v_mul_lo_u32 v5, s31, v3
	v_mul_hi_u32 v5, v3, v5
	v_add_u32_e32 v3, v3, v5
	v_mul_hi_u32 v3, v20, v3
	v_mul_lo_u32 v5, v3, s59
	v_add_u32_e32 v7, 1, v3
	v_sub_u32_e32 v5, v20, v5
	v_subrev_u32_e32 v9, s59, v5
	v_cmp_le_u32_e32 vcc, s59, v5
	v_cndmask_b32_e32 v5, v5, v9, vcc
	v_cndmask_b32_e32 v3, v3, v7, vcc
	v_add_u32_e32 v7, 1, v3
	v_cmp_le_u32_e32 vcc, s59, v5
	v_cndmask_b32_e32 v22, v3, v7, vcc
.LBB36_51:                              ;   in Loop: Header=BB36_23 Depth=2
	s_or_b64 exec, exec, s[0:1]
	s_add_u32 s0, s4, s34
	s_mov_b32 s31, s17
	s_addc_u32 s1, s5, s35
	s_lshl_b64 s[34:35], s[30:31], 2
	s_add_u32 s36, s42, s34
	s_addc_u32 s37, s43, s35
	s_load_dword s60, s[36:37], 0x8
	s_load_dword s31, s[0:1], 0x6c
                                        ; implicit-def: $vgpr24_vgpr25
	s_waitcnt lgkmcnt(0)
	s_ashr_i32 s0, s60, 31
	v_or_b32_e32 v3, s0, v23
	v_cmp_ne_u64_e32 vcc, 0, v[2:3]
	s_and_saveexec_b64 s[36:37], vcc
	s_xor_b64 s[36:37], exec, s[36:37]
	s_cbranch_execz .LBB36_53
; %bb.52:                               ;   in Loop: Header=BB36_23 Depth=2
	s_ashr_i32 s38, s0, 31
	s_add_u32 s40, s60, s38
	s_mov_b32 s39, s38
	s_addc_u32 s41, s0, s38
	s_xor_b64 s[40:41], s[40:41], s[38:39]
	v_cvt_f32_u32_e32 v3, s40
	v_cvt_f32_u32_e32 v5, s41
	s_sub_u32 s39, 0, s40
	s_subb_u32 s61, 0, s41
	v_mov_b32_e32 v17, s41
	v_mac_f32_e32 v3, 0x4f800000, v5
	v_rcp_f32_e32 v3, v3
	v_mul_f32_e32 v3, 0x5f7ffffc, v3
	v_mul_f32_e32 v5, 0x2f800000, v3
	v_trunc_f32_e32 v5, v5
	v_mac_f32_e32 v3, 0xcf800000, v5
	v_cvt_u32_f32_e32 v5, v5
	v_cvt_u32_f32_e32 v3, v3
	v_readfirstlane_b32 s62, v5
	v_readfirstlane_b32 s0, v3
	s_mul_i32 s1, s39, s62
	s_mul_hi_u32 s64, s39, s0
	s_mul_i32 s63, s61, s0
	s_add_i32 s1, s64, s1
	s_add_i32 s1, s1, s63
	s_mul_i32 s65, s39, s0
	s_mul_i32 s64, s0, s1
	s_mul_hi_u32 s66, s0, s65
	s_mul_hi_u32 s63, s0, s1
	s_add_u32 s64, s66, s64
	s_addc_u32 s63, 0, s63
	s_mul_hi_u32 s67, s62, s65
	s_mul_i32 s65, s62, s65
	s_add_u32 s64, s64, s65
	s_mul_hi_u32 s66, s62, s1
	s_addc_u32 s63, s63, s67
	s_addc_u32 s64, s66, 0
	s_mul_i32 s1, s62, s1
	s_add_u32 s1, s63, s1
	s_addc_u32 s63, 0, s64
	s_add_u32 s64, s0, s1
	s_cselect_b64 s[0:1], -1, 0
	s_cmp_lg_u64 s[0:1], 0
	s_addc_u32 s62, s62, s63
	s_mul_i32 s0, s39, s62
	s_mul_hi_u32 s1, s39, s64
	s_add_i32 s0, s1, s0
	s_mul_i32 s61, s61, s64
	s_add_i32 s0, s0, s61
	s_mul_i32 s39, s39, s64
	s_mul_hi_u32 s61, s62, s39
	s_mul_i32 s63, s62, s39
	s_mul_i32 s66, s64, s0
	s_mul_hi_u32 s39, s64, s39
	s_mul_hi_u32 s65, s64, s0
	s_add_u32 s39, s39, s66
	s_addc_u32 s65, 0, s65
	s_add_u32 s39, s39, s63
	s_mul_hi_u32 s1, s62, s0
	s_addc_u32 s39, s65, s61
	s_addc_u32 s1, s1, 0
	s_mul_i32 s0, s62, s0
	s_add_u32 s0, s39, s0
	s_addc_u32 s39, 0, s1
	s_add_u32 s61, s64, s0
	s_cselect_b64 s[0:1], -1, 0
	v_ashrrev_i32_e32 v3, 31, v23
	s_cmp_lg_u64 s[0:1], 0
	v_add_co_u32_e32 v5, vcc, v22, v3
	s_addc_u32 s39, s62, s39
	v_xor_b32_e32 v5, v5, v3
	v_addc_co_u32_e32 v7, vcc, v23, v3, vcc
	v_mad_u64_u32 v[23:24], s[0:1], v5, s39, 0
	v_mul_hi_u32 v9, v5, s61
	v_xor_b32_e32 v7, v7, v3
	v_mad_u64_u32 v[28:29], s[0:1], v7, s39, 0
	v_add_co_u32_e32 v9, vcc, v9, v23
	v_addc_co_u32_e32 v11, vcc, 0, v24, vcc
	v_mad_u64_u32 v[23:24], s[0:1], v7, s61, 0
	v_xor_b32_e32 v3, s38, v3
	v_add_co_u32_e32 v9, vcc, v9, v23
	v_addc_co_u32_e32 v9, vcc, v11, v24, vcc
	v_addc_co_u32_e32 v11, vcc, 0, v29, vcc
	v_add_co_u32_e32 v9, vcc, v9, v28
	v_addc_co_u32_e32 v11, vcc, 0, v11, vcc
	v_mul_lo_u32 v13, s41, v9
	v_mul_lo_u32 v15, s40, v11
	v_mad_u64_u32 v[23:24], s[0:1], s40, v9, 0
	v_add3_u32 v13, v24, v15, v13
	v_sub_u32_e32 v15, v7, v13
	v_sub_co_u32_e32 v5, vcc, v5, v23
	v_subb_co_u32_e64 v15, s[0:1], v15, v17, vcc
	v_subrev_co_u32_e64 v17, s[0:1], s40, v5
	v_subbrev_co_u32_e64 v15, s[0:1], 0, v15, s[0:1]
	v_cmp_le_u32_e64 s[0:1], s41, v15
	v_cndmask_b32_e64 v19, 0, -1, s[0:1]
	v_cmp_le_u32_e64 s[0:1], s40, v17
	v_cndmask_b32_e64 v17, 0, -1, s[0:1]
	v_cmp_eq_u32_e64 s[0:1], s41, v15
	v_cndmask_b32_e64 v15, v19, v17, s[0:1]
	v_add_co_u32_e64 v17, s[0:1], 2, v9
	v_subb_co_u32_e32 v7, vcc, v7, v13, vcc
	v_addc_co_u32_e64 v19, s[0:1], 0, v11, s[0:1]
	v_cmp_le_u32_e32 vcc, s41, v7
	v_add_co_u32_e64 v21, s[0:1], 1, v9
	v_cndmask_b32_e64 v13, 0, -1, vcc
	v_cmp_le_u32_e32 vcc, s40, v5
	v_addc_co_u32_e64 v23, s[0:1], 0, v11, s[0:1]
	v_cndmask_b32_e64 v5, 0, -1, vcc
	v_cmp_eq_u32_e32 vcc, s41, v7
	v_cmp_ne_u32_e64 s[0:1], 0, v15
	v_cndmask_b32_e32 v5, v13, v5, vcc
	v_cmp_ne_u32_e32 vcc, 0, v5
	v_cndmask_b32_e64 v7, v21, v17, s[0:1]
	v_cndmask_b32_e64 v15, v23, v19, s[0:1]
	v_cndmask_b32_e32 v7, v9, v7, vcc
	v_cndmask_b32_e32 v5, v11, v15, vcc
	v_xor_b32_e32 v7, v7, v3
	v_xor_b32_e32 v5, v5, v3
	v_sub_co_u32_e32 v24, vcc, v7, v3
	v_subb_co_u32_e32 v25, vcc, v5, v3, vcc
.LBB36_53:                              ;   in Loop: Header=BB36_23 Depth=2
	s_andn2_saveexec_b64 s[0:1], s[36:37]
	s_cbranch_execz .LBB36_55
; %bb.54:                               ;   in Loop: Header=BB36_23 Depth=2
	v_cvt_f32_u32_e32 v3, s60
	s_sub_i32 s36, 0, s60
	v_mov_b32_e32 v25, v2
	v_rcp_iflag_f32_e32 v3, v3
	v_mul_f32_e32 v3, 0x4f7ffffe, v3
	v_cvt_u32_f32_e32 v3, v3
	v_mul_lo_u32 v5, s36, v3
	v_mul_hi_u32 v5, v3, v5
	v_add_u32_e32 v3, v3, v5
	v_mul_hi_u32 v3, v22, v3
	v_mul_lo_u32 v5, v3, s60
	v_add_u32_e32 v7, 1, v3
	v_sub_u32_e32 v5, v22, v5
	v_subrev_u32_e32 v9, s60, v5
	v_cmp_le_u32_e32 vcc, s60, v5
	v_cndmask_b32_e32 v5, v5, v9, vcc
	v_cndmask_b32_e32 v3, v3, v7, vcc
	v_add_u32_e32 v7, 1, v3
	v_cmp_le_u32_e32 vcc, s60, v5
	v_cndmask_b32_e32 v24, v3, v7, vcc
.LBB36_55:                              ;   in Loop: Header=BB36_23 Depth=2
	s_or_b64 exec, exec, s[0:1]
	v_mul_lo_u32 v3, v10, s25
	v_mul_lo_u32 v5, v12, s50
	;; [unrolled: 1-line block ×3, first 2 shown]
	s_add_u32 s0, s4, s34
	v_sub_u32_e32 v3, v8, v3
	v_mul_lo_u32 v8, v16, s54
	v_sub_u32_e32 v5, v10, v5
	v_mul_lo_u32 v3, s28, v3
	v_mul_lo_u32 v5, s51, v5
	v_sub_u32_e32 v7, v12, v7
	v_sub_u32_e32 v8, v14, v8
	v_mul_lo_u32 v7, s53, v7
	v_mul_lo_u32 v8, s56, v8
	;; [unrolled: 1-line block ×3, first 2 shown]
	v_add3_u32 v3, v3, v6, v5
	v_mul_lo_u32 v5, v20, s58
	s_addc_u32 s1, s5, s35
	v_add3_u32 v3, v7, v3, v8
	v_mul_lo_u32 v7, v22, s59
	v_mul_lo_u32 v8, v24, s60
	s_load_dword s0, s[0:1], 0x6c
	v_sub_u32_e32 v6, v16, v9
	v_sub_u32_e32 v5, v18, v5
	v_mul_lo_u32 v6, s57, v6
	v_mul_lo_u32 v5, s16, v5
	v_sub_u32_e32 v7, v20, v7
	v_sub_u32_e32 v8, v22, v8
	v_mul_lo_u32 v7, s31, v7
	s_waitcnt lgkmcnt(0)
	v_mul_lo_u32 v8, s0, v8
	v_add3_u32 v3, v6, v3, v5
	s_add_i32 s30, s30, -8
	s_cmp_eq_u32 s30, -8
	v_add3_u32 v6, v7, v3, v8
	s_cbranch_scc1 .LBB36_57
; %bb.56:                               ;   in Loop: Header=BB36_23 Depth=2
	v_mov_b32_e32 v8, v24
	v_mov_b32_e32 v9, v25
	s_branch .LBB36_23
.LBB36_57:                              ;   in Loop: Header=BB36_3 Depth=1
	s_load_dword s16, s[2:3], 0x4
	s_waitcnt lgkmcnt(0)
	v_cmp_gt_i32_e32 vcc, s16, v27
	s_and_b64 exec, exec, vcc
	s_cbranch_execz .LBB36_2
; %bb.58:                               ;   in Loop: Header=BB36_3 Depth=1
	v_ashrrev_i32_e32 v5, 31, v4
	v_cmp_lt_i64_e32 vcc, s[8:9], v[4:5]
	s_and_saveexec_b64 s[0:1], vcc
	s_cbranch_execz .LBB36_60
; %bb.59:                               ;   in Loop: Header=BB36_3 Depth=1
	v_ashrrev_i32_e32 v7, 31, v6
	v_lshlrev_b64 v[3:4], 2, v[6:7]
	v_mov_b32_e32 v5, s13
	v_add_co_u32_e32 v3, vcc, s12, v3
	v_addc_co_u32_e32 v4, vcc, v5, v4, vcc
	global_store_dword v[3:4], v2, off
.LBB36_60:                              ;   in Loop: Header=BB36_3 Depth=1
	s_or_b64 exec, exec, s[0:1]
	v_add_u32_e32 v3, 1, v27
	v_cmp_gt_i32_e32 vcc, s16, v3
	s_and_b64 exec, exec, vcc
	s_cbranch_execz .LBB36_2
; %bb.61:                               ;   in Loop: Header=BB36_3 Depth=1
	v_sub_u32_e32 v3, v3, v26
	v_ashrrev_i32_e32 v4, 31, v3
	v_cmp_lt_i64_e32 vcc, s[8:9], v[3:4]
	s_and_b64 exec, exec, vcc
	s_cbranch_execz .LBB36_2
; %bb.62:                               ;   in Loop: Header=BB36_3 Depth=1
	v_add_u32_e32 v3, s29, v6
	v_ashrrev_i32_e32 v4, 31, v3
	v_lshlrev_b64 v[3:4], 2, v[3:4]
	v_mov_b32_e32 v5, s13
	v_add_co_u32_e32 v3, vcc, s12, v3
	v_addc_co_u32_e32 v4, vcc, v5, v4, vcc
	global_store_dword v[3:4], v2, off
	s_branch .LBB36_2
.LBB36_63:
	s_endpgm
	.section	.rodata,"a",@progbits
	.p2align	6, 0x0
	.amdhsa_kernel _ZN2at6native16triu_tril_kernelIN3c107complexINS2_4HalfEEEiLb0ELi2ELb1EEEvNS_4cuda6detail10TensorInfoIT_T0_EENS8_IKS9_SA_EEllSA_
		.amdhsa_group_segment_fixed_size 0
		.amdhsa_private_segment_fixed_size 0
		.amdhsa_kernarg_size 712
		.amdhsa_user_sgpr_count 6
		.amdhsa_user_sgpr_private_segment_buffer 1
		.amdhsa_user_sgpr_dispatch_ptr 0
		.amdhsa_user_sgpr_queue_ptr 0
		.amdhsa_user_sgpr_kernarg_segment_ptr 1
		.amdhsa_user_sgpr_dispatch_id 0
		.amdhsa_user_sgpr_flat_scratch_init 0
		.amdhsa_user_sgpr_private_segment_size 0
		.amdhsa_uses_dynamic_stack 0
		.amdhsa_system_sgpr_private_segment_wavefront_offset 0
		.amdhsa_system_sgpr_workgroup_id_x 1
		.amdhsa_system_sgpr_workgroup_id_y 0
		.amdhsa_system_sgpr_workgroup_id_z 0
		.amdhsa_system_sgpr_workgroup_info 0
		.amdhsa_system_vgpr_workitem_id 0
		.amdhsa_next_free_vgpr 30
		.amdhsa_next_free_sgpr 68
		.amdhsa_reserve_vcc 1
		.amdhsa_reserve_flat_scratch 0
		.amdhsa_float_round_mode_32 0
		.amdhsa_float_round_mode_16_64 0
		.amdhsa_float_denorm_mode_32 3
		.amdhsa_float_denorm_mode_16_64 3
		.amdhsa_dx10_clamp 1
		.amdhsa_ieee_mode 1
		.amdhsa_fp16_overflow 0
		.amdhsa_exception_fp_ieee_invalid_op 0
		.amdhsa_exception_fp_denorm_src 0
		.amdhsa_exception_fp_ieee_div_zero 0
		.amdhsa_exception_fp_ieee_overflow 0
		.amdhsa_exception_fp_ieee_underflow 0
		.amdhsa_exception_fp_ieee_inexact 0
		.amdhsa_exception_int_div_zero 0
	.end_amdhsa_kernel
	.section	.text._ZN2at6native16triu_tril_kernelIN3c107complexINS2_4HalfEEEiLb0ELi2ELb1EEEvNS_4cuda6detail10TensorInfoIT_T0_EENS8_IKS9_SA_EEllSA_,"axG",@progbits,_ZN2at6native16triu_tril_kernelIN3c107complexINS2_4HalfEEEiLb0ELi2ELb1EEEvNS_4cuda6detail10TensorInfoIT_T0_EENS8_IKS9_SA_EEllSA_,comdat
.Lfunc_end36:
	.size	_ZN2at6native16triu_tril_kernelIN3c107complexINS2_4HalfEEEiLb0ELi2ELb1EEEvNS_4cuda6detail10TensorInfoIT_T0_EENS8_IKS9_SA_EEllSA_, .Lfunc_end36-_ZN2at6native16triu_tril_kernelIN3c107complexINS2_4HalfEEEiLb0ELi2ELb1EEEvNS_4cuda6detail10TensorInfoIT_T0_EENS8_IKS9_SA_EEllSA_
                                        ; -- End function
	.set _ZN2at6native16triu_tril_kernelIN3c107complexINS2_4HalfEEEiLb0ELi2ELb1EEEvNS_4cuda6detail10TensorInfoIT_T0_EENS8_IKS9_SA_EEllSA_.num_vgpr, 30
	.set _ZN2at6native16triu_tril_kernelIN3c107complexINS2_4HalfEEEiLb0ELi2ELb1EEEvNS_4cuda6detail10TensorInfoIT_T0_EENS8_IKS9_SA_EEllSA_.num_agpr, 0
	.set _ZN2at6native16triu_tril_kernelIN3c107complexINS2_4HalfEEEiLb0ELi2ELb1EEEvNS_4cuda6detail10TensorInfoIT_T0_EENS8_IKS9_SA_EEllSA_.numbered_sgpr, 68
	.set _ZN2at6native16triu_tril_kernelIN3c107complexINS2_4HalfEEEiLb0ELi2ELb1EEEvNS_4cuda6detail10TensorInfoIT_T0_EENS8_IKS9_SA_EEllSA_.num_named_barrier, 0
	.set _ZN2at6native16triu_tril_kernelIN3c107complexINS2_4HalfEEEiLb0ELi2ELb1EEEvNS_4cuda6detail10TensorInfoIT_T0_EENS8_IKS9_SA_EEllSA_.private_seg_size, 0
	.set _ZN2at6native16triu_tril_kernelIN3c107complexINS2_4HalfEEEiLb0ELi2ELb1EEEvNS_4cuda6detail10TensorInfoIT_T0_EENS8_IKS9_SA_EEllSA_.uses_vcc, 1
	.set _ZN2at6native16triu_tril_kernelIN3c107complexINS2_4HalfEEEiLb0ELi2ELb1EEEvNS_4cuda6detail10TensorInfoIT_T0_EENS8_IKS9_SA_EEllSA_.uses_flat_scratch, 0
	.set _ZN2at6native16triu_tril_kernelIN3c107complexINS2_4HalfEEEiLb0ELi2ELb1EEEvNS_4cuda6detail10TensorInfoIT_T0_EENS8_IKS9_SA_EEllSA_.has_dyn_sized_stack, 0
	.set _ZN2at6native16triu_tril_kernelIN3c107complexINS2_4HalfEEEiLb0ELi2ELb1EEEvNS_4cuda6detail10TensorInfoIT_T0_EENS8_IKS9_SA_EEllSA_.has_recursion, 0
	.set _ZN2at6native16triu_tril_kernelIN3c107complexINS2_4HalfEEEiLb0ELi2ELb1EEEvNS_4cuda6detail10TensorInfoIT_T0_EENS8_IKS9_SA_EEllSA_.has_indirect_call, 0
	.section	.AMDGPU.csdata,"",@progbits
; Kernel info:
; codeLenInByte = 9340
; TotalNumSgprs: 72
; NumVgprs: 30
; ScratchSize: 0
; MemoryBound: 0
; FloatMode: 240
; IeeeMode: 1
; LDSByteSize: 0 bytes/workgroup (compile time only)
; SGPRBlocks: 8
; VGPRBlocks: 7
; NumSGPRsForWavesPerEU: 72
; NumVGPRsForWavesPerEU: 30
; Occupancy: 8
; WaveLimiterHint : 0
; COMPUTE_PGM_RSRC2:SCRATCH_EN: 0
; COMPUTE_PGM_RSRC2:USER_SGPR: 6
; COMPUTE_PGM_RSRC2:TRAP_HANDLER: 0
; COMPUTE_PGM_RSRC2:TGID_X_EN: 1
; COMPUTE_PGM_RSRC2:TGID_Y_EN: 0
; COMPUTE_PGM_RSRC2:TGID_Z_EN: 0
; COMPUTE_PGM_RSRC2:TIDIG_COMP_CNT: 0
	.section	.text._ZN2at6native16triu_tril_kernelIN3c107complexINS2_4HalfEEEiLb0ELi2ELb0EEEvNS_4cuda6detail10TensorInfoIT_T0_EENS8_IKS9_SA_EEllSA_,"axG",@progbits,_ZN2at6native16triu_tril_kernelIN3c107complexINS2_4HalfEEEiLb0ELi2ELb0EEEvNS_4cuda6detail10TensorInfoIT_T0_EENS8_IKS9_SA_EEllSA_,comdat
	.protected	_ZN2at6native16triu_tril_kernelIN3c107complexINS2_4HalfEEEiLb0ELi2ELb0EEEvNS_4cuda6detail10TensorInfoIT_T0_EENS8_IKS9_SA_EEllSA_ ; -- Begin function _ZN2at6native16triu_tril_kernelIN3c107complexINS2_4HalfEEEiLb0ELi2ELb0EEEvNS_4cuda6detail10TensorInfoIT_T0_EENS8_IKS9_SA_EEllSA_
	.globl	_ZN2at6native16triu_tril_kernelIN3c107complexINS2_4HalfEEEiLb0ELi2ELb0EEEvNS_4cuda6detail10TensorInfoIT_T0_EENS8_IKS9_SA_EEllSA_
	.p2align	8
	.type	_ZN2at6native16triu_tril_kernelIN3c107complexINS2_4HalfEEEiLb0ELi2ELb0EEEvNS_4cuda6detail10TensorInfoIT_T0_EENS8_IKS9_SA_EEllSA_,@function
_ZN2at6native16triu_tril_kernelIN3c107complexINS2_4HalfEEEiLb0ELi2ELb0EEEvNS_4cuda6detail10TensorInfoIT_T0_EENS8_IKS9_SA_EEllSA_: ; @_ZN2at6native16triu_tril_kernelIN3c107complexINS2_4HalfEEEiLb0ELi2ELb0EEEvNS_4cuda6detail10TensorInfoIT_T0_EENS8_IKS9_SA_EEllSA_
; %bb.0:
	s_load_dword s2, s[4:5], 0x1d4
	s_load_dwordx4 s[8:11], s[4:5], 0x1b0
	s_add_u32 s0, s4, 0x1c8
	v_mov_b32_e32 v2, 0
	s_addc_u32 s1, s5, 0
	s_waitcnt lgkmcnt(0)
	s_and_b32 s12, s2, 0xffff
	v_mov_b32_e32 v1, v2
	v_mov_b32_e32 v3, s6
	v_mad_u64_u32 v[0:1], s[2:3], s12, v3, v[0:1]
	v_lshlrev_b64 v[0:1], 1, v[0:1]
	v_cmp_gt_i64_e32 vcc, s[10:11], v[0:1]
	s_and_saveexec_b64 s[2:3], vcc
	s_cbranch_execz .LBB37_48
; %bb.1:
	s_load_dword s33, s[4:5], 0x1c0
	s_load_dwordx2 s[2:3], s[4:5], 0xd8
	s_load_dwordx2 s[18:19], s[4:5], 0x0
	s_load_dword s20, s[4:5], 0x1a8
	s_load_dword s13, s[0:1], 0x0
	s_add_u32 s46, s4, 0xd8
	s_addc_u32 s47, s5, 0
	s_waitcnt lgkmcnt(0)
	s_ashr_i32 s48, s33, 31
	s_ashr_i32 s21, s20, 31
	s_lshl_b64 s[0:1], s[20:21], 2
	s_add_u32 s16, s46, s0
	s_addc_u32 s17, s47, s1
	s_load_dwordx2 s[6:7], s[16:17], 0x0
	s_load_dwordx2 s[14:15], s[16:17], 0x64
	s_mul_i32 s22, s13, s12
	v_cmp_gt_i64_e64 s[12:13], s[20:21], 2
	s_mov_b32 s21, 0
	s_waitcnt lgkmcnt(0)
	s_ashr_i32 s49, s6, 31
	s_add_u32 s0, s4, s0
	s_addc_u32 s1, s5, s1
	s_load_dwordx2 s[16:17], s[0:1], 0x64
	s_add_i32 s50, s20, -3
	s_lshl_b32 s51, s22, 1
	s_and_b32 s52, s20, 3
	s_cmp_lg_u32 s52, 2
	s_cselect_b64 s[22:23], -1, 0
	s_cmp_gt_u32 s50, 2
	s_cselect_b64 s[24:25], -1, 0
	s_ashr_i32 s27, s15, 31
	s_mov_b32 s26, s15
	s_waitcnt lgkmcnt(0)
	s_ashr_i32 s29, s17, 31
	s_mov_b32 s28, s17
	s_mov_b64 s[30:31], 0
	s_ashr_i32 s34, s48, 31
	s_branch .LBB37_3
.LBB37_2:                               ;   in Loop: Header=BB37_3 Depth=1
	s_or_b64 exec, exec, s[0:1]
	v_add_co_u32_e32 v0, vcc, s51, v0
	v_addc_co_u32_e32 v1, vcc, 0, v1, vcc
	v_cmp_le_i64_e32 vcc, s[10:11], v[0:1]
	s_or_b64 s[30:31], vcc, s[30:31]
	s_andn2_b64 exec, exec, s[30:31]
	s_cbranch_execz .LBB37_48
.LBB37_3:                               ; =>This Loop Header: Depth=1
                                        ;     Child Loop BB37_13 Depth 2
                                        ;     Child Loop BB37_21 Depth 2
	v_or_b32_e32 v3, s48, v1
	v_cmp_ne_u64_e32 vcc, 0, v[2:3]
                                        ; implicit-def: $vgpr4_vgpr5
	s_and_saveexec_b64 s[0:1], vcc
	s_xor_b64 s[36:37], exec, s[0:1]
	s_cbranch_execz .LBB37_5
; %bb.4:                                ;   in Loop: Header=BB37_3 Depth=1
	s_add_u32 s0, s33, s34
	s_mov_b32 s35, s34
	s_addc_u32 s1, s48, s34
	s_xor_b64 s[38:39], s[0:1], s[34:35]
	v_cvt_f32_u32_e32 v3, s38
	v_cvt_f32_u32_e32 v4, s39
	s_sub_u32 s15, 0, s38
	s_subb_u32 s17, 0, s39
	v_ashrrev_i32_e32 v7, 31, v1
	v_mac_f32_e32 v3, 0x4f800000, v4
	v_rcp_f32_e32 v3, v3
	v_mul_f32_e32 v3, 0x5f7ffffc, v3
	v_mul_f32_e32 v4, 0x2f800000, v3
	v_trunc_f32_e32 v4, v4
	v_mac_f32_e32 v3, 0xcf800000, v4
	v_cvt_u32_f32_e32 v4, v4
	v_cvt_u32_f32_e32 v3, v3
	v_readfirstlane_b32 s20, v4
	v_readfirstlane_b32 s0, v3
	s_mul_i32 s1, s15, s20
	s_mul_hi_u32 s40, s15, s0
	s_mul_i32 s35, s17, s0
	s_add_i32 s1, s40, s1
	s_add_i32 s1, s1, s35
	s_mul_i32 s41, s15, s0
	s_mul_i32 s40, s0, s1
	s_mul_hi_u32 s42, s0, s41
	s_mul_hi_u32 s35, s0, s1
	s_add_u32 s40, s42, s40
	s_addc_u32 s35, 0, s35
	s_mul_hi_u32 s43, s20, s41
	s_mul_i32 s41, s20, s41
	s_add_u32 s40, s40, s41
	s_mul_hi_u32 s42, s20, s1
	s_addc_u32 s35, s35, s43
	s_addc_u32 s40, s42, 0
	s_mul_i32 s1, s20, s1
	s_add_u32 s1, s35, s1
	s_addc_u32 s35, 0, s40
	s_add_u32 s40, s0, s1
	s_cselect_b64 s[0:1], -1, 0
	s_cmp_lg_u64 s[0:1], 0
	s_addc_u32 s20, s20, s35
	s_mul_i32 s0, s15, s20
	s_mul_hi_u32 s1, s15, s40
	s_add_i32 s0, s1, s0
	s_mul_i32 s17, s17, s40
	s_add_i32 s0, s0, s17
	s_mul_i32 s15, s15, s40
	s_mul_hi_u32 s17, s20, s15
	s_mul_i32 s35, s20, s15
	s_mul_i32 s42, s40, s0
	s_mul_hi_u32 s15, s40, s15
	s_mul_hi_u32 s41, s40, s0
	s_add_u32 s15, s15, s42
	s_addc_u32 s41, 0, s41
	s_add_u32 s15, s15, s35
	s_mul_hi_u32 s1, s20, s0
	s_addc_u32 s15, s41, s17
	s_addc_u32 s1, s1, 0
	s_mul_i32 s0, s20, s0
	s_add_u32 s0, s15, s0
	s_addc_u32 s15, 0, s1
	s_add_u32 s17, s40, s0
	s_cselect_b64 s[0:1], -1, 0
	s_cmp_lg_u64 s[0:1], 0
	v_add_co_u32_e32 v3, vcc, v0, v7
	s_addc_u32 s15, s20, s15
	v_xor_b32_e32 v8, v3, v7
	v_mad_u64_u32 v[3:4], s[0:1], v8, s15, 0
	v_mul_hi_u32 v6, v8, s17
	v_addc_co_u32_e32 v5, vcc, v1, v7, vcc
	v_xor_b32_e32 v9, v5, v7
	v_add_co_u32_e32 v10, vcc, v6, v3
	v_addc_co_u32_e32 v11, vcc, 0, v4, vcc
	v_mad_u64_u32 v[3:4], s[0:1], v9, s17, 0
	v_mad_u64_u32 v[5:6], s[0:1], v9, s15, 0
	v_add_co_u32_e32 v3, vcc, v10, v3
	v_addc_co_u32_e32 v3, vcc, v11, v4, vcc
	v_addc_co_u32_e32 v4, vcc, 0, v6, vcc
	v_add_co_u32_e32 v5, vcc, v3, v5
	v_addc_co_u32_e32 v6, vcc, 0, v4, vcc
	v_mul_lo_u32 v10, s39, v5
	v_mul_lo_u32 v11, s38, v6
	v_mad_u64_u32 v[3:4], s[0:1], s38, v5, 0
	v_add3_u32 v4, v4, v11, v10
	v_sub_u32_e32 v10, v9, v4
	v_mov_b32_e32 v11, s39
	v_sub_co_u32_e32 v3, vcc, v8, v3
	v_subb_co_u32_e64 v8, s[0:1], v10, v11, vcc
	v_subrev_co_u32_e64 v10, s[0:1], s38, v3
	v_subbrev_co_u32_e64 v8, s[0:1], 0, v8, s[0:1]
	v_cmp_le_u32_e64 s[0:1], s39, v8
	v_cndmask_b32_e64 v11, 0, -1, s[0:1]
	v_cmp_le_u32_e64 s[0:1], s38, v10
	v_cndmask_b32_e64 v10, 0, -1, s[0:1]
	v_cmp_eq_u32_e64 s[0:1], s39, v8
	v_cndmask_b32_e64 v8, v11, v10, s[0:1]
	v_add_co_u32_e64 v10, s[0:1], 2, v5
	v_subb_co_u32_e32 v4, vcc, v9, v4, vcc
	v_addc_co_u32_e64 v11, s[0:1], 0, v6, s[0:1]
	v_cmp_le_u32_e32 vcc, s39, v4
	v_add_co_u32_e64 v12, s[0:1], 1, v5
	v_cndmask_b32_e64 v9, 0, -1, vcc
	v_cmp_le_u32_e32 vcc, s38, v3
	v_addc_co_u32_e64 v13, s[0:1], 0, v6, s[0:1]
	v_cndmask_b32_e64 v3, 0, -1, vcc
	v_cmp_eq_u32_e32 vcc, s39, v4
	v_cmp_ne_u32_e64 s[0:1], 0, v8
	v_cndmask_b32_e32 v3, v9, v3, vcc
	v_cmp_ne_u32_e32 vcc, 0, v3
	v_cndmask_b32_e64 v4, v12, v10, s[0:1]
	v_cndmask_b32_e64 v8, v13, v11, s[0:1]
	v_cndmask_b32_e32 v4, v5, v4, vcc
	v_xor_b32_e32 v5, s34, v7
	v_cndmask_b32_e32 v3, v6, v8, vcc
	v_xor_b32_e32 v4, v4, v5
	v_xor_b32_e32 v3, v3, v5
	v_sub_co_u32_e32 v4, vcc, v4, v5
	v_subb_co_u32_e32 v5, vcc, v3, v5, vcc
.LBB37_5:                               ;   in Loop: Header=BB37_3 Depth=1
	s_andn2_saveexec_b64 s[0:1], s[36:37]
	s_cbranch_execz .LBB37_7
; %bb.6:                                ;   in Loop: Header=BB37_3 Depth=1
	v_cvt_f32_u32_e32 v3, s33
	s_sub_i32 s15, 0, s33
	v_rcp_iflag_f32_e32 v3, v3
	v_mul_f32_e32 v3, 0x4f7ffffe, v3
	v_cvt_u32_f32_e32 v3, v3
	v_mul_lo_u32 v4, s15, v3
	v_mul_hi_u32 v4, v3, v4
	v_add_u32_e32 v3, v3, v4
	v_mul_hi_u32 v3, v0, v3
	v_mul_lo_u32 v4, v3, s33
	v_add_u32_e32 v5, 1, v3
	v_sub_u32_e32 v4, v0, v4
	v_subrev_u32_e32 v6, s33, v4
	v_cmp_le_u32_e32 vcc, s33, v4
	v_cndmask_b32_e32 v4, v4, v6, vcc
	v_cndmask_b32_e32 v3, v3, v5, vcc
	v_add_u32_e32 v5, 1, v3
	v_cmp_le_u32_e32 vcc, s33, v4
	v_cndmask_b32_e32 v4, v3, v5, vcc
	v_mov_b32_e32 v5, v2
.LBB37_7:                               ;   in Loop: Header=BB37_3 Depth=1
	s_or_b64 exec, exec, s[0:1]
	v_or_b32_e32 v3, s49, v5
	v_cmp_ne_u64_e32 vcc, 0, v[2:3]
                                        ; implicit-def: $vgpr8_vgpr9
	s_and_saveexec_b64 s[0:1], vcc
	s_xor_b64 s[36:37], exec, s[0:1]
	s_cbranch_execz .LBB37_9
; %bb.8:                                ;   in Loop: Header=BB37_3 Depth=1
	s_ashr_i32 s38, s49, 31
	s_add_u32 s0, s6, s38
	s_mov_b32 s39, s38
	s_addc_u32 s1, s49, s38
	s_xor_b64 s[40:41], s[0:1], s[38:39]
	v_cvt_f32_u32_e32 v3, s40
	v_cvt_f32_u32_e32 v6, s41
	s_sub_u32 s15, 0, s40
	s_subb_u32 s17, 0, s41
	v_mac_f32_e32 v3, 0x4f800000, v6
	v_rcp_f32_e32 v3, v3
	v_mul_f32_e32 v3, 0x5f7ffffc, v3
	v_mul_f32_e32 v6, 0x2f800000, v3
	v_trunc_f32_e32 v6, v6
	v_mac_f32_e32 v3, 0xcf800000, v6
	v_cvt_u32_f32_e32 v6, v6
	v_cvt_u32_f32_e32 v3, v3
	v_readfirstlane_b32 s20, v6
	v_readfirstlane_b32 s0, v3
	s_mul_i32 s1, s15, s20
	s_mul_hi_u32 s39, s15, s0
	s_mul_i32 s35, s17, s0
	s_add_i32 s1, s39, s1
	s_add_i32 s1, s1, s35
	s_mul_i32 s42, s15, s0
	s_mul_i32 s39, s0, s1
	s_mul_hi_u32 s43, s0, s42
	s_mul_hi_u32 s35, s0, s1
	s_add_u32 s39, s43, s39
	s_addc_u32 s35, 0, s35
	s_mul_hi_u32 s44, s20, s42
	s_mul_i32 s42, s20, s42
	s_add_u32 s39, s39, s42
	s_mul_hi_u32 s43, s20, s1
	s_addc_u32 s35, s35, s44
	s_addc_u32 s39, s43, 0
	s_mul_i32 s1, s20, s1
	s_add_u32 s1, s35, s1
	s_addc_u32 s35, 0, s39
	s_add_u32 s39, s0, s1
	s_cselect_b64 s[0:1], -1, 0
	s_cmp_lg_u64 s[0:1], 0
	s_addc_u32 s20, s20, s35
	s_mul_i32 s0, s15, s20
	s_mul_hi_u32 s1, s15, s39
	s_add_i32 s0, s1, s0
	s_mul_i32 s17, s17, s39
	s_add_i32 s0, s0, s17
	s_mul_i32 s15, s15, s39
	s_mul_hi_u32 s17, s20, s15
	s_mul_i32 s35, s20, s15
	s_mul_i32 s43, s39, s0
	s_mul_hi_u32 s15, s39, s15
	s_mul_hi_u32 s42, s39, s0
	s_add_u32 s15, s15, s43
	s_addc_u32 s42, 0, s42
	s_add_u32 s15, s15, s35
	s_mul_hi_u32 s1, s20, s0
	s_addc_u32 s15, s42, s17
	s_addc_u32 s1, s1, 0
	s_mul_i32 s0, s20, s0
	s_add_u32 s0, s15, s0
	s_addc_u32 s15, 0, s1
	s_add_u32 s17, s39, s0
	s_cselect_b64 s[0:1], -1, 0
	v_ashrrev_i32_e32 v3, 31, v5
	s_cmp_lg_u64 s[0:1], 0
	v_add_co_u32_e32 v6, vcc, v4, v3
	s_addc_u32 s15, s20, s15
	v_xor_b32_e32 v9, v6, v3
	v_addc_co_u32_e32 v7, vcc, v5, v3, vcc
	v_mad_u64_u32 v[5:6], s[0:1], v9, s15, 0
	v_mul_hi_u32 v8, v9, s17
	v_xor_b32_e32 v10, v7, v3
	v_xor_b32_e32 v3, s38, v3
	v_add_co_u32_e32 v11, vcc, v8, v5
	v_addc_co_u32_e32 v12, vcc, 0, v6, vcc
	v_mad_u64_u32 v[5:6], s[0:1], v10, s17, 0
	v_mad_u64_u32 v[7:8], s[0:1], v10, s15, 0
	v_add_co_u32_e32 v5, vcc, v11, v5
	v_addc_co_u32_e32 v5, vcc, v12, v6, vcc
	v_addc_co_u32_e32 v6, vcc, 0, v8, vcc
	v_add_co_u32_e32 v7, vcc, v5, v7
	v_addc_co_u32_e32 v8, vcc, 0, v6, vcc
	v_mul_lo_u32 v11, s41, v7
	v_mul_lo_u32 v12, s40, v8
	v_mad_u64_u32 v[5:6], s[0:1], s40, v7, 0
	v_add3_u32 v6, v6, v12, v11
	v_sub_u32_e32 v11, v10, v6
	v_mov_b32_e32 v12, s41
	v_sub_co_u32_e32 v5, vcc, v9, v5
	v_subb_co_u32_e64 v9, s[0:1], v11, v12, vcc
	v_subrev_co_u32_e64 v11, s[0:1], s40, v5
	v_subbrev_co_u32_e64 v9, s[0:1], 0, v9, s[0:1]
	v_cmp_le_u32_e64 s[0:1], s41, v9
	v_cndmask_b32_e64 v12, 0, -1, s[0:1]
	v_cmp_le_u32_e64 s[0:1], s40, v11
	v_cndmask_b32_e64 v11, 0, -1, s[0:1]
	v_cmp_eq_u32_e64 s[0:1], s41, v9
	v_cndmask_b32_e64 v9, v12, v11, s[0:1]
	v_add_co_u32_e64 v11, s[0:1], 2, v7
	v_subb_co_u32_e32 v6, vcc, v10, v6, vcc
	v_addc_co_u32_e64 v12, s[0:1], 0, v8, s[0:1]
	v_cmp_le_u32_e32 vcc, s41, v6
	v_add_co_u32_e64 v13, s[0:1], 1, v7
	v_cndmask_b32_e64 v10, 0, -1, vcc
	v_cmp_le_u32_e32 vcc, s40, v5
	v_addc_co_u32_e64 v14, s[0:1], 0, v8, s[0:1]
	v_cndmask_b32_e64 v5, 0, -1, vcc
	v_cmp_eq_u32_e32 vcc, s41, v6
	v_cmp_ne_u32_e64 s[0:1], 0, v9
	v_cndmask_b32_e32 v5, v10, v5, vcc
	v_cmp_ne_u32_e32 vcc, 0, v5
	v_cndmask_b32_e64 v6, v13, v11, s[0:1]
	v_cndmask_b32_e64 v9, v14, v12, s[0:1]
	v_cndmask_b32_e32 v6, v7, v6, vcc
	v_cndmask_b32_e32 v5, v8, v9, vcc
	v_xor_b32_e32 v6, v6, v3
	v_xor_b32_e32 v5, v5, v3
	v_sub_co_u32_e32 v8, vcc, v6, v3
	v_subb_co_u32_e32 v9, vcc, v5, v3, vcc
.LBB37_9:                               ;   in Loop: Header=BB37_3 Depth=1
	s_andn2_saveexec_b64 s[0:1], s[36:37]
	s_cbranch_execz .LBB37_11
; %bb.10:                               ;   in Loop: Header=BB37_3 Depth=1
	v_cvt_f32_u32_e32 v3, s6
	s_sub_i32 s15, 0, s6
	v_mov_b32_e32 v9, v2
	v_rcp_iflag_f32_e32 v3, v3
	v_mul_f32_e32 v3, 0x4f7ffffe, v3
	v_cvt_u32_f32_e32 v3, v3
	v_mul_lo_u32 v5, s15, v3
	v_mul_hi_u32 v5, v3, v5
	v_add_u32_e32 v3, v3, v5
	v_mul_hi_u32 v3, v4, v3
	v_mul_lo_u32 v5, v3, s6
	v_add_u32_e32 v6, 1, v3
	v_sub_u32_e32 v5, v4, v5
	v_subrev_u32_e32 v7, s6, v5
	v_cmp_le_u32_e32 vcc, s6, v5
	v_cndmask_b32_e32 v5, v5, v7, vcc
	v_cndmask_b32_e32 v3, v3, v6, vcc
	v_add_u32_e32 v6, 1, v3
	v_cmp_le_u32_e32 vcc, s6, v5
	v_cndmask_b32_e32 v8, v3, v6, vcc
.LBB37_11:                              ;   in Loop: Header=BB37_3 Depth=1
	s_or_b64 exec, exec, s[0:1]
	v_mad_u64_u32 v[5:6], s[0:1], v4, s33, 0
	v_mad_u64_u32 v[6:7], s[0:1], v8, s6, 0
	v_sub_co_u32_e32 v18, vcc, v0, v5
	v_mul_lo_u32 v3, s26, v18
	v_sub_co_u32_e32 v19, vcc, v4, v6
	v_mul_lo_u32 v4, s28, v18
	s_andn2_b64 vcc, exec, s[12:13]
	v_mad_u64_u32 v[6:7], s[0:1], s14, v19, v[3:4]
	v_mad_u64_u32 v[4:5], s[0:1], s16, v19, v[4:5]
	s_cbranch_vccnz .LBB37_39
; %bb.12:                               ;   in Loop: Header=BB37_3 Depth=1
	s_mov_b32 s15, 1
	s_andn2_b64 vcc, exec, s[22:23]
	s_mov_b32 s20, s50
	s_mov_b32 s0, s50
	s_cbranch_vccnz .LBB37_20
.LBB37_13:                              ;   Parent Loop BB37_3 Depth=1
                                        ; =>  This Inner Loop Header: Depth=2
	s_lshl_b64 s[36:37], s[20:21], 2
	s_add_u32 s38, s46, s36
	s_addc_u32 s39, s47, s37
	s_load_dword s17, s[38:39], 0x8
                                        ; implicit-def: $vgpr10_vgpr11
	s_waitcnt lgkmcnt(0)
	s_ashr_i32 s0, s17, 31
	v_or_b32_e32 v3, s0, v9
	v_cmp_ne_u64_e32 vcc, 0, v[2:3]
	s_and_saveexec_b64 s[40:41], vcc
	s_xor_b64 s[40:41], exec, s[40:41]
	s_cbranch_execz .LBB37_15
; %bb.14:                               ;   in Loop: Header=BB37_13 Depth=2
	s_ashr_i32 s42, s0, 31
	s_add_u32 s44, s17, s42
	s_mov_b32 s43, s42
	s_addc_u32 s45, s0, s42
	s_xor_b64 s[44:45], s[44:45], s[42:43]
	v_cvt_f32_u32_e32 v3, s44
	v_cvt_f32_u32_e32 v5, s45
	s_sub_u32 s35, 0, s44
	s_subb_u32 s43, 0, s45
	v_mac_f32_e32 v3, 0x4f800000, v5
	v_rcp_f32_e32 v3, v3
	v_mul_f32_e32 v3, 0x5f7ffffc, v3
	v_mul_f32_e32 v5, 0x2f800000, v3
	v_trunc_f32_e32 v5, v5
	v_mac_f32_e32 v3, 0xcf800000, v5
	v_cvt_u32_f32_e32 v5, v5
	v_cvt_u32_f32_e32 v3, v3
	v_readfirstlane_b32 s53, v5
	v_readfirstlane_b32 s0, v3
	s_mul_i32 s1, s35, s53
	s_mul_hi_u32 s55, s35, s0
	s_mul_i32 s54, s43, s0
	s_add_i32 s1, s55, s1
	s_add_i32 s1, s1, s54
	s_mul_i32 s56, s35, s0
	s_mul_i32 s55, s0, s1
	s_mul_hi_u32 s57, s0, s56
	s_mul_hi_u32 s54, s0, s1
	s_add_u32 s55, s57, s55
	s_addc_u32 s54, 0, s54
	s_mul_hi_u32 s58, s53, s56
	s_mul_i32 s56, s53, s56
	s_add_u32 s55, s55, s56
	s_mul_hi_u32 s57, s53, s1
	s_addc_u32 s54, s54, s58
	s_addc_u32 s55, s57, 0
	s_mul_i32 s1, s53, s1
	s_add_u32 s1, s54, s1
	s_addc_u32 s54, 0, s55
	s_add_u32 s55, s0, s1
	s_cselect_b64 s[0:1], -1, 0
	s_cmp_lg_u64 s[0:1], 0
	s_addc_u32 s53, s53, s54
	s_mul_i32 s0, s35, s53
	s_mul_hi_u32 s1, s35, s55
	s_add_i32 s0, s1, s0
	s_mul_i32 s43, s43, s55
	s_add_i32 s0, s0, s43
	s_mul_i32 s35, s35, s55
	s_mul_hi_u32 s43, s53, s35
	s_mul_i32 s54, s53, s35
	s_mul_i32 s57, s55, s0
	s_mul_hi_u32 s35, s55, s35
	s_mul_hi_u32 s56, s55, s0
	s_add_u32 s35, s35, s57
	s_addc_u32 s56, 0, s56
	s_add_u32 s35, s35, s54
	s_mul_hi_u32 s1, s53, s0
	s_addc_u32 s35, s56, s43
	s_addc_u32 s1, s1, 0
	s_mul_i32 s0, s53, s0
	s_add_u32 s0, s35, s0
	s_addc_u32 s35, 0, s1
	s_add_u32 s43, s55, s0
	s_cselect_b64 s[0:1], -1, 0
	v_ashrrev_i32_e32 v3, 31, v9
	s_cmp_lg_u64 s[0:1], 0
	v_add_co_u32_e32 v5, vcc, v8, v3
	s_addc_u32 s35, s53, s35
	v_xor_b32_e32 v5, v5, v3
	v_addc_co_u32_e32 v7, vcc, v9, v3, vcc
	v_mad_u64_u32 v[9:10], s[0:1], v5, s35, 0
	v_mul_hi_u32 v11, v5, s43
	v_xor_b32_e32 v7, v7, v3
	v_xor_b32_e32 v3, s42, v3
	v_add_co_u32_e32 v13, vcc, v11, v9
	v_addc_co_u32_e32 v14, vcc, 0, v10, vcc
	v_mad_u64_u32 v[9:10], s[0:1], v7, s43, 0
	v_mad_u64_u32 v[11:12], s[0:1], v7, s35, 0
	v_add_co_u32_e32 v9, vcc, v13, v9
	v_addc_co_u32_e32 v9, vcc, v14, v10, vcc
	v_addc_co_u32_e32 v10, vcc, 0, v12, vcc
	v_add_co_u32_e32 v11, vcc, v9, v11
	v_addc_co_u32_e32 v12, vcc, 0, v10, vcc
	v_mul_lo_u32 v13, s45, v11
	v_mul_lo_u32 v14, s44, v12
	v_mad_u64_u32 v[9:10], s[0:1], s44, v11, 0
	v_add3_u32 v10, v10, v14, v13
	v_sub_u32_e32 v13, v7, v10
	v_mov_b32_e32 v14, s45
	v_sub_co_u32_e32 v5, vcc, v5, v9
	v_subb_co_u32_e64 v9, s[0:1], v13, v14, vcc
	v_subrev_co_u32_e64 v13, s[0:1], s44, v5
	v_subbrev_co_u32_e64 v9, s[0:1], 0, v9, s[0:1]
	v_cmp_le_u32_e64 s[0:1], s45, v9
	v_cndmask_b32_e64 v14, 0, -1, s[0:1]
	v_cmp_le_u32_e64 s[0:1], s44, v13
	v_cndmask_b32_e64 v13, 0, -1, s[0:1]
	v_cmp_eq_u32_e64 s[0:1], s45, v9
	v_cndmask_b32_e64 v9, v14, v13, s[0:1]
	v_add_co_u32_e64 v13, s[0:1], 2, v11
	v_subb_co_u32_e32 v7, vcc, v7, v10, vcc
	v_addc_co_u32_e64 v14, s[0:1], 0, v12, s[0:1]
	v_cmp_le_u32_e32 vcc, s45, v7
	v_add_co_u32_e64 v15, s[0:1], 1, v11
	v_cndmask_b32_e64 v10, 0, -1, vcc
	v_cmp_le_u32_e32 vcc, s44, v5
	v_addc_co_u32_e64 v16, s[0:1], 0, v12, s[0:1]
	v_cndmask_b32_e64 v5, 0, -1, vcc
	v_cmp_eq_u32_e32 vcc, s45, v7
	v_cmp_ne_u32_e64 s[0:1], 0, v9
	v_cndmask_b32_e32 v5, v10, v5, vcc
	v_cmp_ne_u32_e32 vcc, 0, v5
	v_cndmask_b32_e64 v7, v15, v13, s[0:1]
	v_cndmask_b32_e64 v9, v16, v14, s[0:1]
	v_cndmask_b32_e32 v7, v11, v7, vcc
	v_cndmask_b32_e32 v5, v12, v9, vcc
	v_xor_b32_e32 v7, v7, v3
	v_xor_b32_e32 v5, v5, v3
	v_sub_co_u32_e32 v10, vcc, v7, v3
	v_subb_co_u32_e32 v11, vcc, v5, v3, vcc
.LBB37_15:                              ;   in Loop: Header=BB37_13 Depth=2
	s_andn2_saveexec_b64 s[0:1], s[40:41]
	s_cbranch_execz .LBB37_17
; %bb.16:                               ;   in Loop: Header=BB37_13 Depth=2
	v_cvt_f32_u32_e32 v3, s17
	s_sub_i32 s35, 0, s17
	v_mov_b32_e32 v11, v2
	v_rcp_iflag_f32_e32 v3, v3
	v_mul_f32_e32 v3, 0x4f7ffffe, v3
	v_cvt_u32_f32_e32 v3, v3
	v_mul_lo_u32 v5, s35, v3
	v_mul_hi_u32 v5, v3, v5
	v_add_u32_e32 v3, v3, v5
	v_mul_hi_u32 v3, v8, v3
	v_mul_lo_u32 v5, v3, s17
	v_add_u32_e32 v7, 1, v3
	v_sub_u32_e32 v5, v8, v5
	v_subrev_u32_e32 v9, s17, v5
	v_cmp_le_u32_e32 vcc, s17, v5
	v_cndmask_b32_e32 v5, v5, v9, vcc
	v_cndmask_b32_e32 v3, v3, v7, vcc
	v_add_u32_e32 v7, 1, v3
	v_cmp_le_u32_e32 vcc, s17, v5
	v_cndmask_b32_e32 v10, v3, v7, vcc
.LBB37_17:                              ;   in Loop: Header=BB37_13 Depth=2
	s_or_b64 exec, exec, s[0:1]
	s_add_u32 s0, s4, s36
	s_addc_u32 s1, s5, s37
	v_mul_lo_u32 v3, v10, s17
	s_load_dword s17, s[38:39], 0x6c
	s_load_dword s35, s[0:1], 0x6c
	s_add_i32 s20, s20, -1
	v_sub_u32_e32 v3, v8, v3
	s_waitcnt lgkmcnt(0)
	v_mad_u64_u32 v[6:7], s[0:1], s17, v3, v[6:7]
	v_mad_u64_u32 v[4:5], s[0:1], s35, v3, v[4:5]
	s_xor_b32 s0, s52, s15
	s_add_i32 s15, s15, 1
	s_cmp_lg_u32 s0, 2
	s_cbranch_scc0 .LBB37_19
; %bb.18:                               ;   in Loop: Header=BB37_13 Depth=2
	v_mov_b32_e32 v8, v10
	v_mov_b32_e32 v9, v11
	s_branch .LBB37_13
.LBB37_19:                              ;   in Loop: Header=BB37_3 Depth=1
	v_mov_b32_e32 v8, v10
	s_mov_b32 s0, s20
	v_mov_b32_e32 v9, v11
.LBB37_20:                              ;   in Loop: Header=BB37_3 Depth=1
	s_and_b64 vcc, exec, s[24:25]
	s_mov_b32 s20, s0
	s_cbranch_vccz .LBB37_39
.LBB37_21:                              ;   Parent Loop BB37_3 Depth=1
                                        ; =>  This Inner Loop Header: Depth=2
	s_lshl_b64 s[36:37], s[20:21], 2
	s_add_u32 s38, s46, s36
	s_addc_u32 s39, s47, s37
	s_load_dword s15, s[38:39], 0x8
                                        ; implicit-def: $vgpr10_vgpr11
	s_waitcnt lgkmcnt(0)
	s_ashr_i32 s0, s15, 31
	v_or_b32_e32 v3, s0, v9
	v_cmp_ne_u64_e32 vcc, 0, v[2:3]
	s_and_saveexec_b64 s[40:41], vcc
	s_xor_b64 s[40:41], exec, s[40:41]
	s_cbranch_execz .LBB37_23
; %bb.22:                               ;   in Loop: Header=BB37_21 Depth=2
	s_ashr_i32 s42, s0, 31
	s_add_u32 s44, s15, s42
	s_mov_b32 s43, s42
	s_addc_u32 s45, s0, s42
	s_xor_b64 s[44:45], s[44:45], s[42:43]
	v_cvt_f32_u32_e32 v3, s44
	v_cvt_f32_u32_e32 v5, s45
	s_sub_u32 s17, 0, s44
	s_subb_u32 s35, 0, s45
	v_mac_f32_e32 v3, 0x4f800000, v5
	v_rcp_f32_e32 v3, v3
	v_mul_f32_e32 v3, 0x5f7ffffc, v3
	v_mul_f32_e32 v5, 0x2f800000, v3
	v_trunc_f32_e32 v5, v5
	v_mac_f32_e32 v3, 0xcf800000, v5
	v_cvt_u32_f32_e32 v5, v5
	v_cvt_u32_f32_e32 v3, v3
	v_readfirstlane_b32 s43, v5
	v_readfirstlane_b32 s0, v3
	s_mul_i32 s1, s17, s43
	s_mul_hi_u32 s54, s17, s0
	s_mul_i32 s53, s35, s0
	s_add_i32 s1, s54, s1
	s_add_i32 s1, s1, s53
	s_mul_i32 s55, s17, s0
	s_mul_i32 s54, s0, s1
	s_mul_hi_u32 s56, s0, s55
	s_mul_hi_u32 s53, s0, s1
	s_add_u32 s54, s56, s54
	s_addc_u32 s53, 0, s53
	s_mul_hi_u32 s57, s43, s55
	s_mul_i32 s55, s43, s55
	s_add_u32 s54, s54, s55
	s_mul_hi_u32 s56, s43, s1
	s_addc_u32 s53, s53, s57
	s_addc_u32 s54, s56, 0
	s_mul_i32 s1, s43, s1
	s_add_u32 s1, s53, s1
	s_addc_u32 s53, 0, s54
	s_add_u32 s54, s0, s1
	s_cselect_b64 s[0:1], -1, 0
	s_cmp_lg_u64 s[0:1], 0
	s_addc_u32 s43, s43, s53
	s_mul_i32 s0, s17, s43
	s_mul_hi_u32 s1, s17, s54
	s_add_i32 s0, s1, s0
	s_mul_i32 s35, s35, s54
	s_add_i32 s0, s0, s35
	s_mul_i32 s17, s17, s54
	s_mul_hi_u32 s35, s43, s17
	s_mul_i32 s53, s43, s17
	s_mul_i32 s56, s54, s0
	s_mul_hi_u32 s17, s54, s17
	s_mul_hi_u32 s55, s54, s0
	s_add_u32 s17, s17, s56
	s_addc_u32 s55, 0, s55
	s_add_u32 s17, s17, s53
	s_mul_hi_u32 s1, s43, s0
	s_addc_u32 s17, s55, s35
	s_addc_u32 s1, s1, 0
	s_mul_i32 s0, s43, s0
	s_add_u32 s0, s17, s0
	s_addc_u32 s17, 0, s1
	s_add_u32 s35, s54, s0
	s_cselect_b64 s[0:1], -1, 0
	v_ashrrev_i32_e32 v3, 31, v9
	s_cmp_lg_u64 s[0:1], 0
	v_add_co_u32_e32 v5, vcc, v8, v3
	s_addc_u32 s17, s43, s17
	v_xor_b32_e32 v5, v5, v3
	v_addc_co_u32_e32 v7, vcc, v9, v3, vcc
	v_mad_u64_u32 v[9:10], s[0:1], v5, s17, 0
	v_mul_hi_u32 v11, v5, s35
	v_xor_b32_e32 v7, v7, v3
	v_xor_b32_e32 v3, s42, v3
	v_add_co_u32_e32 v13, vcc, v11, v9
	v_addc_co_u32_e32 v14, vcc, 0, v10, vcc
	v_mad_u64_u32 v[9:10], s[0:1], v7, s35, 0
	v_mad_u64_u32 v[11:12], s[0:1], v7, s17, 0
	v_add_co_u32_e32 v9, vcc, v13, v9
	v_addc_co_u32_e32 v9, vcc, v14, v10, vcc
	v_addc_co_u32_e32 v10, vcc, 0, v12, vcc
	v_add_co_u32_e32 v11, vcc, v9, v11
	v_addc_co_u32_e32 v12, vcc, 0, v10, vcc
	v_mul_lo_u32 v13, s45, v11
	v_mul_lo_u32 v14, s44, v12
	v_mad_u64_u32 v[9:10], s[0:1], s44, v11, 0
	v_add3_u32 v10, v10, v14, v13
	v_sub_u32_e32 v13, v7, v10
	v_mov_b32_e32 v14, s45
	v_sub_co_u32_e32 v5, vcc, v5, v9
	v_subb_co_u32_e64 v9, s[0:1], v13, v14, vcc
	v_subrev_co_u32_e64 v13, s[0:1], s44, v5
	v_subbrev_co_u32_e64 v9, s[0:1], 0, v9, s[0:1]
	v_cmp_le_u32_e64 s[0:1], s45, v9
	v_cndmask_b32_e64 v14, 0, -1, s[0:1]
	v_cmp_le_u32_e64 s[0:1], s44, v13
	v_cndmask_b32_e64 v13, 0, -1, s[0:1]
	v_cmp_eq_u32_e64 s[0:1], s45, v9
	v_cndmask_b32_e64 v9, v14, v13, s[0:1]
	v_add_co_u32_e64 v13, s[0:1], 2, v11
	v_subb_co_u32_e32 v7, vcc, v7, v10, vcc
	v_addc_co_u32_e64 v14, s[0:1], 0, v12, s[0:1]
	v_cmp_le_u32_e32 vcc, s45, v7
	v_add_co_u32_e64 v15, s[0:1], 1, v11
	v_cndmask_b32_e64 v10, 0, -1, vcc
	v_cmp_le_u32_e32 vcc, s44, v5
	v_addc_co_u32_e64 v16, s[0:1], 0, v12, s[0:1]
	v_cndmask_b32_e64 v5, 0, -1, vcc
	v_cmp_eq_u32_e32 vcc, s45, v7
	v_cmp_ne_u32_e64 s[0:1], 0, v9
	v_cndmask_b32_e32 v5, v10, v5, vcc
	v_cmp_ne_u32_e32 vcc, 0, v5
	v_cndmask_b32_e64 v7, v15, v13, s[0:1]
	v_cndmask_b32_e64 v9, v16, v14, s[0:1]
	v_cndmask_b32_e32 v7, v11, v7, vcc
	v_cndmask_b32_e32 v5, v12, v9, vcc
	v_xor_b32_e32 v7, v7, v3
	v_xor_b32_e32 v5, v5, v3
	v_sub_co_u32_e32 v10, vcc, v7, v3
	v_subb_co_u32_e32 v11, vcc, v5, v3, vcc
.LBB37_23:                              ;   in Loop: Header=BB37_21 Depth=2
	s_andn2_saveexec_b64 s[0:1], s[40:41]
	s_cbranch_execz .LBB37_25
; %bb.24:                               ;   in Loop: Header=BB37_21 Depth=2
	v_cvt_f32_u32_e32 v3, s15
	s_sub_i32 s17, 0, s15
	v_mov_b32_e32 v11, v2
	v_rcp_iflag_f32_e32 v3, v3
	v_mul_f32_e32 v3, 0x4f7ffffe, v3
	v_cvt_u32_f32_e32 v3, v3
	v_mul_lo_u32 v5, s17, v3
	v_mul_hi_u32 v5, v3, v5
	v_add_u32_e32 v3, v3, v5
	v_mul_hi_u32 v3, v8, v3
	v_mul_lo_u32 v5, v3, s15
	v_add_u32_e32 v7, 1, v3
	v_sub_u32_e32 v5, v8, v5
	v_subrev_u32_e32 v9, s15, v5
	v_cmp_le_u32_e32 vcc, s15, v5
	v_cndmask_b32_e32 v5, v5, v9, vcc
	v_cndmask_b32_e32 v3, v3, v7, vcc
	v_add_u32_e32 v7, 1, v3
	v_cmp_le_u32_e32 vcc, s15, v5
	v_cndmask_b32_e32 v10, v3, v7, vcc
.LBB37_25:                              ;   in Loop: Header=BB37_21 Depth=2
	s_or_b64 exec, exec, s[0:1]
	s_add_u32 s0, s4, s36
	s_addc_u32 s1, s5, s37
	s_add_i32 s36, s20, -1
	s_mov_b32 s37, s21
	s_lshl_b64 s[40:41], s[36:37], 2
	s_add_u32 s36, s46, s40
	s_addc_u32 s37, s47, s41
	s_load_dword s53, s[36:37], 0x8
	s_load_dword s35, s[38:39], 0x6c
	s_load_dword s17, s[0:1], 0x6c
                                        ; implicit-def: $vgpr12_vgpr13
	s_waitcnt lgkmcnt(0)
	s_ashr_i32 s0, s53, 31
	v_or_b32_e32 v3, s0, v11
	v_cmp_ne_u64_e32 vcc, 0, v[2:3]
	s_and_saveexec_b64 s[38:39], vcc
	s_xor_b64 s[38:39], exec, s[38:39]
	s_cbranch_execz .LBB37_27
; %bb.26:                               ;   in Loop: Header=BB37_21 Depth=2
	s_ashr_i32 s42, s0, 31
	s_add_u32 s44, s53, s42
	s_mov_b32 s43, s42
	s_addc_u32 s45, s0, s42
	s_xor_b64 s[44:45], s[44:45], s[42:43]
	v_cvt_f32_u32_e32 v3, s44
	v_cvt_f32_u32_e32 v5, s45
	s_sub_u32 s43, 0, s44
	s_subb_u32 s54, 0, s45
	v_mac_f32_e32 v3, 0x4f800000, v5
	v_rcp_f32_e32 v3, v3
	v_mul_f32_e32 v3, 0x5f7ffffc, v3
	v_mul_f32_e32 v5, 0x2f800000, v3
	v_trunc_f32_e32 v5, v5
	v_mac_f32_e32 v3, 0xcf800000, v5
	v_cvt_u32_f32_e32 v5, v5
	v_cvt_u32_f32_e32 v3, v3
	v_readfirstlane_b32 s55, v5
	v_readfirstlane_b32 s0, v3
	s_mul_i32 s1, s43, s55
	s_mul_hi_u32 s57, s43, s0
	s_mul_i32 s56, s54, s0
	s_add_i32 s1, s57, s1
	s_add_i32 s1, s1, s56
	s_mul_i32 s58, s43, s0
	s_mul_i32 s57, s0, s1
	s_mul_hi_u32 s59, s0, s58
	s_mul_hi_u32 s56, s0, s1
	s_add_u32 s57, s59, s57
	s_addc_u32 s56, 0, s56
	s_mul_hi_u32 s60, s55, s58
	s_mul_i32 s58, s55, s58
	s_add_u32 s57, s57, s58
	s_mul_hi_u32 s59, s55, s1
	s_addc_u32 s56, s56, s60
	s_addc_u32 s57, s59, 0
	s_mul_i32 s1, s55, s1
	s_add_u32 s1, s56, s1
	s_addc_u32 s56, 0, s57
	s_add_u32 s57, s0, s1
	s_cselect_b64 s[0:1], -1, 0
	s_cmp_lg_u64 s[0:1], 0
	s_addc_u32 s55, s55, s56
	s_mul_i32 s0, s43, s55
	s_mul_hi_u32 s1, s43, s57
	s_add_i32 s0, s1, s0
	s_mul_i32 s54, s54, s57
	s_add_i32 s0, s0, s54
	s_mul_i32 s43, s43, s57
	s_mul_hi_u32 s54, s55, s43
	s_mul_i32 s56, s55, s43
	s_mul_i32 s59, s57, s0
	s_mul_hi_u32 s43, s57, s43
	s_mul_hi_u32 s58, s57, s0
	s_add_u32 s43, s43, s59
	s_addc_u32 s58, 0, s58
	s_add_u32 s43, s43, s56
	s_mul_hi_u32 s1, s55, s0
	s_addc_u32 s43, s58, s54
	s_addc_u32 s1, s1, 0
	s_mul_i32 s0, s55, s0
	s_add_u32 s0, s43, s0
	s_addc_u32 s43, 0, s1
	s_add_u32 s54, s57, s0
	s_cselect_b64 s[0:1], -1, 0
	v_ashrrev_i32_e32 v3, 31, v11
	s_cmp_lg_u64 s[0:1], 0
	v_add_co_u32_e32 v5, vcc, v10, v3
	s_addc_u32 s43, s55, s43
	v_xor_b32_e32 v5, v5, v3
	v_addc_co_u32_e32 v7, vcc, v11, v3, vcc
	v_mad_u64_u32 v[11:12], s[0:1], v5, s43, 0
	v_mul_hi_u32 v9, v5, s54
	v_xor_b32_e32 v7, v7, v3
	v_mad_u64_u32 v[13:14], s[0:1], v7, s43, 0
	v_add_co_u32_e32 v9, vcc, v9, v11
	v_addc_co_u32_e32 v15, vcc, 0, v12, vcc
	v_mad_u64_u32 v[11:12], s[0:1], v7, s54, 0
	v_xor_b32_e32 v3, s42, v3
	v_add_co_u32_e32 v9, vcc, v9, v11
	v_addc_co_u32_e32 v9, vcc, v15, v12, vcc
	v_addc_co_u32_e32 v11, vcc, 0, v14, vcc
	v_add_co_u32_e32 v9, vcc, v9, v13
	v_addc_co_u32_e32 v13, vcc, 0, v11, vcc
	v_mul_lo_u32 v14, s45, v9
	v_mul_lo_u32 v15, s44, v13
	v_mad_u64_u32 v[11:12], s[0:1], s44, v9, 0
	v_add3_u32 v12, v12, v15, v14
	v_sub_u32_e32 v14, v7, v12
	v_mov_b32_e32 v15, s45
	v_sub_co_u32_e32 v5, vcc, v5, v11
	v_subb_co_u32_e64 v11, s[0:1], v14, v15, vcc
	v_subrev_co_u32_e64 v14, s[0:1], s44, v5
	v_subbrev_co_u32_e64 v11, s[0:1], 0, v11, s[0:1]
	v_cmp_le_u32_e64 s[0:1], s45, v11
	v_cndmask_b32_e64 v15, 0, -1, s[0:1]
	v_cmp_le_u32_e64 s[0:1], s44, v14
	v_cndmask_b32_e64 v14, 0, -1, s[0:1]
	v_cmp_eq_u32_e64 s[0:1], s45, v11
	v_cndmask_b32_e64 v11, v15, v14, s[0:1]
	v_add_co_u32_e64 v14, s[0:1], 2, v9
	v_subb_co_u32_e32 v7, vcc, v7, v12, vcc
	v_addc_co_u32_e64 v15, s[0:1], 0, v13, s[0:1]
	v_cmp_le_u32_e32 vcc, s45, v7
	v_add_co_u32_e64 v16, s[0:1], 1, v9
	v_cndmask_b32_e64 v12, 0, -1, vcc
	v_cmp_le_u32_e32 vcc, s44, v5
	v_addc_co_u32_e64 v17, s[0:1], 0, v13, s[0:1]
	v_cndmask_b32_e64 v5, 0, -1, vcc
	v_cmp_eq_u32_e32 vcc, s45, v7
	v_cmp_ne_u32_e64 s[0:1], 0, v11
	v_cndmask_b32_e32 v5, v12, v5, vcc
	v_cmp_ne_u32_e32 vcc, 0, v5
	v_cndmask_b32_e64 v7, v16, v14, s[0:1]
	v_cndmask_b32_e64 v11, v17, v15, s[0:1]
	v_cndmask_b32_e32 v7, v9, v7, vcc
	v_cndmask_b32_e32 v5, v13, v11, vcc
	v_xor_b32_e32 v7, v7, v3
	v_xor_b32_e32 v5, v5, v3
	v_sub_co_u32_e32 v12, vcc, v7, v3
	v_subb_co_u32_e32 v13, vcc, v5, v3, vcc
.LBB37_27:                              ;   in Loop: Header=BB37_21 Depth=2
	s_andn2_saveexec_b64 s[0:1], s[38:39]
	s_cbranch_execz .LBB37_29
; %bb.28:                               ;   in Loop: Header=BB37_21 Depth=2
	v_cvt_f32_u32_e32 v3, s53
	s_sub_i32 s38, 0, s53
	v_mov_b32_e32 v13, v2
	v_rcp_iflag_f32_e32 v3, v3
	v_mul_f32_e32 v3, 0x4f7ffffe, v3
	v_cvt_u32_f32_e32 v3, v3
	v_mul_lo_u32 v5, s38, v3
	v_mul_hi_u32 v5, v3, v5
	v_add_u32_e32 v3, v3, v5
	v_mul_hi_u32 v3, v10, v3
	v_mul_lo_u32 v5, v3, s53
	v_add_u32_e32 v7, 1, v3
	v_sub_u32_e32 v5, v10, v5
	v_subrev_u32_e32 v9, s53, v5
	v_cmp_le_u32_e32 vcc, s53, v5
	v_cndmask_b32_e32 v5, v5, v9, vcc
	v_cndmask_b32_e32 v3, v3, v7, vcc
	v_add_u32_e32 v7, 1, v3
	v_cmp_le_u32_e32 vcc, s53, v5
	v_cndmask_b32_e32 v12, v3, v7, vcc
.LBB37_29:                              ;   in Loop: Header=BB37_21 Depth=2
	s_or_b64 exec, exec, s[0:1]
	s_add_u32 s0, s4, s40
	s_addc_u32 s1, s5, s41
	s_add_i32 s38, s20, -2
	s_mov_b32 s39, s21
	s_lshl_b64 s[38:39], s[38:39], 2
	s_add_u32 s40, s46, s38
	s_addc_u32 s41, s47, s39
	s_load_dword s55, s[40:41], 0x8
	s_load_dword s56, s[36:37], 0x6c
	;; [unrolled: 1-line block ×3, first 2 shown]
                                        ; implicit-def: $vgpr14_vgpr15
	s_waitcnt lgkmcnt(0)
	s_ashr_i32 s0, s55, 31
	v_or_b32_e32 v3, s0, v13
	v_cmp_ne_u64_e32 vcc, 0, v[2:3]
	s_and_saveexec_b64 s[36:37], vcc
	s_xor_b64 s[36:37], exec, s[36:37]
	s_cbranch_execz .LBB37_31
; %bb.30:                               ;   in Loop: Header=BB37_21 Depth=2
	s_ashr_i32 s42, s0, 31
	s_add_u32 s44, s55, s42
	s_mov_b32 s43, s42
	s_addc_u32 s45, s0, s42
	s_xor_b64 s[44:45], s[44:45], s[42:43]
	v_cvt_f32_u32_e32 v3, s44
	v_cvt_f32_u32_e32 v5, s45
	s_sub_u32 s43, 0, s44
	s_subb_u32 s57, 0, s45
	v_mac_f32_e32 v3, 0x4f800000, v5
	v_rcp_f32_e32 v3, v3
	v_mul_f32_e32 v3, 0x5f7ffffc, v3
	v_mul_f32_e32 v5, 0x2f800000, v3
	v_trunc_f32_e32 v5, v5
	v_mac_f32_e32 v3, 0xcf800000, v5
	v_cvt_u32_f32_e32 v5, v5
	v_cvt_u32_f32_e32 v3, v3
	v_readfirstlane_b32 s58, v5
	v_readfirstlane_b32 s0, v3
	s_mul_i32 s1, s43, s58
	s_mul_hi_u32 s60, s43, s0
	s_mul_i32 s59, s57, s0
	s_add_i32 s1, s60, s1
	s_add_i32 s1, s1, s59
	s_mul_i32 s61, s43, s0
	s_mul_i32 s60, s0, s1
	s_mul_hi_u32 s62, s0, s61
	s_mul_hi_u32 s59, s0, s1
	s_add_u32 s60, s62, s60
	s_addc_u32 s59, 0, s59
	s_mul_hi_u32 s63, s58, s61
	s_mul_i32 s61, s58, s61
	s_add_u32 s60, s60, s61
	s_mul_hi_u32 s62, s58, s1
	s_addc_u32 s59, s59, s63
	s_addc_u32 s60, s62, 0
	s_mul_i32 s1, s58, s1
	s_add_u32 s1, s59, s1
	s_addc_u32 s59, 0, s60
	s_add_u32 s60, s0, s1
	s_cselect_b64 s[0:1], -1, 0
	s_cmp_lg_u64 s[0:1], 0
	s_addc_u32 s58, s58, s59
	s_mul_i32 s0, s43, s58
	s_mul_hi_u32 s1, s43, s60
	s_add_i32 s0, s1, s0
	s_mul_i32 s57, s57, s60
	s_add_i32 s0, s0, s57
	s_mul_i32 s43, s43, s60
	s_mul_hi_u32 s57, s58, s43
	s_mul_i32 s59, s58, s43
	s_mul_i32 s62, s60, s0
	s_mul_hi_u32 s43, s60, s43
	s_mul_hi_u32 s61, s60, s0
	s_add_u32 s43, s43, s62
	s_addc_u32 s61, 0, s61
	s_add_u32 s43, s43, s59
	s_mul_hi_u32 s1, s58, s0
	s_addc_u32 s43, s61, s57
	s_addc_u32 s1, s1, 0
	s_mul_i32 s0, s58, s0
	s_add_u32 s0, s43, s0
	s_addc_u32 s43, 0, s1
	s_add_u32 s57, s60, s0
	s_cselect_b64 s[0:1], -1, 0
	v_ashrrev_i32_e32 v3, 31, v13
	s_cmp_lg_u64 s[0:1], 0
	v_add_co_u32_e32 v5, vcc, v12, v3
	s_addc_u32 s43, s58, s43
	v_xor_b32_e32 v5, v5, v3
	v_addc_co_u32_e32 v7, vcc, v13, v3, vcc
	v_mad_u64_u32 v[13:14], s[0:1], v5, s43, 0
	v_mul_hi_u32 v9, v5, s57
	v_xor_b32_e32 v7, v7, v3
	v_mad_u64_u32 v[15:16], s[0:1], v7, s43, 0
	v_add_co_u32_e32 v9, vcc, v9, v13
	v_addc_co_u32_e32 v11, vcc, 0, v14, vcc
	v_mad_u64_u32 v[13:14], s[0:1], v7, s57, 0
	v_xor_b32_e32 v3, s42, v3
	v_add_co_u32_e32 v9, vcc, v9, v13
	v_addc_co_u32_e32 v9, vcc, v11, v14, vcc
	v_addc_co_u32_e32 v11, vcc, 0, v16, vcc
	v_add_co_u32_e32 v9, vcc, v9, v15
	v_addc_co_u32_e32 v11, vcc, 0, v11, vcc
	v_mul_lo_u32 v15, s45, v9
	v_mul_lo_u32 v16, s44, v11
	v_mad_u64_u32 v[13:14], s[0:1], s44, v9, 0
	v_add3_u32 v14, v14, v16, v15
	v_sub_u32_e32 v15, v7, v14
	v_mov_b32_e32 v16, s45
	v_sub_co_u32_e32 v5, vcc, v5, v13
	v_subb_co_u32_e64 v13, s[0:1], v15, v16, vcc
	v_subrev_co_u32_e64 v15, s[0:1], s44, v5
	v_subbrev_co_u32_e64 v13, s[0:1], 0, v13, s[0:1]
	v_cmp_le_u32_e64 s[0:1], s45, v13
	v_cndmask_b32_e64 v16, 0, -1, s[0:1]
	v_cmp_le_u32_e64 s[0:1], s44, v15
	v_cndmask_b32_e64 v15, 0, -1, s[0:1]
	v_cmp_eq_u32_e64 s[0:1], s45, v13
	v_cndmask_b32_e64 v13, v16, v15, s[0:1]
	v_add_co_u32_e64 v15, s[0:1], 2, v9
	v_subb_co_u32_e32 v7, vcc, v7, v14, vcc
	v_addc_co_u32_e64 v16, s[0:1], 0, v11, s[0:1]
	v_cmp_le_u32_e32 vcc, s45, v7
	v_add_co_u32_e64 v17, s[0:1], 1, v9
	v_cndmask_b32_e64 v14, 0, -1, vcc
	v_cmp_le_u32_e32 vcc, s44, v5
	v_addc_co_u32_e64 v20, s[0:1], 0, v11, s[0:1]
	v_cndmask_b32_e64 v5, 0, -1, vcc
	v_cmp_eq_u32_e32 vcc, s45, v7
	v_cmp_ne_u32_e64 s[0:1], 0, v13
	v_cndmask_b32_e32 v5, v14, v5, vcc
	v_cmp_ne_u32_e32 vcc, 0, v5
	v_cndmask_b32_e64 v7, v17, v15, s[0:1]
	v_cndmask_b32_e64 v13, v20, v16, s[0:1]
	v_cndmask_b32_e32 v7, v9, v7, vcc
	v_cndmask_b32_e32 v5, v11, v13, vcc
	v_xor_b32_e32 v7, v7, v3
	v_xor_b32_e32 v5, v5, v3
	v_sub_co_u32_e32 v14, vcc, v7, v3
	v_subb_co_u32_e32 v15, vcc, v5, v3, vcc
.LBB37_31:                              ;   in Loop: Header=BB37_21 Depth=2
	s_andn2_saveexec_b64 s[0:1], s[36:37]
	s_cbranch_execz .LBB37_33
; %bb.32:                               ;   in Loop: Header=BB37_21 Depth=2
	v_cvt_f32_u32_e32 v3, s55
	s_sub_i32 s36, 0, s55
	v_mov_b32_e32 v15, v2
	v_rcp_iflag_f32_e32 v3, v3
	v_mul_f32_e32 v3, 0x4f7ffffe, v3
	v_cvt_u32_f32_e32 v3, v3
	v_mul_lo_u32 v5, s36, v3
	v_mul_hi_u32 v5, v3, v5
	v_add_u32_e32 v3, v3, v5
	v_mul_hi_u32 v3, v12, v3
	v_mul_lo_u32 v5, v3, s55
	v_add_u32_e32 v7, 1, v3
	v_sub_u32_e32 v5, v12, v5
	v_subrev_u32_e32 v9, s55, v5
	v_cmp_le_u32_e32 vcc, s55, v5
	v_cndmask_b32_e32 v5, v5, v9, vcc
	v_cndmask_b32_e32 v3, v3, v7, vcc
	v_add_u32_e32 v7, 1, v3
	v_cmp_le_u32_e32 vcc, s55, v5
	v_cndmask_b32_e32 v14, v3, v7, vcc
.LBB37_33:                              ;   in Loop: Header=BB37_21 Depth=2
	s_or_b64 exec, exec, s[0:1]
	s_add_u32 s0, s4, s38
	s_addc_u32 s1, s5, s39
	s_add_i32 s36, s20, -3
	s_mov_b32 s37, s21
	s_lshl_b64 s[36:37], s[36:37], 2
	s_add_u32 s38, s46, s36
	s_addc_u32 s39, s47, s37
	s_load_dword s58, s[38:39], 0x8
	s_load_dword s59, s[40:41], 0x6c
	;; [unrolled: 1-line block ×3, first 2 shown]
                                        ; implicit-def: $vgpr16_vgpr17
	s_waitcnt lgkmcnt(0)
	s_ashr_i32 s0, s58, 31
	v_or_b32_e32 v3, s0, v15
	v_cmp_ne_u64_e32 vcc, 0, v[2:3]
	s_and_saveexec_b64 s[40:41], vcc
	s_xor_b64 s[40:41], exec, s[40:41]
	s_cbranch_execz .LBB37_35
; %bb.34:                               ;   in Loop: Header=BB37_21 Depth=2
	s_ashr_i32 s42, s0, 31
	s_add_u32 s44, s58, s42
	s_mov_b32 s43, s42
	s_addc_u32 s45, s0, s42
	s_xor_b64 s[44:45], s[44:45], s[42:43]
	v_cvt_f32_u32_e32 v3, s44
	v_cvt_f32_u32_e32 v5, s45
	s_sub_u32 s43, 0, s44
	s_subb_u32 s60, 0, s45
	v_mac_f32_e32 v3, 0x4f800000, v5
	v_rcp_f32_e32 v3, v3
	v_mul_f32_e32 v3, 0x5f7ffffc, v3
	v_mul_f32_e32 v5, 0x2f800000, v3
	v_trunc_f32_e32 v5, v5
	v_mac_f32_e32 v3, 0xcf800000, v5
	v_cvt_u32_f32_e32 v5, v5
	v_cvt_u32_f32_e32 v3, v3
	v_readfirstlane_b32 s61, v5
	v_readfirstlane_b32 s0, v3
	s_mul_i32 s1, s43, s61
	s_mul_hi_u32 s63, s43, s0
	s_mul_i32 s62, s60, s0
	s_add_i32 s1, s63, s1
	s_add_i32 s1, s1, s62
	s_mul_i32 s64, s43, s0
	s_mul_i32 s63, s0, s1
	s_mul_hi_u32 s65, s0, s64
	s_mul_hi_u32 s62, s0, s1
	s_add_u32 s63, s65, s63
	s_addc_u32 s62, 0, s62
	s_mul_hi_u32 s66, s61, s64
	s_mul_i32 s64, s61, s64
	s_add_u32 s63, s63, s64
	s_mul_hi_u32 s65, s61, s1
	s_addc_u32 s62, s62, s66
	s_addc_u32 s63, s65, 0
	s_mul_i32 s1, s61, s1
	s_add_u32 s1, s62, s1
	s_addc_u32 s62, 0, s63
	s_add_u32 s63, s0, s1
	s_cselect_b64 s[0:1], -1, 0
	s_cmp_lg_u64 s[0:1], 0
	s_addc_u32 s61, s61, s62
	s_mul_i32 s0, s43, s61
	s_mul_hi_u32 s1, s43, s63
	s_add_i32 s0, s1, s0
	s_mul_i32 s60, s60, s63
	s_add_i32 s0, s0, s60
	s_mul_i32 s43, s43, s63
	s_mul_hi_u32 s60, s61, s43
	s_mul_i32 s62, s61, s43
	s_mul_i32 s65, s63, s0
	s_mul_hi_u32 s43, s63, s43
	s_mul_hi_u32 s64, s63, s0
	s_add_u32 s43, s43, s65
	s_addc_u32 s64, 0, s64
	s_add_u32 s43, s43, s62
	s_mul_hi_u32 s1, s61, s0
	s_addc_u32 s43, s64, s60
	s_addc_u32 s1, s1, 0
	s_mul_i32 s0, s61, s0
	s_add_u32 s0, s43, s0
	s_addc_u32 s43, 0, s1
	s_add_u32 s60, s63, s0
	s_cselect_b64 s[0:1], -1, 0
	v_ashrrev_i32_e32 v3, 31, v15
	s_cmp_lg_u64 s[0:1], 0
	v_add_co_u32_e32 v5, vcc, v14, v3
	s_addc_u32 s43, s61, s43
	v_xor_b32_e32 v5, v5, v3
	v_addc_co_u32_e32 v7, vcc, v15, v3, vcc
	v_mad_u64_u32 v[15:16], s[0:1], v5, s43, 0
	v_mul_hi_u32 v9, v5, s60
	v_xor_b32_e32 v7, v7, v3
	v_mad_u64_u32 v[20:21], s[0:1], v7, s43, 0
	v_add_co_u32_e32 v9, vcc, v9, v15
	v_addc_co_u32_e32 v11, vcc, 0, v16, vcc
	v_mad_u64_u32 v[15:16], s[0:1], v7, s60, 0
	v_xor_b32_e32 v3, s42, v3
	v_add_co_u32_e32 v9, vcc, v9, v15
	v_addc_co_u32_e32 v9, vcc, v11, v16, vcc
	v_addc_co_u32_e32 v11, vcc, 0, v21, vcc
	v_add_co_u32_e32 v9, vcc, v9, v20
	v_addc_co_u32_e32 v11, vcc, 0, v11, vcc
	v_mul_lo_u32 v13, s45, v9
	v_mul_lo_u32 v17, s44, v11
	v_mad_u64_u32 v[15:16], s[0:1], s44, v9, 0
	v_add3_u32 v13, v16, v17, v13
	v_sub_u32_e32 v16, v7, v13
	v_mov_b32_e32 v17, s45
	v_sub_co_u32_e32 v5, vcc, v5, v15
	v_subb_co_u32_e64 v15, s[0:1], v16, v17, vcc
	v_subrev_co_u32_e64 v16, s[0:1], s44, v5
	v_subbrev_co_u32_e64 v15, s[0:1], 0, v15, s[0:1]
	v_cmp_le_u32_e64 s[0:1], s45, v15
	v_cndmask_b32_e64 v17, 0, -1, s[0:1]
	v_cmp_le_u32_e64 s[0:1], s44, v16
	v_cndmask_b32_e64 v16, 0, -1, s[0:1]
	v_cmp_eq_u32_e64 s[0:1], s45, v15
	v_cndmask_b32_e64 v15, v17, v16, s[0:1]
	v_add_co_u32_e64 v16, s[0:1], 2, v9
	v_subb_co_u32_e32 v7, vcc, v7, v13, vcc
	v_addc_co_u32_e64 v17, s[0:1], 0, v11, s[0:1]
	v_cmp_le_u32_e32 vcc, s45, v7
	v_add_co_u32_e64 v20, s[0:1], 1, v9
	v_cndmask_b32_e64 v13, 0, -1, vcc
	v_cmp_le_u32_e32 vcc, s44, v5
	v_addc_co_u32_e64 v21, s[0:1], 0, v11, s[0:1]
	v_cndmask_b32_e64 v5, 0, -1, vcc
	v_cmp_eq_u32_e32 vcc, s45, v7
	v_cmp_ne_u32_e64 s[0:1], 0, v15
	v_cndmask_b32_e32 v5, v13, v5, vcc
	v_cmp_ne_u32_e32 vcc, 0, v5
	v_cndmask_b32_e64 v7, v20, v16, s[0:1]
	v_cndmask_b32_e64 v15, v21, v17, s[0:1]
	v_cndmask_b32_e32 v7, v9, v7, vcc
	v_cndmask_b32_e32 v5, v11, v15, vcc
	v_xor_b32_e32 v7, v7, v3
	v_xor_b32_e32 v5, v5, v3
	v_sub_co_u32_e32 v16, vcc, v7, v3
	v_subb_co_u32_e32 v17, vcc, v5, v3, vcc
.LBB37_35:                              ;   in Loop: Header=BB37_21 Depth=2
	s_andn2_saveexec_b64 s[0:1], s[40:41]
	s_cbranch_execz .LBB37_37
; %bb.36:                               ;   in Loop: Header=BB37_21 Depth=2
	v_cvt_f32_u32_e32 v3, s58
	s_sub_i32 s40, 0, s58
	v_mov_b32_e32 v17, v2
	v_rcp_iflag_f32_e32 v3, v3
	v_mul_f32_e32 v3, 0x4f7ffffe, v3
	v_cvt_u32_f32_e32 v3, v3
	v_mul_lo_u32 v5, s40, v3
	v_mul_hi_u32 v5, v3, v5
	v_add_u32_e32 v3, v3, v5
	v_mul_hi_u32 v3, v14, v3
	v_mul_lo_u32 v5, v3, s58
	v_add_u32_e32 v7, 1, v3
	v_sub_u32_e32 v5, v14, v5
	v_subrev_u32_e32 v9, s58, v5
	v_cmp_le_u32_e32 vcc, s58, v5
	v_cndmask_b32_e32 v5, v5, v9, vcc
	v_cndmask_b32_e32 v3, v3, v7, vcc
	v_add_u32_e32 v7, 1, v3
	v_cmp_le_u32_e32 vcc, s58, v5
	v_cndmask_b32_e32 v16, v3, v7, vcc
.LBB37_37:                              ;   in Loop: Header=BB37_21 Depth=2
	s_or_b64 exec, exec, s[0:1]
	v_mul_lo_u32 v3, v10, s15
	v_mul_lo_u32 v5, v12, s53
	;; [unrolled: 1-line block ×3, first 2 shown]
	s_add_u32 s0, s4, s36
	v_sub_u32_e32 v3, v8, v3
	v_sub_u32_e32 v5, v10, v5
	v_mul_lo_u32 v7, s35, v3
	v_mul_lo_u32 v8, s56, v5
	s_addc_u32 s1, s5, s37
	s_load_dword s15, s[38:39], 0x6c
	v_mul_lo_u32 v3, s17, v3
	v_add3_u32 v6, v7, v6, v8
	v_sub_u32_e32 v7, v12, v9
	v_mul_lo_u32 v9, v16, s58
	s_load_dword s0, s[0:1], 0x6c
	v_mul_lo_u32 v5, s54, v5
	v_mul_lo_u32 v8, s59, v7
	v_sub_u32_e32 v9, v14, v9
	s_waitcnt lgkmcnt(0)
	v_mul_lo_u32 v10, s15, v9
	v_add3_u32 v3, v3, v4, v5
	v_mul_lo_u32 v4, s57, v7
	v_mul_lo_u32 v5, s0, v9
	s_add_i32 s20, s20, -4
	v_add3_u32 v6, v8, v6, v10
	s_cmp_eq_u32 s20, -1
	v_add3_u32 v4, v4, v3, v5
	s_cbranch_scc1 .LBB37_39
; %bb.38:                               ;   in Loop: Header=BB37_21 Depth=2
	v_mov_b32_e32 v8, v16
	v_mov_b32_e32 v9, v17
	s_branch .LBB37_21
.LBB37_39:                              ;   in Loop: Header=BB37_3 Depth=1
	v_sub_u32_e32 v8, v18, v19
	v_ashrrev_i32_e32 v9, 31, v8
	v_cmp_ge_i64_e32 vcc, s[8:9], v[8:9]
	v_mov_b32_e32 v7, 0
	v_mov_b32_e32 v10, 0
	v_mov_b32_e32 v11, 0
	v_mov_b32_e32 v12, 0
	s_and_saveexec_b64 s[0:1], vcc
	s_cbranch_execz .LBB37_45
; %bb.40:                               ;   in Loop: Header=BB37_3 Depth=1
	v_cmp_gt_i32_e32 vcc, s7, v18
	v_mov_b32_e32 v5, 0
	v_mov_b32_e32 v3, 0
	;; [unrolled: 1-line block ×4, first 2 shown]
	s_and_saveexec_b64 s[36:37], vcc
	s_cbranch_execz .LBB37_44
; %bb.41:                               ;   in Loop: Header=BB37_3 Depth=1
	v_ashrrev_i32_e32 v7, 31, v6
	v_lshlrev_b64 v[5:6], 2, v[6:7]
	v_mov_b32_e32 v3, s3
	v_add_co_u32_e32 v5, vcc, s2, v5
	v_addc_co_u32_e32 v6, vcc, v3, v6, vcc
	global_load_dword v3, v[5:6], off
	v_add_u32_e32 v7, 1, v18
	v_cmp_gt_i32_e32 vcc, s7, v7
	v_mov_b32_e32 v7, 0
	v_mov_b32_e32 v10, 0
	s_and_saveexec_b64 s[38:39], vcc
	s_xor_b64 s[38:39], exec, s[38:39]
	s_cbranch_execz .LBB37_43
; %bb.42:                               ;   in Loop: Header=BB37_3 Depth=1
	s_lshl_b64 s[40:41], s[26:27], 2
	v_mov_b32_e32 v7, s41
	v_add_co_u32_e32 v5, vcc, s40, v5
	v_addc_co_u32_e32 v6, vcc, v6, v7, vcc
	global_load_dword v5, v[5:6], off
	s_waitcnt vmcnt(0)
	v_and_b32_e32 v10, 0xffff0000, v5
	v_and_b32_e32 v7, 0xffff, v5
.LBB37_43:                              ;   in Loop: Header=BB37_3 Depth=1
	s_or_b64 exec, exec, s[38:39]
	s_waitcnt vmcnt(0)
	v_lshrrev_b32_e32 v5, 16, v3
.LBB37_44:                              ;   in Loop: Header=BB37_3 Depth=1
	s_or_b64 exec, exec, s[36:37]
	v_cmp_lt_i64_e32 vcc, s[8:9], v[8:9]
	v_lshlrev_b32_e32 v5, 16, v5
	v_cndmask_b32_e64 v12, v5, 0, vcc
	v_add_u32_e32 v5, 1, v8
	v_and_b32_e32 v3, 0xffff, v3
	v_ashrrev_i32_e32 v6, 31, v5
	v_cndmask_b32_e64 v11, v3, 0, vcc
	v_cmp_lt_i64_e32 vcc, s[8:9], v[5:6]
	v_cndmask_b32_e64 v7, v7, 0, vcc
	v_cndmask_b32_e64 v10, v10, 0, vcc
.LBB37_45:                              ;   in Loop: Header=BB37_3 Depth=1
	s_or_b64 exec, exec, s[0:1]
	v_cmp_gt_i32_e32 vcc, s7, v18
	s_and_saveexec_b64 s[0:1], vcc
	s_cbranch_execz .LBB37_2
; %bb.46:                               ;   in Loop: Header=BB37_3 Depth=1
	v_ashrrev_i32_e32 v5, 31, v4
	v_lshlrev_b64 v[3:4], 2, v[4:5]
	v_mov_b32_e32 v5, s19
	v_add_co_u32_e32 v3, vcc, s18, v3
	v_addc_co_u32_e32 v4, vcc, v5, v4, vcc
	v_or_b32_e32 v5, v12, v11
	global_store_dword v[3:4], v5, off
	v_add_u32_e32 v5, 1, v18
	v_cmp_gt_i32_e32 vcc, s7, v5
	s_and_saveexec_b64 s[36:37], vcc
	s_xor_b64 s[36:37], exec, s[36:37]
	s_cbranch_execz .LBB37_2
; %bb.47:                               ;   in Loop: Header=BB37_3 Depth=1
	s_lshl_b64 s[36:37], s[28:29], 2
	v_mov_b32_e32 v5, s37
	v_add_co_u32_e32 v3, vcc, s36, v3
	v_addc_co_u32_e32 v4, vcc, v4, v5, vcc
	v_or_b32_e32 v5, v10, v7
	global_store_dword v[3:4], v5, off
	s_branch .LBB37_2
.LBB37_48:
	s_endpgm
	.section	.rodata,"a",@progbits
	.p2align	6, 0x0
	.amdhsa_kernel _ZN2at6native16triu_tril_kernelIN3c107complexINS2_4HalfEEEiLb0ELi2ELb0EEEvNS_4cuda6detail10TensorInfoIT_T0_EENS8_IKS9_SA_EEllSA_
		.amdhsa_group_segment_fixed_size 0
		.amdhsa_private_segment_fixed_size 0
		.amdhsa_kernarg_size 712
		.amdhsa_user_sgpr_count 6
		.amdhsa_user_sgpr_private_segment_buffer 1
		.amdhsa_user_sgpr_dispatch_ptr 0
		.amdhsa_user_sgpr_queue_ptr 0
		.amdhsa_user_sgpr_kernarg_segment_ptr 1
		.amdhsa_user_sgpr_dispatch_id 0
		.amdhsa_user_sgpr_flat_scratch_init 0
		.amdhsa_user_sgpr_private_segment_size 0
		.amdhsa_uses_dynamic_stack 0
		.amdhsa_system_sgpr_private_segment_wavefront_offset 0
		.amdhsa_system_sgpr_workgroup_id_x 1
		.amdhsa_system_sgpr_workgroup_id_y 0
		.amdhsa_system_sgpr_workgroup_id_z 0
		.amdhsa_system_sgpr_workgroup_info 0
		.amdhsa_system_vgpr_workitem_id 0
		.amdhsa_next_free_vgpr 22
		.amdhsa_next_free_sgpr 67
		.amdhsa_reserve_vcc 1
		.amdhsa_reserve_flat_scratch 0
		.amdhsa_float_round_mode_32 0
		.amdhsa_float_round_mode_16_64 0
		.amdhsa_float_denorm_mode_32 3
		.amdhsa_float_denorm_mode_16_64 3
		.amdhsa_dx10_clamp 1
		.amdhsa_ieee_mode 1
		.amdhsa_fp16_overflow 0
		.amdhsa_exception_fp_ieee_invalid_op 0
		.amdhsa_exception_fp_denorm_src 0
		.amdhsa_exception_fp_ieee_div_zero 0
		.amdhsa_exception_fp_ieee_overflow 0
		.amdhsa_exception_fp_ieee_underflow 0
		.amdhsa_exception_fp_ieee_inexact 0
		.amdhsa_exception_int_div_zero 0
	.end_amdhsa_kernel
	.section	.text._ZN2at6native16triu_tril_kernelIN3c107complexINS2_4HalfEEEiLb0ELi2ELb0EEEvNS_4cuda6detail10TensorInfoIT_T0_EENS8_IKS9_SA_EEllSA_,"axG",@progbits,_ZN2at6native16triu_tril_kernelIN3c107complexINS2_4HalfEEEiLb0ELi2ELb0EEEvNS_4cuda6detail10TensorInfoIT_T0_EENS8_IKS9_SA_EEllSA_,comdat
.Lfunc_end37:
	.size	_ZN2at6native16triu_tril_kernelIN3c107complexINS2_4HalfEEEiLb0ELi2ELb0EEEvNS_4cuda6detail10TensorInfoIT_T0_EENS8_IKS9_SA_EEllSA_, .Lfunc_end37-_ZN2at6native16triu_tril_kernelIN3c107complexINS2_4HalfEEEiLb0ELi2ELb0EEEvNS_4cuda6detail10TensorInfoIT_T0_EENS8_IKS9_SA_EEllSA_
                                        ; -- End function
	.set _ZN2at6native16triu_tril_kernelIN3c107complexINS2_4HalfEEEiLb0ELi2ELb0EEEvNS_4cuda6detail10TensorInfoIT_T0_EENS8_IKS9_SA_EEllSA_.num_vgpr, 22
	.set _ZN2at6native16triu_tril_kernelIN3c107complexINS2_4HalfEEEiLb0ELi2ELb0EEEvNS_4cuda6detail10TensorInfoIT_T0_EENS8_IKS9_SA_EEllSA_.num_agpr, 0
	.set _ZN2at6native16triu_tril_kernelIN3c107complexINS2_4HalfEEEiLb0ELi2ELb0EEEvNS_4cuda6detail10TensorInfoIT_T0_EENS8_IKS9_SA_EEllSA_.numbered_sgpr, 67
	.set _ZN2at6native16triu_tril_kernelIN3c107complexINS2_4HalfEEEiLb0ELi2ELb0EEEvNS_4cuda6detail10TensorInfoIT_T0_EENS8_IKS9_SA_EEllSA_.num_named_barrier, 0
	.set _ZN2at6native16triu_tril_kernelIN3c107complexINS2_4HalfEEEiLb0ELi2ELb0EEEvNS_4cuda6detail10TensorInfoIT_T0_EENS8_IKS9_SA_EEllSA_.private_seg_size, 0
	.set _ZN2at6native16triu_tril_kernelIN3c107complexINS2_4HalfEEEiLb0ELi2ELb0EEEvNS_4cuda6detail10TensorInfoIT_T0_EENS8_IKS9_SA_EEllSA_.uses_vcc, 1
	.set _ZN2at6native16triu_tril_kernelIN3c107complexINS2_4HalfEEEiLb0ELi2ELb0EEEvNS_4cuda6detail10TensorInfoIT_T0_EENS8_IKS9_SA_EEllSA_.uses_flat_scratch, 0
	.set _ZN2at6native16triu_tril_kernelIN3c107complexINS2_4HalfEEEiLb0ELi2ELb0EEEvNS_4cuda6detail10TensorInfoIT_T0_EENS8_IKS9_SA_EEllSA_.has_dyn_sized_stack, 0
	.set _ZN2at6native16triu_tril_kernelIN3c107complexINS2_4HalfEEEiLb0ELi2ELb0EEEvNS_4cuda6detail10TensorInfoIT_T0_EENS8_IKS9_SA_EEllSA_.has_recursion, 0
	.set _ZN2at6native16triu_tril_kernelIN3c107complexINS2_4HalfEEEiLb0ELi2ELb0EEEvNS_4cuda6detail10TensorInfoIT_T0_EENS8_IKS9_SA_EEllSA_.has_indirect_call, 0
	.section	.AMDGPU.csdata,"",@progbits
; Kernel info:
; codeLenInByte = 6428
; TotalNumSgprs: 71
; NumVgprs: 22
; ScratchSize: 0
; MemoryBound: 0
; FloatMode: 240
; IeeeMode: 1
; LDSByteSize: 0 bytes/workgroup (compile time only)
; SGPRBlocks: 8
; VGPRBlocks: 5
; NumSGPRsForWavesPerEU: 71
; NumVGPRsForWavesPerEU: 22
; Occupancy: 10
; WaveLimiterHint : 1
; COMPUTE_PGM_RSRC2:SCRATCH_EN: 0
; COMPUTE_PGM_RSRC2:USER_SGPR: 6
; COMPUTE_PGM_RSRC2:TRAP_HANDLER: 0
; COMPUTE_PGM_RSRC2:TGID_X_EN: 1
; COMPUTE_PGM_RSRC2:TGID_Y_EN: 0
; COMPUTE_PGM_RSRC2:TGID_Z_EN: 0
; COMPUTE_PGM_RSRC2:TIDIG_COMP_CNT: 0
	.section	.text._ZN2at6native16triu_tril_kernelIN3c107complexINS2_4HalfEEElLb0ELi2ELb1EEEvNS_4cuda6detail10TensorInfoIT_T0_EENS8_IKS9_SA_EEllSA_,"axG",@progbits,_ZN2at6native16triu_tril_kernelIN3c107complexINS2_4HalfEEElLb0ELi2ELb1EEEvNS_4cuda6detail10TensorInfoIT_T0_EENS8_IKS9_SA_EEllSA_,comdat
	.protected	_ZN2at6native16triu_tril_kernelIN3c107complexINS2_4HalfEEElLb0ELi2ELb1EEEvNS_4cuda6detail10TensorInfoIT_T0_EENS8_IKS9_SA_EEllSA_ ; -- Begin function _ZN2at6native16triu_tril_kernelIN3c107complexINS2_4HalfEEElLb0ELi2ELb1EEEvNS_4cuda6detail10TensorInfoIT_T0_EENS8_IKS9_SA_EEllSA_
	.globl	_ZN2at6native16triu_tril_kernelIN3c107complexINS2_4HalfEEElLb0ELi2ELb1EEEvNS_4cuda6detail10TensorInfoIT_T0_EENS8_IKS9_SA_EEllSA_
	.p2align	8
	.type	_ZN2at6native16triu_tril_kernelIN3c107complexINS2_4HalfEEElLb0ELi2ELb1EEEvNS_4cuda6detail10TensorInfoIT_T0_EENS8_IKS9_SA_EEllSA_,@function
_ZN2at6native16triu_tril_kernelIN3c107complexINS2_4HalfEEElLb0ELi2ELb1EEEvNS_4cuda6detail10TensorInfoIT_T0_EENS8_IKS9_SA_EEllSA_: ; @_ZN2at6native16triu_tril_kernelIN3c107complexINS2_4HalfEEElLb0ELi2ELb1EEEvNS_4cuda6detail10TensorInfoIT_T0_EENS8_IKS9_SA_EEllSA_
; %bb.0:
	s_load_dword s2, s[4:5], 0x364
	s_load_dwordx4 s[8:11], s[4:5], 0x340
	s_add_u32 s0, s4, 0x358
	v_mov_b32_e32 v2, 0
	s_addc_u32 s1, s5, 0
	s_waitcnt lgkmcnt(0)
	s_and_b32 s2, s2, 0xffff
	v_mov_b32_e32 v1, v2
	v_mov_b32_e32 v3, s6
	v_mad_u64_u32 v[0:1], s[6:7], s2, v3, v[0:1]
	v_lshlrev_b64 v[0:1], 1, v[0:1]
	v_cmp_gt_i64_e32 vcc, s[10:11], v[0:1]
	s_and_saveexec_b64 s[6:7], vcc
	s_cbranch_execz .LBB38_43
; %bb.1:
	s_load_dword s1, s[0:1], 0x0
	s_add_u32 s34, s4, 0x1a0
	s_load_dword s0, s[4:5], 0x338
	s_addc_u32 s35, s5, 0
	s_load_dwordx2 s[6:7], s[4:5], 0x350
	s_load_dwordx2 s[12:13], s[4:5], 0x0
	s_waitcnt lgkmcnt(0)
	s_mul_i32 s24, s1, s2
	s_mov_b32 s25, 0
	s_add_i32 s2, s0, -2
	s_ashr_i32 s3, s2, 31
	s_ashr_i32 s1, s0, 31
	s_lshl_b64 s[16:17], s[2:3], 3
	s_add_u32 s16, s34, s16
	s_addc_u32 s17, s35, s17
	s_lshl_b64 s[22:23], s[0:1], 3
	s_add_u32 s18, s4, s22
	s_addc_u32 s19, s5, s23
	s_add_i32 s20, s0, -3
	s_ashr_i32 s21, s20, 31
	s_add_u32 s22, s34, s22
	v_cmp_gt_i64_e64 s[14:15], s[0:1], 2
	s_addc_u32 s23, s35, s23
	s_lshl_b32 s33, s24, 1
	s_and_b32 s24, s2, 3
	s_and_b32 s0, s20, 3
	s_cmp_lg_u32 s0, 3
	s_cselect_b64 s[26:27], -1, 0
	s_cmp_gt_u32 s20, 2
	s_cselect_b64 s[28:29], -1, 0
	s_lshl_b64 s[0:1], s[20:21], 3
	s_add_u32 s2, s4, s0
	s_addc_u32 s3, s5, s1
	s_add_u32 s30, s2, 0xd0
	s_addc_u32 s31, s3, 0
	;; [unrolled: 2-line block ×3, first 2 shown]
	s_add_u32 s34, s0, 8
	s_load_dwordx2 s[16:17], s[16:17], 0x8
	s_addc_u32 s35, s1, 0
	s_add_u32 s64, s4, 0xb8
	s_addc_u32 s65, s5, 0
	s_add_u32 s66, s4, 0x190
	s_addc_u32 s67, s5, 0
	s_mov_b64 s[4:5], 0
	s_branch .LBB38_3
.LBB38_2:                               ;   in Loop: Header=BB38_3 Depth=1
	s_or_b64 exec, exec, s[36:37]
	v_add_co_u32_e32 v0, vcc, s33, v0
	v_addc_co_u32_e32 v1, vcc, 0, v1, vcc
	v_cmp_le_i64_e32 vcc, s[10:11], v[0:1]
	s_or_b64 s[4:5], vcc, s[4:5]
	s_andn2_b64 exec, exec, s[4:5]
	s_cbranch_execz .LBB38_43
.LBB38_3:                               ; =>This Loop Header: Depth=1
                                        ;     Child Loop BB38_17 Depth 2
                                        ;     Child Loop BB38_22 Depth 2
	v_or_b32_e32 v3, s7, v1
	v_cmp_ne_u64_e32 vcc, 0, v[2:3]
                                        ; implicit-def: $vgpr6_vgpr7
	s_and_saveexec_b64 s[0:1], vcc
	s_xor_b64 s[2:3], exec, s[0:1]
	s_cbranch_execz .LBB38_5
; %bb.4:                                ;   in Loop: Header=BB38_3 Depth=1
	s_ashr_i32 s36, s7, 31
	s_add_u32 s0, s6, s36
	s_mov_b32 s37, s36
	s_addc_u32 s1, s7, s36
	s_xor_b64 s[38:39], s[0:1], s[36:37]
	v_cvt_f32_u32_e32 v3, s38
	v_cvt_f32_u32_e32 v4, s39
	s_sub_u32 s37, 0, s38
	s_subb_u32 s40, 0, s39
	v_ashrrev_i32_e32 v7, 31, v1
	v_mac_f32_e32 v3, 0x4f800000, v4
	v_rcp_f32_e32 v3, v3
	v_mul_f32_e32 v3, 0x5f7ffffc, v3
	v_mul_f32_e32 v4, 0x2f800000, v3
	v_trunc_f32_e32 v4, v4
	v_mac_f32_e32 v3, 0xcf800000, v4
	v_cvt_u32_f32_e32 v4, v4
	v_cvt_u32_f32_e32 v3, v3
	v_readfirstlane_b32 s41, v4
	v_readfirstlane_b32 s0, v3
	s_mul_i32 s1, s37, s41
	s_mul_hi_u32 s43, s37, s0
	s_mul_i32 s42, s40, s0
	s_add_i32 s1, s43, s1
	s_add_i32 s1, s1, s42
	s_mul_i32 s44, s37, s0
	s_mul_i32 s43, s0, s1
	s_mul_hi_u32 s45, s0, s44
	s_mul_hi_u32 s42, s0, s1
	s_add_u32 s43, s45, s43
	s_addc_u32 s42, 0, s42
	s_mul_hi_u32 s46, s41, s44
	s_mul_i32 s44, s41, s44
	s_add_u32 s43, s43, s44
	s_mul_hi_u32 s45, s41, s1
	s_addc_u32 s42, s42, s46
	s_addc_u32 s43, s45, 0
	s_mul_i32 s1, s41, s1
	s_add_u32 s1, s42, s1
	s_addc_u32 s42, 0, s43
	s_add_u32 s43, s0, s1
	s_cselect_b64 s[0:1], -1, 0
	s_cmp_lg_u64 s[0:1], 0
	s_addc_u32 s41, s41, s42
	s_mul_i32 s0, s37, s41
	s_mul_hi_u32 s1, s37, s43
	s_add_i32 s0, s1, s0
	s_mul_i32 s40, s40, s43
	s_add_i32 s0, s0, s40
	s_mul_i32 s37, s37, s43
	s_mul_hi_u32 s40, s41, s37
	s_mul_i32 s42, s41, s37
	s_mul_i32 s45, s43, s0
	s_mul_hi_u32 s37, s43, s37
	s_mul_hi_u32 s44, s43, s0
	s_add_u32 s37, s37, s45
	s_addc_u32 s44, 0, s44
	s_add_u32 s37, s37, s42
	s_mul_hi_u32 s1, s41, s0
	s_addc_u32 s37, s44, s40
	s_addc_u32 s1, s1, 0
	s_mul_i32 s0, s41, s0
	s_add_u32 s0, s37, s0
	s_addc_u32 s37, 0, s1
	s_add_u32 s40, s43, s0
	s_cselect_b64 s[0:1], -1, 0
	s_cmp_lg_u64 s[0:1], 0
	v_add_co_u32_e32 v3, vcc, v0, v7
	s_addc_u32 s37, s41, s37
	v_xor_b32_e32 v8, v3, v7
	v_mad_u64_u32 v[3:4], s[0:1], v8, s37, 0
	v_mul_hi_u32 v6, v8, s40
	v_addc_co_u32_e32 v5, vcc, v1, v7, vcc
	v_xor_b32_e32 v9, v5, v7
	v_add_co_u32_e32 v10, vcc, v6, v3
	v_addc_co_u32_e32 v11, vcc, 0, v4, vcc
	v_mad_u64_u32 v[3:4], s[0:1], v9, s40, 0
	v_mad_u64_u32 v[5:6], s[0:1], v9, s37, 0
	v_add_co_u32_e32 v3, vcc, v10, v3
	v_addc_co_u32_e32 v3, vcc, v11, v4, vcc
	v_addc_co_u32_e32 v4, vcc, 0, v6, vcc
	v_add_co_u32_e32 v5, vcc, v3, v5
	v_addc_co_u32_e32 v6, vcc, 0, v4, vcc
	v_mul_lo_u32 v10, s39, v5
	v_mul_lo_u32 v11, s38, v6
	v_mad_u64_u32 v[3:4], s[0:1], s38, v5, 0
	v_add3_u32 v4, v4, v11, v10
	v_sub_u32_e32 v10, v9, v4
	v_mov_b32_e32 v11, s39
	v_sub_co_u32_e32 v3, vcc, v8, v3
	v_subb_co_u32_e64 v8, s[0:1], v10, v11, vcc
	v_subrev_co_u32_e64 v10, s[0:1], s38, v3
	v_subbrev_co_u32_e64 v8, s[0:1], 0, v8, s[0:1]
	v_cmp_le_u32_e64 s[0:1], s39, v8
	v_cndmask_b32_e64 v11, 0, -1, s[0:1]
	v_cmp_le_u32_e64 s[0:1], s38, v10
	v_cndmask_b32_e64 v10, 0, -1, s[0:1]
	v_cmp_eq_u32_e64 s[0:1], s39, v8
	v_cndmask_b32_e64 v8, v11, v10, s[0:1]
	v_add_co_u32_e64 v10, s[0:1], 2, v5
	v_subb_co_u32_e32 v4, vcc, v9, v4, vcc
	v_addc_co_u32_e64 v11, s[0:1], 0, v6, s[0:1]
	v_cmp_le_u32_e32 vcc, s39, v4
	v_add_co_u32_e64 v12, s[0:1], 1, v5
	v_cndmask_b32_e64 v9, 0, -1, vcc
	v_cmp_le_u32_e32 vcc, s38, v3
	v_addc_co_u32_e64 v13, s[0:1], 0, v6, s[0:1]
	v_cndmask_b32_e64 v3, 0, -1, vcc
	v_cmp_eq_u32_e32 vcc, s39, v4
	v_cmp_ne_u32_e64 s[0:1], 0, v8
	v_cndmask_b32_e32 v3, v9, v3, vcc
	v_cmp_ne_u32_e32 vcc, 0, v3
	v_cndmask_b32_e64 v4, v12, v10, s[0:1]
	v_cndmask_b32_e64 v8, v13, v11, s[0:1]
	v_cndmask_b32_e32 v4, v5, v4, vcc
	v_xor_b32_e32 v5, s36, v7
	v_cndmask_b32_e32 v3, v6, v8, vcc
	v_xor_b32_e32 v4, v4, v5
	v_xor_b32_e32 v3, v3, v5
	v_sub_co_u32_e32 v6, vcc, v4, v5
	v_subb_co_u32_e32 v7, vcc, v3, v5, vcc
.LBB38_5:                               ;   in Loop: Header=BB38_3 Depth=1
	s_andn2_saveexec_b64 s[0:1], s[2:3]
	s_cbranch_execz .LBB38_7
; %bb.6:                                ;   in Loop: Header=BB38_3 Depth=1
	v_cvt_f32_u32_e32 v3, s6
	s_sub_i32 s2, 0, s6
	v_mov_b32_e32 v7, v2
	v_rcp_iflag_f32_e32 v3, v3
	v_mul_f32_e32 v3, 0x4f7ffffe, v3
	v_cvt_u32_f32_e32 v3, v3
	v_mul_lo_u32 v4, s2, v3
	v_mul_hi_u32 v4, v3, v4
	v_add_u32_e32 v3, v3, v4
	v_mul_hi_u32 v3, v0, v3
	v_mul_lo_u32 v4, v3, s6
	v_add_u32_e32 v5, 1, v3
	v_sub_u32_e32 v4, v0, v4
	v_subrev_u32_e32 v6, s6, v4
	v_cmp_le_u32_e32 vcc, s6, v4
	v_cndmask_b32_e32 v4, v4, v6, vcc
	v_cndmask_b32_e32 v3, v3, v5, vcc
	v_add_u32_e32 v5, 1, v3
	v_cmp_le_u32_e32 vcc, s6, v4
	v_cndmask_b32_e32 v6, v3, v5, vcc
.LBB38_7:                               ;   in Loop: Header=BB38_3 Depth=1
	s_or_b64 exec, exec, s[0:1]
	s_waitcnt lgkmcnt(0)
	v_or_b32_e32 v3, s17, v7
	v_cmp_ne_u64_e32 vcc, 0, v[2:3]
                                        ; implicit-def: $vgpr10_vgpr11
	s_and_saveexec_b64 s[0:1], vcc
	s_xor_b64 s[2:3], exec, s[0:1]
	s_cbranch_execz .LBB38_9
; %bb.8:                                ;   in Loop: Header=BB38_3 Depth=1
	s_ashr_i32 s36, s17, 31
	s_add_u32 s0, s16, s36
	s_mov_b32 s37, s36
	s_addc_u32 s1, s17, s36
	s_xor_b64 s[38:39], s[0:1], s[36:37]
	v_cvt_f32_u32_e32 v3, s38
	v_cvt_f32_u32_e32 v4, s39
	s_sub_u32 s37, 0, s38
	s_subb_u32 s40, 0, s39
	v_ashrrev_i32_e32 v5, 31, v7
	v_mac_f32_e32 v3, 0x4f800000, v4
	v_rcp_f32_e32 v3, v3
	v_mul_f32_e32 v3, 0x5f7ffffc, v3
	v_mul_f32_e32 v4, 0x2f800000, v3
	v_trunc_f32_e32 v4, v4
	v_mac_f32_e32 v3, 0xcf800000, v4
	v_cvt_u32_f32_e32 v4, v4
	v_cvt_u32_f32_e32 v3, v3
	v_readfirstlane_b32 s41, v4
	v_readfirstlane_b32 s0, v3
	s_mul_i32 s1, s37, s41
	s_mul_hi_u32 s43, s37, s0
	s_mul_i32 s42, s40, s0
	s_add_i32 s1, s43, s1
	s_add_i32 s1, s1, s42
	s_mul_i32 s44, s37, s0
	s_mul_i32 s43, s0, s1
	s_mul_hi_u32 s45, s0, s44
	s_mul_hi_u32 s42, s0, s1
	s_add_u32 s43, s45, s43
	s_addc_u32 s42, 0, s42
	s_mul_hi_u32 s46, s41, s44
	s_mul_i32 s44, s41, s44
	s_add_u32 s43, s43, s44
	s_mul_hi_u32 s45, s41, s1
	s_addc_u32 s42, s42, s46
	s_addc_u32 s43, s45, 0
	s_mul_i32 s1, s41, s1
	s_add_u32 s1, s42, s1
	s_addc_u32 s42, 0, s43
	s_add_u32 s43, s0, s1
	s_cselect_b64 s[0:1], -1, 0
	s_cmp_lg_u64 s[0:1], 0
	s_addc_u32 s41, s41, s42
	s_mul_i32 s0, s37, s41
	s_mul_hi_u32 s1, s37, s43
	s_add_i32 s0, s1, s0
	s_mul_i32 s40, s40, s43
	s_add_i32 s0, s0, s40
	s_mul_i32 s37, s37, s43
	s_mul_hi_u32 s40, s41, s37
	s_mul_i32 s42, s41, s37
	s_mul_i32 s45, s43, s0
	s_mul_hi_u32 s37, s43, s37
	s_mul_hi_u32 s44, s43, s0
	s_add_u32 s37, s37, s45
	s_addc_u32 s44, 0, s44
	s_add_u32 s37, s37, s42
	s_mul_hi_u32 s1, s41, s0
	s_addc_u32 s37, s44, s40
	s_addc_u32 s1, s1, 0
	s_mul_i32 s0, s41, s0
	s_add_u32 s0, s37, s0
	s_addc_u32 s37, 0, s1
	s_add_u32 s40, s43, s0
	s_cselect_b64 s[0:1], -1, 0
	s_cmp_lg_u64 s[0:1], 0
	v_add_co_u32_e32 v3, vcc, v6, v5
	s_addc_u32 s37, s41, s37
	v_xor_b32_e32 v10, v3, v5
	v_mad_u64_u32 v[3:4], s[0:1], v10, s37, 0
	v_mul_hi_u32 v9, v10, s40
	v_addc_co_u32_e32 v8, vcc, v7, v5, vcc
	v_xor_b32_e32 v11, v8, v5
	v_add_co_u32_e32 v12, vcc, v9, v3
	v_addc_co_u32_e32 v13, vcc, 0, v4, vcc
	v_mad_u64_u32 v[3:4], s[0:1], v11, s40, 0
	v_mad_u64_u32 v[8:9], s[0:1], v11, s37, 0
	v_add_co_u32_e32 v3, vcc, v12, v3
	v_addc_co_u32_e32 v3, vcc, v13, v4, vcc
	v_addc_co_u32_e32 v4, vcc, 0, v9, vcc
	v_add_co_u32_e32 v8, vcc, v3, v8
	v_addc_co_u32_e32 v9, vcc, 0, v4, vcc
	v_mul_lo_u32 v12, s39, v8
	v_mul_lo_u32 v13, s38, v9
	v_mad_u64_u32 v[3:4], s[0:1], s38, v8, 0
	v_xor_b32_e32 v5, s36, v5
	v_add3_u32 v4, v4, v13, v12
	v_sub_u32_e32 v12, v11, v4
	v_mov_b32_e32 v13, s39
	v_sub_co_u32_e32 v3, vcc, v10, v3
	v_subb_co_u32_e64 v10, s[0:1], v12, v13, vcc
	v_subrev_co_u32_e64 v12, s[0:1], s38, v3
	v_subbrev_co_u32_e64 v10, s[0:1], 0, v10, s[0:1]
	v_cmp_le_u32_e64 s[0:1], s39, v10
	v_cndmask_b32_e64 v13, 0, -1, s[0:1]
	v_cmp_le_u32_e64 s[0:1], s38, v12
	v_cndmask_b32_e64 v12, 0, -1, s[0:1]
	v_cmp_eq_u32_e64 s[0:1], s39, v10
	v_cndmask_b32_e64 v10, v13, v12, s[0:1]
	v_add_co_u32_e64 v12, s[0:1], 2, v8
	v_subb_co_u32_e32 v4, vcc, v11, v4, vcc
	v_addc_co_u32_e64 v13, s[0:1], 0, v9, s[0:1]
	v_cmp_le_u32_e32 vcc, s39, v4
	v_add_co_u32_e64 v14, s[0:1], 1, v8
	v_cndmask_b32_e64 v11, 0, -1, vcc
	v_cmp_le_u32_e32 vcc, s38, v3
	v_addc_co_u32_e64 v15, s[0:1], 0, v9, s[0:1]
	v_cndmask_b32_e64 v3, 0, -1, vcc
	v_cmp_eq_u32_e32 vcc, s39, v4
	v_cmp_ne_u32_e64 s[0:1], 0, v10
	v_cndmask_b32_e32 v3, v11, v3, vcc
	v_cmp_ne_u32_e32 vcc, 0, v3
	v_cndmask_b32_e64 v4, v14, v12, s[0:1]
	v_cndmask_b32_e64 v10, v15, v13, s[0:1]
	v_cndmask_b32_e32 v4, v8, v4, vcc
	v_cndmask_b32_e32 v3, v9, v10, vcc
	v_xor_b32_e32 v4, v4, v5
	v_xor_b32_e32 v3, v3, v5
	v_sub_co_u32_e32 v10, vcc, v4, v5
	v_subb_co_u32_e32 v11, vcc, v3, v5, vcc
.LBB38_9:                               ;   in Loop: Header=BB38_3 Depth=1
	s_andn2_saveexec_b64 s[0:1], s[2:3]
	s_cbranch_execz .LBB38_11
; %bb.10:                               ;   in Loop: Header=BB38_3 Depth=1
	v_cvt_f32_u32_e32 v3, s16
	s_sub_i32 s2, 0, s16
	v_mov_b32_e32 v11, v2
	v_rcp_iflag_f32_e32 v3, v3
	v_mul_f32_e32 v3, 0x4f7ffffe, v3
	v_cvt_u32_f32_e32 v3, v3
	v_mul_lo_u32 v4, s2, v3
	v_mul_hi_u32 v4, v3, v4
	v_add_u32_e32 v3, v3, v4
	v_mul_hi_u32 v3, v6, v3
	v_mul_lo_u32 v4, v3, s16
	v_add_u32_e32 v5, 1, v3
	v_sub_u32_e32 v4, v6, v4
	v_subrev_u32_e32 v8, s16, v4
	v_cmp_le_u32_e32 vcc, s16, v4
	v_cndmask_b32_e32 v4, v4, v8, vcc
	v_cndmask_b32_e32 v3, v3, v5, vcc
	v_add_u32_e32 v5, 1, v3
	v_cmp_le_u32_e32 vcc, s16, v4
	v_cndmask_b32_e32 v10, v3, v5, vcc
.LBB38_11:                              ;   in Loop: Header=BB38_3 Depth=1
	s_or_b64 exec, exec, s[0:1]
	v_mul_lo_u32 v5, v7, s6
	v_mul_lo_u32 v8, v6, s7
	v_mad_u64_u32 v[3:4], s[0:1], v6, s6, 0
	v_mul_lo_u32 v12, v11, s16
	v_mul_lo_u32 v13, v10, s17
	v_add3_u32 v5, v4, v8, v5
	v_mad_u64_u32 v[8:9], s[0:1], v10, s16, 0
	v_sub_co_u32_e32 v4, vcc, v0, v3
	v_subb_co_u32_e32 v5, vcc, v1, v5, vcc
	v_add3_u32 v3, v9, v13, v12
	v_sub_co_u32_e32 v20, vcc, v6, v8
	v_subb_co_u32_e32 v21, vcc, v7, v3, vcc
	v_sub_co_u32_e32 v6, vcc, v4, v20
	v_subb_co_u32_e32 v7, vcc, v5, v21, vcc
	v_add_co_u32_e32 v8, vcc, 2, v6
	v_addc_co_u32_e32 v9, vcc, 0, v7, vcc
	v_cmp_lt_i64_e32 vcc, s[8:9], v[8:9]
	s_and_saveexec_b64 s[36:37], vcc
	s_cbranch_execz .LBB38_2
; %bb.12:                               ;   in Loop: Header=BB38_3 Depth=1
	s_load_dwordx4 s[0:3], s[18:19], 0xc0
	s_andn2_b64 vcc, exec, s[14:15]
	s_waitcnt lgkmcnt(0)
	v_mul_lo_u32 v3, s3, v4
	v_mul_lo_u32 v12, s2, v5
	v_mad_u64_u32 v[8:9], s[38:39], s2, v4, 0
	v_mul_lo_u32 v13, s0, v21
	v_add3_u32 v9, v9, v12, v3
	v_mad_u64_u32 v[8:9], s[38:39], s0, v20, v[8:9]
	v_mul_lo_u32 v3, s1, v20
	v_add3_u32 v9, v3, v9, v13
	s_cbranch_vccnz .LBB38_38
; %bb.13:                               ;   in Loop: Header=BB38_3 Depth=1
	s_andn2_b64 vcc, exec, s[26:27]
	s_mov_b64 s[38:39], s[24:25]
	s_mov_b64 s[40:41], s[34:35]
	;; [unrolled: 1-line block ×4, first 2 shown]
	s_cbranch_vccz .LBB38_17
.LBB38_14:                              ;   in Loop: Header=BB38_3 Depth=1
	s_andn2_b64 vcc, exec, s[28:29]
	s_cbranch_vccnz .LBB38_38
; %bb.15:                               ;   in Loop: Header=BB38_3 Depth=1
	s_lshl_b64 s[0:1], s[42:43], 3
	s_add_u32 s38, s64, s0
	s_addc_u32 s39, s65, s1
	s_add_u32 s40, s66, s0
	s_addc_u32 s41, s67, s1
	;; [unrolled: 2-line block ×3, first 2 shown]
	s_branch .LBB38_22
.LBB38_16:                              ;   in Loop: Header=BB38_17 Depth=2
	s_or_b64 exec, exec, s[0:1]
	v_mul_lo_u32 v3, v13, s46
	v_mul_lo_u32 v16, v12, s47
	v_mad_u64_u32 v[14:15], s[0:1], v12, s46, 0
	s_load_dwordx2 s[0:1], s[44:45], 0x0
	s_add_u32 s42, s42, -1
	v_add3_u32 v3, v15, v16, v3
	v_sub_co_u32_e32 v10, vcc, v10, v14
	s_addc_u32 s43, s43, -1
	v_subb_co_u32_e32 v3, vcc, v11, v3, vcc
	s_add_u32 s44, s44, -8
	s_waitcnt lgkmcnt(0)
	v_mul_lo_u32 v3, s0, v3
	v_mul_lo_u32 v11, s1, v10
	v_mad_u64_u32 v[8:9], s[0:1], s0, v10, v[8:9]
	s_addc_u32 s45, s45, -1
	s_add_u32 s40, s40, -8
	s_addc_u32 s41, s41, -1
	s_add_u32 s38, s38, -1
	s_addc_u32 s39, s39, -1
	v_add3_u32 v9, v11, v9, v3
	v_mov_b32_e32 v10, v12
	s_cmp_lg_u64 s[38:39], 0
	v_mov_b32_e32 v11, v13
	s_cbranch_scc0 .LBB38_14
.LBB38_17:                              ;   Parent Loop BB38_3 Depth=1
                                        ; =>  This Inner Loop Header: Depth=2
	s_load_dwordx2 s[46:47], s[40:41], 0x0
                                        ; implicit-def: $vgpr12_vgpr13
	s_waitcnt lgkmcnt(0)
	v_or_b32_e32 v3, s47, v11
	v_cmp_ne_u64_e32 vcc, 0, v[2:3]
	s_and_saveexec_b64 s[0:1], vcc
	s_xor_b64 s[48:49], exec, s[0:1]
	s_cbranch_execz .LBB38_19
; %bb.18:                               ;   in Loop: Header=BB38_17 Depth=2
	s_ashr_i32 s50, s47, 31
	s_add_u32 s0, s46, s50
	s_mov_b32 s51, s50
	s_addc_u32 s1, s47, s50
	s_xor_b64 s[52:53], s[0:1], s[50:51]
	v_cvt_f32_u32_e32 v3, s52
	v_cvt_f32_u32_e32 v12, s53
	s_sub_u32 s51, 0, s52
	s_subb_u32 s54, 0, s53
	v_mac_f32_e32 v3, 0x4f800000, v12
	v_rcp_f32_e32 v3, v3
	v_mul_f32_e32 v3, 0x5f7ffffc, v3
	v_mul_f32_e32 v12, 0x2f800000, v3
	v_trunc_f32_e32 v12, v12
	v_mac_f32_e32 v3, 0xcf800000, v12
	v_cvt_u32_f32_e32 v12, v12
	v_cvt_u32_f32_e32 v3, v3
	v_readfirstlane_b32 s55, v12
	v_readfirstlane_b32 s0, v3
	s_mul_i32 s1, s51, s55
	s_mul_hi_u32 s57, s51, s0
	s_mul_i32 s56, s54, s0
	s_add_i32 s1, s57, s1
	s_add_i32 s1, s1, s56
	s_mul_i32 s58, s51, s0
	s_mul_i32 s57, s0, s1
	s_mul_hi_u32 s59, s0, s58
	s_mul_hi_u32 s56, s0, s1
	s_add_u32 s57, s59, s57
	s_addc_u32 s56, 0, s56
	s_mul_hi_u32 s60, s55, s58
	s_mul_i32 s58, s55, s58
	s_add_u32 s57, s57, s58
	s_mul_hi_u32 s59, s55, s1
	s_addc_u32 s56, s56, s60
	s_addc_u32 s57, s59, 0
	s_mul_i32 s1, s55, s1
	s_add_u32 s1, s56, s1
	s_addc_u32 s56, 0, s57
	s_add_u32 s57, s0, s1
	s_cselect_b64 s[0:1], -1, 0
	s_cmp_lg_u64 s[0:1], 0
	s_addc_u32 s55, s55, s56
	s_mul_i32 s0, s51, s55
	s_mul_hi_u32 s1, s51, s57
	s_add_i32 s0, s1, s0
	s_mul_i32 s54, s54, s57
	s_add_i32 s0, s0, s54
	s_mul_i32 s51, s51, s57
	s_mul_hi_u32 s54, s55, s51
	s_mul_i32 s56, s55, s51
	s_mul_i32 s59, s57, s0
	s_mul_hi_u32 s51, s57, s51
	s_mul_hi_u32 s58, s57, s0
	s_add_u32 s51, s51, s59
	s_addc_u32 s58, 0, s58
	s_add_u32 s51, s51, s56
	s_mul_hi_u32 s1, s55, s0
	s_addc_u32 s51, s58, s54
	s_addc_u32 s1, s1, 0
	s_mul_i32 s0, s55, s0
	s_add_u32 s0, s51, s0
	s_addc_u32 s51, 0, s1
	s_add_u32 s54, s57, s0
	s_cselect_b64 s[0:1], -1, 0
	v_ashrrev_i32_e32 v3, 31, v11
	s_cmp_lg_u64 s[0:1], 0
	v_add_co_u32_e32 v12, vcc, v10, v3
	s_addc_u32 s51, s55, s51
	v_xor_b32_e32 v16, v12, v3
	v_mad_u64_u32 v[12:13], s[0:1], v16, s51, 0
	v_mul_hi_u32 v15, v16, s54
	v_addc_co_u32_e32 v14, vcc, v11, v3, vcc
	v_xor_b32_e32 v17, v14, v3
	v_add_co_u32_e32 v18, vcc, v15, v12
	v_addc_co_u32_e32 v19, vcc, 0, v13, vcc
	v_mad_u64_u32 v[12:13], s[0:1], v17, s54, 0
	v_mad_u64_u32 v[14:15], s[0:1], v17, s51, 0
	v_add_co_u32_e32 v12, vcc, v18, v12
	v_addc_co_u32_e32 v12, vcc, v19, v13, vcc
	v_addc_co_u32_e32 v13, vcc, 0, v15, vcc
	v_add_co_u32_e32 v14, vcc, v12, v14
	v_addc_co_u32_e32 v15, vcc, 0, v13, vcc
	v_mul_lo_u32 v18, s53, v14
	v_mul_lo_u32 v19, s52, v15
	v_mad_u64_u32 v[12:13], s[0:1], s52, v14, 0
	v_xor_b32_e32 v3, s50, v3
	v_add3_u32 v13, v13, v19, v18
	v_sub_u32_e32 v18, v17, v13
	v_mov_b32_e32 v19, s53
	v_sub_co_u32_e32 v12, vcc, v16, v12
	v_subb_co_u32_e64 v16, s[0:1], v18, v19, vcc
	v_subrev_co_u32_e64 v18, s[0:1], s52, v12
	v_subbrev_co_u32_e64 v16, s[0:1], 0, v16, s[0:1]
	v_cmp_le_u32_e64 s[0:1], s53, v16
	v_cndmask_b32_e64 v19, 0, -1, s[0:1]
	v_cmp_le_u32_e64 s[0:1], s52, v18
	v_cndmask_b32_e64 v18, 0, -1, s[0:1]
	v_cmp_eq_u32_e64 s[0:1], s53, v16
	v_cndmask_b32_e64 v16, v19, v18, s[0:1]
	v_add_co_u32_e64 v18, s[0:1], 2, v14
	v_subb_co_u32_e32 v13, vcc, v17, v13, vcc
	v_addc_co_u32_e64 v19, s[0:1], 0, v15, s[0:1]
	v_cmp_le_u32_e32 vcc, s53, v13
	v_add_co_u32_e64 v22, s[0:1], 1, v14
	v_cndmask_b32_e64 v17, 0, -1, vcc
	v_cmp_le_u32_e32 vcc, s52, v12
	v_addc_co_u32_e64 v23, s[0:1], 0, v15, s[0:1]
	v_cndmask_b32_e64 v12, 0, -1, vcc
	v_cmp_eq_u32_e32 vcc, s53, v13
	v_cmp_ne_u32_e64 s[0:1], 0, v16
	v_cndmask_b32_e32 v12, v17, v12, vcc
	v_cndmask_b32_e64 v16, v23, v19, s[0:1]
	v_cmp_ne_u32_e32 vcc, 0, v12
	v_cndmask_b32_e64 v13, v22, v18, s[0:1]
	v_cndmask_b32_e32 v12, v15, v16, vcc
	v_cndmask_b32_e32 v13, v14, v13, vcc
	v_xor_b32_e32 v14, v12, v3
	v_xor_b32_e32 v12, v13, v3
	v_sub_co_u32_e32 v12, vcc, v12, v3
	v_subb_co_u32_e32 v13, vcc, v14, v3, vcc
.LBB38_19:                              ;   in Loop: Header=BB38_17 Depth=2
	s_andn2_saveexec_b64 s[0:1], s[48:49]
	s_cbranch_execz .LBB38_16
; %bb.20:                               ;   in Loop: Header=BB38_17 Depth=2
	v_cvt_f32_u32_e32 v3, s46
	s_sub_i32 s48, 0, s46
	v_rcp_iflag_f32_e32 v3, v3
	v_mul_f32_e32 v3, 0x4f7ffffe, v3
	v_cvt_u32_f32_e32 v3, v3
	v_mul_lo_u32 v12, s48, v3
	v_mul_hi_u32 v12, v3, v12
	v_add_u32_e32 v3, v3, v12
	v_mul_hi_u32 v3, v10, v3
	v_mul_lo_u32 v12, v3, s46
	v_add_u32_e32 v13, 1, v3
	v_sub_u32_e32 v12, v10, v12
	v_subrev_u32_e32 v14, s46, v12
	v_cmp_le_u32_e32 vcc, s46, v12
	v_cndmask_b32_e32 v12, v12, v14, vcc
	v_cndmask_b32_e32 v3, v3, v13, vcc
	v_add_u32_e32 v13, 1, v3
	v_cmp_le_u32_e32 vcc, s46, v12
	v_cndmask_b32_e32 v12, v3, v13, vcc
	v_mov_b32_e32 v13, v2
	s_branch .LBB38_16
.LBB38_21:                              ;   in Loop: Header=BB38_22 Depth=2
	s_or_b64 exec, exec, s[0:1]
	v_mul_lo_u32 v3, v13, s44
	v_mul_lo_u32 v24, v12, s45
	v_mad_u64_u32 v[22:23], s[0:1], v12, s44, 0
	v_add3_u32 v3, v23, v24, v3
	v_sub_co_u32_e32 v10, vcc, v10, v22
	v_subb_co_u32_e32 v3, vcc, v11, v3, vcc
	v_mul_lo_u32 v3, s48, v3
	v_mul_lo_u32 v22, s49, v10
	v_mad_u64_u32 v[8:9], s[0:1], s48, v10, v[8:9]
	v_mul_lo_u32 v23, v15, s46
	v_mul_lo_u32 v24, v14, s47
	v_mad_u64_u32 v[10:11], s[0:1], v14, s46, 0
	v_add3_u32 v9, v22, v9, v3
	v_mul_lo_u32 v22, v16, s51
	v_add3_u32 v3, v11, v24, v23
	v_sub_co_u32_e32 v10, vcc, v12, v10
	v_subb_co_u32_e32 v3, vcc, v13, v3, vcc
	v_mad_u64_u32 v[8:9], s[0:1], s52, v10, v[8:9]
	v_mul_lo_u32 v3, s52, v3
	v_mul_lo_u32 v12, s53, v10
	;; [unrolled: 1-line block ×3, first 2 shown]
	v_mad_u64_u32 v[10:11], s[0:1], v16, s50, 0
	v_add3_u32 v9, v12, v9, v3
	v_add3_u32 v3, v11, v22, v13
	v_sub_co_u32_e32 v10, vcc, v14, v10
	v_subb_co_u32_e32 v3, vcc, v15, v3, vcc
	v_mad_u64_u32 v[8:9], s[0:1], s56, v10, v[8:9]
	v_mul_lo_u32 v3, s56, v3
	v_mul_lo_u32 v12, s57, v10
	;; [unrolled: 1-line block ×4, first 2 shown]
	v_mad_u64_u32 v[10:11], s[0:1], v18, s54, 0
	s_load_dwordx2 s[0:1], s[38:39], 0x0
	v_add3_u32 v9, v12, v9, v3
	v_add3_u32 v3, v11, v14, v13
	v_sub_co_u32_e32 v10, vcc, v16, v10
	v_subb_co_u32_e32 v3, vcc, v17, v3, vcc
	s_add_u32 s38, s38, 0xffffffe0
	s_waitcnt lgkmcnt(0)
	v_mad_u64_u32 v[8:9], s[44:45], s0, v10, v[8:9]
	v_mul_lo_u32 v3, s0, v3
	v_mul_lo_u32 v10, s1, v10
	s_addc_u32 s39, s39, -1
	s_add_u32 s40, s40, 0xffffffe0
	s_addc_u32 s41, s41, -1
	s_add_u32 s42, s42, -4
	v_add3_u32 v9, v10, v9, v3
	s_addc_u32 s43, s43, -1
	v_mov_b32_e32 v10, v18
	s_cmp_eq_u64 s[42:43], 0
	v_mov_b32_e32 v11, v19
	s_cbranch_scc1 .LBB38_38
.LBB38_22:                              ;   Parent Loop BB38_3 Depth=1
                                        ; =>  This Inner Loop Header: Depth=2
	s_load_dwordx2 s[44:45], s[40:41], 0x18
                                        ; implicit-def: $vgpr12_vgpr13
	s_waitcnt lgkmcnt(0)
	v_or_b32_e32 v3, s45, v11
	v_cmp_ne_u64_e32 vcc, 0, v[2:3]
	s_and_saveexec_b64 s[0:1], vcc
	s_xor_b64 s[46:47], exec, s[0:1]
	s_cbranch_execz .LBB38_24
; %bb.23:                               ;   in Loop: Header=BB38_22 Depth=2
	s_ashr_i32 s48, s45, 31
	s_add_u32 s0, s44, s48
	s_mov_b32 s49, s48
	s_addc_u32 s1, s45, s48
	s_xor_b64 s[50:51], s[0:1], s[48:49]
	v_cvt_f32_u32_e32 v3, s50
	v_cvt_f32_u32_e32 v12, s51
	s_sub_u32 s49, 0, s50
	s_subb_u32 s52, 0, s51
	v_mac_f32_e32 v3, 0x4f800000, v12
	v_rcp_f32_e32 v3, v3
	v_mul_f32_e32 v3, 0x5f7ffffc, v3
	v_mul_f32_e32 v12, 0x2f800000, v3
	v_trunc_f32_e32 v12, v12
	v_mac_f32_e32 v3, 0xcf800000, v12
	v_cvt_u32_f32_e32 v12, v12
	v_cvt_u32_f32_e32 v3, v3
	v_readfirstlane_b32 s53, v12
	v_readfirstlane_b32 s0, v3
	s_mul_i32 s1, s49, s53
	s_mul_hi_u32 s55, s49, s0
	s_mul_i32 s54, s52, s0
	s_add_i32 s1, s55, s1
	s_add_i32 s1, s1, s54
	s_mul_i32 s56, s49, s0
	s_mul_i32 s55, s0, s1
	s_mul_hi_u32 s57, s0, s56
	s_mul_hi_u32 s54, s0, s1
	s_add_u32 s55, s57, s55
	s_addc_u32 s54, 0, s54
	s_mul_hi_u32 s58, s53, s56
	s_mul_i32 s56, s53, s56
	s_add_u32 s55, s55, s56
	s_mul_hi_u32 s57, s53, s1
	s_addc_u32 s54, s54, s58
	s_addc_u32 s55, s57, 0
	s_mul_i32 s1, s53, s1
	s_add_u32 s1, s54, s1
	s_addc_u32 s54, 0, s55
	s_add_u32 s55, s0, s1
	s_cselect_b64 s[0:1], -1, 0
	s_cmp_lg_u64 s[0:1], 0
	s_addc_u32 s53, s53, s54
	s_mul_i32 s0, s49, s53
	s_mul_hi_u32 s1, s49, s55
	s_add_i32 s0, s1, s0
	s_mul_i32 s52, s52, s55
	s_add_i32 s0, s0, s52
	s_mul_i32 s49, s49, s55
	s_mul_hi_u32 s52, s53, s49
	s_mul_i32 s54, s53, s49
	s_mul_i32 s57, s55, s0
	s_mul_hi_u32 s49, s55, s49
	s_mul_hi_u32 s56, s55, s0
	s_add_u32 s49, s49, s57
	s_addc_u32 s56, 0, s56
	s_add_u32 s49, s49, s54
	s_mul_hi_u32 s1, s53, s0
	s_addc_u32 s49, s56, s52
	s_addc_u32 s1, s1, 0
	s_mul_i32 s0, s53, s0
	s_add_u32 s0, s49, s0
	s_addc_u32 s49, 0, s1
	s_add_u32 s52, s55, s0
	s_cselect_b64 s[0:1], -1, 0
	v_ashrrev_i32_e32 v3, 31, v11
	s_cmp_lg_u64 s[0:1], 0
	v_add_co_u32_e32 v12, vcc, v10, v3
	s_addc_u32 s49, s53, s49
	v_xor_b32_e32 v16, v12, v3
	v_mad_u64_u32 v[12:13], s[0:1], v16, s49, 0
	v_mul_hi_u32 v15, v16, s52
	v_addc_co_u32_e32 v14, vcc, v11, v3, vcc
	v_xor_b32_e32 v17, v14, v3
	v_add_co_u32_e32 v18, vcc, v15, v12
	v_addc_co_u32_e32 v19, vcc, 0, v13, vcc
	v_mad_u64_u32 v[12:13], s[0:1], v17, s52, 0
	v_mad_u64_u32 v[14:15], s[0:1], v17, s49, 0
	v_add_co_u32_e32 v12, vcc, v18, v12
	v_addc_co_u32_e32 v12, vcc, v19, v13, vcc
	v_addc_co_u32_e32 v13, vcc, 0, v15, vcc
	v_add_co_u32_e32 v14, vcc, v12, v14
	v_addc_co_u32_e32 v15, vcc, 0, v13, vcc
	v_mul_lo_u32 v18, s51, v14
	v_mul_lo_u32 v19, s50, v15
	v_mad_u64_u32 v[12:13], s[0:1], s50, v14, 0
	v_xor_b32_e32 v3, s48, v3
	v_add3_u32 v13, v13, v19, v18
	v_sub_u32_e32 v18, v17, v13
	v_mov_b32_e32 v19, s51
	v_sub_co_u32_e32 v12, vcc, v16, v12
	v_subb_co_u32_e64 v16, s[0:1], v18, v19, vcc
	v_subrev_co_u32_e64 v18, s[0:1], s50, v12
	v_subbrev_co_u32_e64 v16, s[0:1], 0, v16, s[0:1]
	v_cmp_le_u32_e64 s[0:1], s51, v16
	v_cndmask_b32_e64 v19, 0, -1, s[0:1]
	v_cmp_le_u32_e64 s[0:1], s50, v18
	v_cndmask_b32_e64 v18, 0, -1, s[0:1]
	v_cmp_eq_u32_e64 s[0:1], s51, v16
	v_cndmask_b32_e64 v16, v19, v18, s[0:1]
	v_add_co_u32_e64 v18, s[0:1], 2, v14
	v_subb_co_u32_e32 v13, vcc, v17, v13, vcc
	v_addc_co_u32_e64 v19, s[0:1], 0, v15, s[0:1]
	v_cmp_le_u32_e32 vcc, s51, v13
	v_add_co_u32_e64 v22, s[0:1], 1, v14
	v_cndmask_b32_e64 v17, 0, -1, vcc
	v_cmp_le_u32_e32 vcc, s50, v12
	v_addc_co_u32_e64 v23, s[0:1], 0, v15, s[0:1]
	v_cndmask_b32_e64 v12, 0, -1, vcc
	v_cmp_eq_u32_e32 vcc, s51, v13
	v_cmp_ne_u32_e64 s[0:1], 0, v16
	v_cndmask_b32_e32 v12, v17, v12, vcc
	v_cndmask_b32_e64 v16, v23, v19, s[0:1]
	v_cmp_ne_u32_e32 vcc, 0, v12
	v_cndmask_b32_e64 v13, v22, v18, s[0:1]
	v_cndmask_b32_e32 v12, v15, v16, vcc
	v_cndmask_b32_e32 v13, v14, v13, vcc
	v_xor_b32_e32 v14, v12, v3
	v_xor_b32_e32 v12, v13, v3
	v_sub_co_u32_e32 v12, vcc, v12, v3
	v_subb_co_u32_e32 v13, vcc, v14, v3, vcc
.LBB38_24:                              ;   in Loop: Header=BB38_22 Depth=2
	s_andn2_saveexec_b64 s[0:1], s[46:47]
	s_cbranch_execz .LBB38_26
; %bb.25:                               ;   in Loop: Header=BB38_22 Depth=2
	v_cvt_f32_u32_e32 v3, s44
	s_sub_i32 s46, 0, s44
	v_rcp_iflag_f32_e32 v3, v3
	v_mul_f32_e32 v3, 0x4f7ffffe, v3
	v_cvt_u32_f32_e32 v3, v3
	v_mul_lo_u32 v12, s46, v3
	v_mul_hi_u32 v12, v3, v12
	v_add_u32_e32 v3, v3, v12
	v_mul_hi_u32 v3, v10, v3
	v_mul_lo_u32 v12, v3, s44
	v_add_u32_e32 v13, 1, v3
	v_sub_u32_e32 v12, v10, v12
	v_subrev_u32_e32 v14, s44, v12
	v_cmp_le_u32_e32 vcc, s44, v12
	v_cndmask_b32_e32 v12, v12, v14, vcc
	v_cndmask_b32_e32 v3, v3, v13, vcc
	v_add_u32_e32 v13, 1, v3
	v_cmp_le_u32_e32 vcc, s44, v12
	v_cndmask_b32_e32 v12, v3, v13, vcc
	v_mov_b32_e32 v13, v2
.LBB38_26:                              ;   in Loop: Header=BB38_22 Depth=2
	s_or_b64 exec, exec, s[0:1]
	s_load_dwordx2 s[46:47], s[40:41], 0x10
	s_load_dwordx2 s[48:49], s[38:39], 0x18
                                        ; implicit-def: $vgpr14_vgpr15
	s_waitcnt lgkmcnt(0)
	v_or_b32_e32 v3, s47, v13
	v_cmp_ne_u64_e32 vcc, 0, v[2:3]
	s_and_saveexec_b64 s[0:1], vcc
	s_xor_b64 s[50:51], exec, s[0:1]
	s_cbranch_execz .LBB38_28
; %bb.27:                               ;   in Loop: Header=BB38_22 Depth=2
	s_ashr_i32 s52, s47, 31
	s_add_u32 s0, s46, s52
	s_mov_b32 s53, s52
	s_addc_u32 s1, s47, s52
	s_xor_b64 s[54:55], s[0:1], s[52:53]
	v_cvt_f32_u32_e32 v3, s54
	v_cvt_f32_u32_e32 v14, s55
	s_sub_u32 s53, 0, s54
	s_subb_u32 s56, 0, s55
	v_mac_f32_e32 v3, 0x4f800000, v14
	v_rcp_f32_e32 v3, v3
	v_mul_f32_e32 v3, 0x5f7ffffc, v3
	v_mul_f32_e32 v14, 0x2f800000, v3
	v_trunc_f32_e32 v14, v14
	v_mac_f32_e32 v3, 0xcf800000, v14
	v_cvt_u32_f32_e32 v14, v14
	v_cvt_u32_f32_e32 v3, v3
	v_readfirstlane_b32 s57, v14
	v_readfirstlane_b32 s0, v3
	s_mul_i32 s1, s53, s57
	s_mul_hi_u32 s59, s53, s0
	s_mul_i32 s58, s56, s0
	s_add_i32 s1, s59, s1
	s_add_i32 s1, s1, s58
	s_mul_i32 s60, s53, s0
	s_mul_i32 s59, s0, s1
	s_mul_hi_u32 s61, s0, s60
	s_mul_hi_u32 s58, s0, s1
	s_add_u32 s59, s61, s59
	s_addc_u32 s58, 0, s58
	s_mul_hi_u32 s62, s57, s60
	s_mul_i32 s60, s57, s60
	s_add_u32 s59, s59, s60
	s_mul_hi_u32 s61, s57, s1
	s_addc_u32 s58, s58, s62
	s_addc_u32 s59, s61, 0
	s_mul_i32 s1, s57, s1
	s_add_u32 s1, s58, s1
	s_addc_u32 s58, 0, s59
	s_add_u32 s59, s0, s1
	s_cselect_b64 s[0:1], -1, 0
	s_cmp_lg_u64 s[0:1], 0
	s_addc_u32 s57, s57, s58
	s_mul_i32 s0, s53, s57
	s_mul_hi_u32 s1, s53, s59
	s_add_i32 s0, s1, s0
	s_mul_i32 s56, s56, s59
	s_add_i32 s0, s0, s56
	s_mul_i32 s53, s53, s59
	s_mul_hi_u32 s56, s57, s53
	s_mul_i32 s58, s57, s53
	s_mul_i32 s61, s59, s0
	s_mul_hi_u32 s53, s59, s53
	s_mul_hi_u32 s60, s59, s0
	s_add_u32 s53, s53, s61
	s_addc_u32 s60, 0, s60
	s_add_u32 s53, s53, s58
	s_mul_hi_u32 s1, s57, s0
	s_addc_u32 s53, s60, s56
	s_addc_u32 s1, s1, 0
	s_mul_i32 s0, s57, s0
	s_add_u32 s0, s53, s0
	s_addc_u32 s53, 0, s1
	s_add_u32 s56, s59, s0
	s_cselect_b64 s[0:1], -1, 0
	v_ashrrev_i32_e32 v3, 31, v13
	s_cmp_lg_u64 s[0:1], 0
	v_add_co_u32_e32 v14, vcc, v12, v3
	s_addc_u32 s53, s57, s53
	v_xor_b32_e32 v18, v14, v3
	v_mad_u64_u32 v[14:15], s[0:1], v18, s53, 0
	v_mul_hi_u32 v17, v18, s56
	v_addc_co_u32_e32 v16, vcc, v13, v3, vcc
	v_xor_b32_e32 v19, v16, v3
	v_add_co_u32_e32 v22, vcc, v17, v14
	v_addc_co_u32_e32 v23, vcc, 0, v15, vcc
	v_mad_u64_u32 v[14:15], s[0:1], v19, s56, 0
	v_mad_u64_u32 v[16:17], s[0:1], v19, s53, 0
	v_add_co_u32_e32 v14, vcc, v22, v14
	v_addc_co_u32_e32 v14, vcc, v23, v15, vcc
	v_addc_co_u32_e32 v15, vcc, 0, v17, vcc
	v_add_co_u32_e32 v16, vcc, v14, v16
	v_addc_co_u32_e32 v17, vcc, 0, v15, vcc
	v_mul_lo_u32 v22, s55, v16
	v_mul_lo_u32 v23, s54, v17
	v_mad_u64_u32 v[14:15], s[0:1], s54, v16, 0
	v_xor_b32_e32 v3, s52, v3
	v_add3_u32 v15, v15, v23, v22
	v_sub_u32_e32 v22, v19, v15
	v_mov_b32_e32 v23, s55
	v_sub_co_u32_e32 v14, vcc, v18, v14
	v_subb_co_u32_e64 v18, s[0:1], v22, v23, vcc
	v_subrev_co_u32_e64 v22, s[0:1], s54, v14
	v_subbrev_co_u32_e64 v18, s[0:1], 0, v18, s[0:1]
	v_cmp_le_u32_e64 s[0:1], s55, v18
	v_cndmask_b32_e64 v23, 0, -1, s[0:1]
	v_cmp_le_u32_e64 s[0:1], s54, v22
	v_cndmask_b32_e64 v22, 0, -1, s[0:1]
	v_cmp_eq_u32_e64 s[0:1], s55, v18
	v_cndmask_b32_e64 v18, v23, v22, s[0:1]
	v_add_co_u32_e64 v22, s[0:1], 2, v16
	v_subb_co_u32_e32 v15, vcc, v19, v15, vcc
	v_addc_co_u32_e64 v23, s[0:1], 0, v17, s[0:1]
	v_cmp_le_u32_e32 vcc, s55, v15
	v_add_co_u32_e64 v24, s[0:1], 1, v16
	v_cndmask_b32_e64 v19, 0, -1, vcc
	v_cmp_le_u32_e32 vcc, s54, v14
	v_addc_co_u32_e64 v25, s[0:1], 0, v17, s[0:1]
	v_cndmask_b32_e64 v14, 0, -1, vcc
	v_cmp_eq_u32_e32 vcc, s55, v15
	v_cmp_ne_u32_e64 s[0:1], 0, v18
	v_cndmask_b32_e32 v14, v19, v14, vcc
	v_cndmask_b32_e64 v18, v25, v23, s[0:1]
	v_cmp_ne_u32_e32 vcc, 0, v14
	v_cndmask_b32_e64 v15, v24, v22, s[0:1]
	v_cndmask_b32_e32 v14, v17, v18, vcc
	v_cndmask_b32_e32 v15, v16, v15, vcc
	v_xor_b32_e32 v16, v14, v3
	v_xor_b32_e32 v14, v15, v3
	v_sub_co_u32_e32 v14, vcc, v14, v3
	v_subb_co_u32_e32 v15, vcc, v16, v3, vcc
.LBB38_28:                              ;   in Loop: Header=BB38_22 Depth=2
	s_andn2_saveexec_b64 s[0:1], s[50:51]
	s_cbranch_execz .LBB38_30
; %bb.29:                               ;   in Loop: Header=BB38_22 Depth=2
	v_cvt_f32_u32_e32 v3, s46
	s_sub_i32 s50, 0, s46
	v_rcp_iflag_f32_e32 v3, v3
	v_mul_f32_e32 v3, 0x4f7ffffe, v3
	v_cvt_u32_f32_e32 v3, v3
	v_mul_lo_u32 v14, s50, v3
	v_mul_hi_u32 v14, v3, v14
	v_add_u32_e32 v3, v3, v14
	v_mul_hi_u32 v3, v12, v3
	v_mul_lo_u32 v14, v3, s46
	v_add_u32_e32 v15, 1, v3
	v_sub_u32_e32 v14, v12, v14
	v_subrev_u32_e32 v16, s46, v14
	v_cmp_le_u32_e32 vcc, s46, v14
	v_cndmask_b32_e32 v14, v14, v16, vcc
	v_cndmask_b32_e32 v3, v3, v15, vcc
	v_add_u32_e32 v15, 1, v3
	v_cmp_le_u32_e32 vcc, s46, v14
	v_cndmask_b32_e32 v14, v3, v15, vcc
	v_mov_b32_e32 v15, v2
.LBB38_30:                              ;   in Loop: Header=BB38_22 Depth=2
	s_or_b64 exec, exec, s[0:1]
	s_load_dwordx2 s[50:51], s[40:41], 0x8
	s_load_dwordx2 s[52:53], s[38:39], 0x10
                                        ; implicit-def: $vgpr16_vgpr17
	s_waitcnt lgkmcnt(0)
	v_or_b32_e32 v3, s51, v15
	v_cmp_ne_u64_e32 vcc, 0, v[2:3]
	s_and_saveexec_b64 s[0:1], vcc
	s_xor_b64 s[54:55], exec, s[0:1]
	s_cbranch_execz .LBB38_32
; %bb.31:                               ;   in Loop: Header=BB38_22 Depth=2
	s_ashr_i32 s56, s51, 31
	s_add_u32 s0, s50, s56
	s_mov_b32 s57, s56
	s_addc_u32 s1, s51, s56
	s_xor_b64 s[58:59], s[0:1], s[56:57]
	v_cvt_f32_u32_e32 v3, s58
	v_cvt_f32_u32_e32 v16, s59
	s_sub_u32 s57, 0, s58
	s_subb_u32 s60, 0, s59
	v_mac_f32_e32 v3, 0x4f800000, v16
	v_rcp_f32_e32 v3, v3
	v_mul_f32_e32 v3, 0x5f7ffffc, v3
	v_mul_f32_e32 v16, 0x2f800000, v3
	v_trunc_f32_e32 v16, v16
	v_mac_f32_e32 v3, 0xcf800000, v16
	v_cvt_u32_f32_e32 v16, v16
	v_cvt_u32_f32_e32 v3, v3
	v_readfirstlane_b32 s61, v16
	v_readfirstlane_b32 s0, v3
	s_mul_i32 s1, s57, s61
	s_mul_hi_u32 s63, s57, s0
	s_mul_i32 s62, s60, s0
	s_add_i32 s1, s63, s1
	s_add_i32 s1, s1, s62
	s_mul_i32 s68, s57, s0
	s_mul_i32 s63, s0, s1
	s_mul_hi_u32 s69, s0, s68
	s_mul_hi_u32 s62, s0, s1
	s_add_u32 s63, s69, s63
	s_addc_u32 s62, 0, s62
	s_mul_hi_u32 s70, s61, s68
	s_mul_i32 s68, s61, s68
	s_add_u32 s63, s63, s68
	s_mul_hi_u32 s69, s61, s1
	s_addc_u32 s62, s62, s70
	s_addc_u32 s63, s69, 0
	s_mul_i32 s1, s61, s1
	s_add_u32 s1, s62, s1
	s_addc_u32 s62, 0, s63
	s_add_u32 s63, s0, s1
	s_cselect_b64 s[0:1], -1, 0
	s_cmp_lg_u64 s[0:1], 0
	s_addc_u32 s61, s61, s62
	s_mul_i32 s0, s57, s61
	s_mul_hi_u32 s1, s57, s63
	s_add_i32 s0, s1, s0
	s_mul_i32 s60, s60, s63
	s_add_i32 s0, s0, s60
	s_mul_i32 s57, s57, s63
	s_mul_hi_u32 s60, s61, s57
	s_mul_i32 s62, s61, s57
	s_mul_i32 s69, s63, s0
	s_mul_hi_u32 s57, s63, s57
	s_mul_hi_u32 s68, s63, s0
	s_add_u32 s57, s57, s69
	s_addc_u32 s68, 0, s68
	s_add_u32 s57, s57, s62
	s_mul_hi_u32 s1, s61, s0
	s_addc_u32 s57, s68, s60
	s_addc_u32 s1, s1, 0
	s_mul_i32 s0, s61, s0
	s_add_u32 s0, s57, s0
	s_addc_u32 s57, 0, s1
	s_add_u32 s60, s63, s0
	s_cselect_b64 s[0:1], -1, 0
	v_ashrrev_i32_e32 v3, 31, v15
	s_cmp_lg_u64 s[0:1], 0
	v_add_co_u32_e32 v16, vcc, v14, v3
	s_addc_u32 s57, s61, s57
	v_xor_b32_e32 v22, v16, v3
	v_mad_u64_u32 v[16:17], s[0:1], v22, s57, 0
	v_mul_hi_u32 v19, v22, s60
	v_addc_co_u32_e32 v18, vcc, v15, v3, vcc
	v_xor_b32_e32 v23, v18, v3
	v_add_co_u32_e32 v24, vcc, v19, v16
	v_addc_co_u32_e32 v25, vcc, 0, v17, vcc
	v_mad_u64_u32 v[16:17], s[0:1], v23, s60, 0
	v_mad_u64_u32 v[18:19], s[0:1], v23, s57, 0
	v_add_co_u32_e32 v16, vcc, v24, v16
	v_addc_co_u32_e32 v16, vcc, v25, v17, vcc
	v_addc_co_u32_e32 v17, vcc, 0, v19, vcc
	v_add_co_u32_e32 v18, vcc, v16, v18
	v_addc_co_u32_e32 v19, vcc, 0, v17, vcc
	v_mul_lo_u32 v24, s59, v18
	v_mul_lo_u32 v25, s58, v19
	v_mad_u64_u32 v[16:17], s[0:1], s58, v18, 0
	v_xor_b32_e32 v3, s56, v3
	v_add3_u32 v17, v17, v25, v24
	v_sub_u32_e32 v24, v23, v17
	v_mov_b32_e32 v25, s59
	v_sub_co_u32_e32 v16, vcc, v22, v16
	v_subb_co_u32_e64 v22, s[0:1], v24, v25, vcc
	v_subrev_co_u32_e64 v24, s[0:1], s58, v16
	v_subbrev_co_u32_e64 v22, s[0:1], 0, v22, s[0:1]
	v_cmp_le_u32_e64 s[0:1], s59, v22
	v_cndmask_b32_e64 v25, 0, -1, s[0:1]
	v_cmp_le_u32_e64 s[0:1], s58, v24
	v_cndmask_b32_e64 v24, 0, -1, s[0:1]
	v_cmp_eq_u32_e64 s[0:1], s59, v22
	v_cndmask_b32_e64 v22, v25, v24, s[0:1]
	v_add_co_u32_e64 v24, s[0:1], 2, v18
	v_subb_co_u32_e32 v17, vcc, v23, v17, vcc
	v_addc_co_u32_e64 v25, s[0:1], 0, v19, s[0:1]
	v_cmp_le_u32_e32 vcc, s59, v17
	v_add_co_u32_e64 v26, s[0:1], 1, v18
	v_cndmask_b32_e64 v23, 0, -1, vcc
	v_cmp_le_u32_e32 vcc, s58, v16
	v_addc_co_u32_e64 v27, s[0:1], 0, v19, s[0:1]
	v_cndmask_b32_e64 v16, 0, -1, vcc
	v_cmp_eq_u32_e32 vcc, s59, v17
	v_cmp_ne_u32_e64 s[0:1], 0, v22
	v_cndmask_b32_e32 v16, v23, v16, vcc
	v_cndmask_b32_e64 v22, v27, v25, s[0:1]
	v_cmp_ne_u32_e32 vcc, 0, v16
	v_cndmask_b32_e64 v17, v26, v24, s[0:1]
	v_cndmask_b32_e32 v16, v19, v22, vcc
	v_cndmask_b32_e32 v17, v18, v17, vcc
	v_xor_b32_e32 v18, v16, v3
	v_xor_b32_e32 v16, v17, v3
	v_sub_co_u32_e32 v16, vcc, v16, v3
	v_subb_co_u32_e32 v17, vcc, v18, v3, vcc
.LBB38_32:                              ;   in Loop: Header=BB38_22 Depth=2
	s_andn2_saveexec_b64 s[0:1], s[54:55]
	s_cbranch_execz .LBB38_34
; %bb.33:                               ;   in Loop: Header=BB38_22 Depth=2
	v_cvt_f32_u32_e32 v3, s50
	s_sub_i32 s54, 0, s50
	v_rcp_iflag_f32_e32 v3, v3
	v_mul_f32_e32 v3, 0x4f7ffffe, v3
	v_cvt_u32_f32_e32 v3, v3
	v_mul_lo_u32 v16, s54, v3
	v_mul_hi_u32 v16, v3, v16
	v_add_u32_e32 v3, v3, v16
	v_mul_hi_u32 v3, v14, v3
	v_mul_lo_u32 v16, v3, s50
	v_add_u32_e32 v17, 1, v3
	v_sub_u32_e32 v16, v14, v16
	v_subrev_u32_e32 v18, s50, v16
	v_cmp_le_u32_e32 vcc, s50, v16
	v_cndmask_b32_e32 v16, v16, v18, vcc
	v_cndmask_b32_e32 v3, v3, v17, vcc
	v_add_u32_e32 v17, 1, v3
	v_cmp_le_u32_e32 vcc, s50, v16
	v_cndmask_b32_e32 v16, v3, v17, vcc
	v_mov_b32_e32 v17, v2
.LBB38_34:                              ;   in Loop: Header=BB38_22 Depth=2
	s_or_b64 exec, exec, s[0:1]
	s_load_dwordx2 s[54:55], s[40:41], 0x0
	s_load_dwordx2 s[56:57], s[38:39], 0x8
                                        ; implicit-def: $vgpr18_vgpr19
	s_waitcnt lgkmcnt(0)
	v_or_b32_e32 v3, s55, v17
	v_cmp_ne_u64_e32 vcc, 0, v[2:3]
	s_and_saveexec_b64 s[0:1], vcc
	s_xor_b64 s[58:59], exec, s[0:1]
	s_cbranch_execz .LBB38_36
; %bb.35:                               ;   in Loop: Header=BB38_22 Depth=2
	s_ashr_i32 s60, s55, 31
	s_add_u32 s0, s54, s60
	s_mov_b32 s61, s60
	s_addc_u32 s1, s55, s60
	s_xor_b64 s[62:63], s[0:1], s[60:61]
	v_cvt_f32_u32_e32 v3, s62
	v_cvt_f32_u32_e32 v18, s63
	s_sub_u32 s61, 0, s62
	s_subb_u32 s68, 0, s63
	v_mac_f32_e32 v3, 0x4f800000, v18
	v_rcp_f32_e32 v3, v3
	v_mul_f32_e32 v3, 0x5f7ffffc, v3
	v_mul_f32_e32 v18, 0x2f800000, v3
	v_trunc_f32_e32 v18, v18
	v_mac_f32_e32 v3, 0xcf800000, v18
	v_cvt_u32_f32_e32 v18, v18
	v_cvt_u32_f32_e32 v3, v3
	v_readfirstlane_b32 s69, v18
	v_readfirstlane_b32 s0, v3
	s_mul_i32 s1, s61, s69
	s_mul_hi_u32 s71, s61, s0
	s_mul_i32 s70, s68, s0
	s_add_i32 s1, s71, s1
	s_add_i32 s1, s1, s70
	s_mul_i32 s72, s61, s0
	s_mul_i32 s71, s0, s1
	s_mul_hi_u32 s73, s0, s72
	s_mul_hi_u32 s70, s0, s1
	s_add_u32 s71, s73, s71
	s_addc_u32 s70, 0, s70
	s_mul_hi_u32 s74, s69, s72
	s_mul_i32 s72, s69, s72
	s_add_u32 s71, s71, s72
	s_mul_hi_u32 s73, s69, s1
	s_addc_u32 s70, s70, s74
	s_addc_u32 s71, s73, 0
	s_mul_i32 s1, s69, s1
	s_add_u32 s1, s70, s1
	s_addc_u32 s70, 0, s71
	s_add_u32 s71, s0, s1
	s_cselect_b64 s[0:1], -1, 0
	s_cmp_lg_u64 s[0:1], 0
	s_addc_u32 s69, s69, s70
	s_mul_i32 s0, s61, s69
	s_mul_hi_u32 s1, s61, s71
	s_add_i32 s0, s1, s0
	s_mul_i32 s68, s68, s71
	s_add_i32 s0, s0, s68
	s_mul_i32 s61, s61, s71
	s_mul_hi_u32 s68, s69, s61
	s_mul_i32 s70, s69, s61
	s_mul_i32 s73, s71, s0
	s_mul_hi_u32 s61, s71, s61
	s_mul_hi_u32 s72, s71, s0
	s_add_u32 s61, s61, s73
	s_addc_u32 s72, 0, s72
	s_add_u32 s61, s61, s70
	s_mul_hi_u32 s1, s69, s0
	s_addc_u32 s61, s72, s68
	s_addc_u32 s1, s1, 0
	s_mul_i32 s0, s69, s0
	s_add_u32 s0, s61, s0
	s_addc_u32 s61, 0, s1
	s_add_u32 s68, s71, s0
	s_cselect_b64 s[0:1], -1, 0
	v_ashrrev_i32_e32 v3, 31, v17
	s_cmp_lg_u64 s[0:1], 0
	v_add_co_u32_e32 v18, vcc, v16, v3
	s_addc_u32 s61, s69, s61
	v_xor_b32_e32 v24, v18, v3
	v_mad_u64_u32 v[18:19], s[0:1], v24, s61, 0
	v_mul_hi_u32 v23, v24, s68
	v_addc_co_u32_e32 v22, vcc, v17, v3, vcc
	v_xor_b32_e32 v25, v22, v3
	v_add_co_u32_e32 v26, vcc, v23, v18
	v_addc_co_u32_e32 v27, vcc, 0, v19, vcc
	v_mad_u64_u32 v[18:19], s[0:1], v25, s68, 0
	v_mad_u64_u32 v[22:23], s[0:1], v25, s61, 0
	v_add_co_u32_e32 v18, vcc, v26, v18
	v_addc_co_u32_e32 v18, vcc, v27, v19, vcc
	v_addc_co_u32_e32 v19, vcc, 0, v23, vcc
	v_add_co_u32_e32 v22, vcc, v18, v22
	v_addc_co_u32_e32 v23, vcc, 0, v19, vcc
	v_mul_lo_u32 v26, s63, v22
	v_mul_lo_u32 v27, s62, v23
	v_mad_u64_u32 v[18:19], s[0:1], s62, v22, 0
	v_xor_b32_e32 v3, s60, v3
	v_add3_u32 v19, v19, v27, v26
	v_sub_u32_e32 v26, v25, v19
	v_mov_b32_e32 v27, s63
	v_sub_co_u32_e32 v18, vcc, v24, v18
	v_subb_co_u32_e64 v24, s[0:1], v26, v27, vcc
	v_subrev_co_u32_e64 v26, s[0:1], s62, v18
	v_subbrev_co_u32_e64 v24, s[0:1], 0, v24, s[0:1]
	v_cmp_le_u32_e64 s[0:1], s63, v24
	v_cndmask_b32_e64 v27, 0, -1, s[0:1]
	v_cmp_le_u32_e64 s[0:1], s62, v26
	v_cndmask_b32_e64 v26, 0, -1, s[0:1]
	v_cmp_eq_u32_e64 s[0:1], s63, v24
	v_cndmask_b32_e64 v24, v27, v26, s[0:1]
	v_add_co_u32_e64 v26, s[0:1], 2, v22
	v_subb_co_u32_e32 v19, vcc, v25, v19, vcc
	v_addc_co_u32_e64 v27, s[0:1], 0, v23, s[0:1]
	v_cmp_le_u32_e32 vcc, s63, v19
	v_add_co_u32_e64 v28, s[0:1], 1, v22
	v_cndmask_b32_e64 v25, 0, -1, vcc
	v_cmp_le_u32_e32 vcc, s62, v18
	v_addc_co_u32_e64 v29, s[0:1], 0, v23, s[0:1]
	v_cndmask_b32_e64 v18, 0, -1, vcc
	v_cmp_eq_u32_e32 vcc, s63, v19
	v_cmp_ne_u32_e64 s[0:1], 0, v24
	v_cndmask_b32_e32 v18, v25, v18, vcc
	v_cndmask_b32_e64 v24, v29, v27, s[0:1]
	v_cmp_ne_u32_e32 vcc, 0, v18
	v_cndmask_b32_e64 v19, v28, v26, s[0:1]
	v_cndmask_b32_e32 v18, v23, v24, vcc
	v_cndmask_b32_e32 v19, v22, v19, vcc
	v_xor_b32_e32 v22, v18, v3
	v_xor_b32_e32 v18, v19, v3
	v_sub_co_u32_e32 v18, vcc, v18, v3
	v_subb_co_u32_e32 v19, vcc, v22, v3, vcc
.LBB38_36:                              ;   in Loop: Header=BB38_22 Depth=2
	s_andn2_saveexec_b64 s[0:1], s[58:59]
	s_cbranch_execz .LBB38_21
; %bb.37:                               ;   in Loop: Header=BB38_22 Depth=2
	v_cvt_f32_u32_e32 v3, s54
	s_sub_i32 s58, 0, s54
	v_rcp_iflag_f32_e32 v3, v3
	v_mul_f32_e32 v3, 0x4f7ffffe, v3
	v_cvt_u32_f32_e32 v3, v3
	v_mul_lo_u32 v18, s58, v3
	v_mul_hi_u32 v18, v3, v18
	v_add_u32_e32 v3, v3, v18
	v_mul_hi_u32 v3, v16, v3
	v_mul_lo_u32 v18, v3, s54
	v_add_u32_e32 v19, 1, v3
	v_sub_u32_e32 v18, v16, v18
	v_subrev_u32_e32 v22, s54, v18
	v_cmp_le_u32_e32 vcc, s54, v18
	v_cndmask_b32_e32 v18, v18, v22, vcc
	v_cndmask_b32_e32 v3, v3, v19, vcc
	v_add_u32_e32 v19, 1, v3
	v_cmp_le_u32_e32 vcc, s54, v18
	v_cndmask_b32_e32 v18, v3, v19, vcc
	v_mov_b32_e32 v19, v2
	s_branch .LBB38_21
.LBB38_38:                              ;   in Loop: Header=BB38_3 Depth=1
	s_load_dwordx2 s[38:39], s[22:23], 0x0
	s_waitcnt lgkmcnt(0)
	v_cmp_gt_i64_e32 vcc, s[38:39], v[4:5]
	s_and_b64 exec, exec, vcc
	s_cbranch_execz .LBB38_2
; %bb.39:                               ;   in Loop: Header=BB38_3 Depth=1
	v_lshlrev_b64 v[8:9], 2, v[8:9]
	v_mov_b32_e32 v3, s13
	v_cmp_lt_i64_e32 vcc, s[8:9], v[6:7]
	v_add_co_u32_e64 v6, s[0:1], s12, v8
	v_addc_co_u32_e64 v7, s[0:1], v3, v9, s[0:1]
	s_and_saveexec_b64 s[0:1], vcc
	s_cbranch_execz .LBB38_41
; %bb.40:                               ;   in Loop: Header=BB38_3 Depth=1
	global_store_dword v[6:7], v2, off
.LBB38_41:                              ;   in Loop: Header=BB38_3 Depth=1
	s_or_b64 exec, exec, s[0:1]
	v_add_co_u32_e32 v3, vcc, 1, v4
	v_addc_co_u32_e32 v4, vcc, 0, v5, vcc
	v_cmp_gt_i64_e32 vcc, s[38:39], v[3:4]
	v_sub_co_u32_e64 v3, s[0:1], v3, v20
	v_subb_co_u32_e64 v4, s[0:1], v4, v21, s[0:1]
	v_cmp_lt_i64_e64 s[0:1], s[8:9], v[3:4]
	s_and_b64 s[0:1], vcc, s[0:1]
	s_and_b64 exec, exec, s[0:1]
	s_cbranch_execz .LBB38_2
; %bb.42:                               ;   in Loop: Header=BB38_3 Depth=1
	s_lshl_b64 s[0:1], s[2:3], 2
	v_mov_b32_e32 v4, s1
	v_add_co_u32_e32 v3, vcc, s0, v6
	v_addc_co_u32_e32 v4, vcc, v7, v4, vcc
	global_store_dword v[3:4], v2, off
	s_branch .LBB38_2
.LBB38_43:
	s_endpgm
	.section	.rodata,"a",@progbits
	.p2align	6, 0x0
	.amdhsa_kernel _ZN2at6native16triu_tril_kernelIN3c107complexINS2_4HalfEEElLb0ELi2ELb1EEEvNS_4cuda6detail10TensorInfoIT_T0_EENS8_IKS9_SA_EEllSA_
		.amdhsa_group_segment_fixed_size 0
		.amdhsa_private_segment_fixed_size 0
		.amdhsa_kernarg_size 1112
		.amdhsa_user_sgpr_count 6
		.amdhsa_user_sgpr_private_segment_buffer 1
		.amdhsa_user_sgpr_dispatch_ptr 0
		.amdhsa_user_sgpr_queue_ptr 0
		.amdhsa_user_sgpr_kernarg_segment_ptr 1
		.amdhsa_user_sgpr_dispatch_id 0
		.amdhsa_user_sgpr_flat_scratch_init 0
		.amdhsa_user_sgpr_private_segment_size 0
		.amdhsa_uses_dynamic_stack 0
		.amdhsa_system_sgpr_private_segment_wavefront_offset 0
		.amdhsa_system_sgpr_workgroup_id_x 1
		.amdhsa_system_sgpr_workgroup_id_y 0
		.amdhsa_system_sgpr_workgroup_id_z 0
		.amdhsa_system_sgpr_workgroup_info 0
		.amdhsa_system_vgpr_workitem_id 0
		.amdhsa_next_free_vgpr 30
		.amdhsa_next_free_sgpr 75
		.amdhsa_reserve_vcc 1
		.amdhsa_reserve_flat_scratch 0
		.amdhsa_float_round_mode_32 0
		.amdhsa_float_round_mode_16_64 0
		.amdhsa_float_denorm_mode_32 3
		.amdhsa_float_denorm_mode_16_64 3
		.amdhsa_dx10_clamp 1
		.amdhsa_ieee_mode 1
		.amdhsa_fp16_overflow 0
		.amdhsa_exception_fp_ieee_invalid_op 0
		.amdhsa_exception_fp_denorm_src 0
		.amdhsa_exception_fp_ieee_div_zero 0
		.amdhsa_exception_fp_ieee_overflow 0
		.amdhsa_exception_fp_ieee_underflow 0
		.amdhsa_exception_fp_ieee_inexact 0
		.amdhsa_exception_int_div_zero 0
	.end_amdhsa_kernel
	.section	.text._ZN2at6native16triu_tril_kernelIN3c107complexINS2_4HalfEEElLb0ELi2ELb1EEEvNS_4cuda6detail10TensorInfoIT_T0_EENS8_IKS9_SA_EEllSA_,"axG",@progbits,_ZN2at6native16triu_tril_kernelIN3c107complexINS2_4HalfEEElLb0ELi2ELb1EEEvNS_4cuda6detail10TensorInfoIT_T0_EENS8_IKS9_SA_EEllSA_,comdat
.Lfunc_end38:
	.size	_ZN2at6native16triu_tril_kernelIN3c107complexINS2_4HalfEEElLb0ELi2ELb1EEEvNS_4cuda6detail10TensorInfoIT_T0_EENS8_IKS9_SA_EEllSA_, .Lfunc_end38-_ZN2at6native16triu_tril_kernelIN3c107complexINS2_4HalfEEElLb0ELi2ELb1EEEvNS_4cuda6detail10TensorInfoIT_T0_EENS8_IKS9_SA_EEllSA_
                                        ; -- End function
	.set _ZN2at6native16triu_tril_kernelIN3c107complexINS2_4HalfEEElLb0ELi2ELb1EEEvNS_4cuda6detail10TensorInfoIT_T0_EENS8_IKS9_SA_EEllSA_.num_vgpr, 30
	.set _ZN2at6native16triu_tril_kernelIN3c107complexINS2_4HalfEEElLb0ELi2ELb1EEEvNS_4cuda6detail10TensorInfoIT_T0_EENS8_IKS9_SA_EEllSA_.num_agpr, 0
	.set _ZN2at6native16triu_tril_kernelIN3c107complexINS2_4HalfEEElLb0ELi2ELb1EEEvNS_4cuda6detail10TensorInfoIT_T0_EENS8_IKS9_SA_EEllSA_.numbered_sgpr, 75
	.set _ZN2at6native16triu_tril_kernelIN3c107complexINS2_4HalfEEElLb0ELi2ELb1EEEvNS_4cuda6detail10TensorInfoIT_T0_EENS8_IKS9_SA_EEllSA_.num_named_barrier, 0
	.set _ZN2at6native16triu_tril_kernelIN3c107complexINS2_4HalfEEElLb0ELi2ELb1EEEvNS_4cuda6detail10TensorInfoIT_T0_EENS8_IKS9_SA_EEllSA_.private_seg_size, 0
	.set _ZN2at6native16triu_tril_kernelIN3c107complexINS2_4HalfEEElLb0ELi2ELb1EEEvNS_4cuda6detail10TensorInfoIT_T0_EENS8_IKS9_SA_EEllSA_.uses_vcc, 1
	.set _ZN2at6native16triu_tril_kernelIN3c107complexINS2_4HalfEEElLb0ELi2ELb1EEEvNS_4cuda6detail10TensorInfoIT_T0_EENS8_IKS9_SA_EEllSA_.uses_flat_scratch, 0
	.set _ZN2at6native16triu_tril_kernelIN3c107complexINS2_4HalfEEElLb0ELi2ELb1EEEvNS_4cuda6detail10TensorInfoIT_T0_EENS8_IKS9_SA_EEllSA_.has_dyn_sized_stack, 0
	.set _ZN2at6native16triu_tril_kernelIN3c107complexINS2_4HalfEEElLb0ELi2ELb1EEEvNS_4cuda6detail10TensorInfoIT_T0_EENS8_IKS9_SA_EEllSA_.has_recursion, 0
	.set _ZN2at6native16triu_tril_kernelIN3c107complexINS2_4HalfEEElLb0ELi2ELb1EEEvNS_4cuda6detail10TensorInfoIT_T0_EENS8_IKS9_SA_EEllSA_.has_indirect_call, 0
	.section	.AMDGPU.csdata,"",@progbits
; Kernel info:
; codeLenInByte = 6472
; TotalNumSgprs: 79
; NumVgprs: 30
; ScratchSize: 0
; MemoryBound: 0
; FloatMode: 240
; IeeeMode: 1
; LDSByteSize: 0 bytes/workgroup (compile time only)
; SGPRBlocks: 9
; VGPRBlocks: 7
; NumSGPRsForWavesPerEU: 79
; NumVGPRsForWavesPerEU: 30
; Occupancy: 8
; WaveLimiterHint : 0
; COMPUTE_PGM_RSRC2:SCRATCH_EN: 0
; COMPUTE_PGM_RSRC2:USER_SGPR: 6
; COMPUTE_PGM_RSRC2:TRAP_HANDLER: 0
; COMPUTE_PGM_RSRC2:TGID_X_EN: 1
; COMPUTE_PGM_RSRC2:TGID_Y_EN: 0
; COMPUTE_PGM_RSRC2:TGID_Z_EN: 0
; COMPUTE_PGM_RSRC2:TIDIG_COMP_CNT: 0
	.section	.text._ZN2at6native16triu_tril_kernelIN3c107complexINS2_4HalfEEElLb0ELi2ELb0EEEvNS_4cuda6detail10TensorInfoIT_T0_EENS8_IKS9_SA_EEllSA_,"axG",@progbits,_ZN2at6native16triu_tril_kernelIN3c107complexINS2_4HalfEEElLb0ELi2ELb0EEEvNS_4cuda6detail10TensorInfoIT_T0_EENS8_IKS9_SA_EEllSA_,comdat
	.protected	_ZN2at6native16triu_tril_kernelIN3c107complexINS2_4HalfEEElLb0ELi2ELb0EEEvNS_4cuda6detail10TensorInfoIT_T0_EENS8_IKS9_SA_EEllSA_ ; -- Begin function _ZN2at6native16triu_tril_kernelIN3c107complexINS2_4HalfEEElLb0ELi2ELb0EEEvNS_4cuda6detail10TensorInfoIT_T0_EENS8_IKS9_SA_EEllSA_
	.globl	_ZN2at6native16triu_tril_kernelIN3c107complexINS2_4HalfEEElLb0ELi2ELb0EEEvNS_4cuda6detail10TensorInfoIT_T0_EENS8_IKS9_SA_EEllSA_
	.p2align	8
	.type	_ZN2at6native16triu_tril_kernelIN3c107complexINS2_4HalfEEElLb0ELi2ELb0EEEvNS_4cuda6detail10TensorInfoIT_T0_EENS8_IKS9_SA_EEllSA_,@function
_ZN2at6native16triu_tril_kernelIN3c107complexINS2_4HalfEEElLb0ELi2ELb0EEEvNS_4cuda6detail10TensorInfoIT_T0_EENS8_IKS9_SA_EEllSA_: ; @_ZN2at6native16triu_tril_kernelIN3c107complexINS2_4HalfEEElLb0ELi2ELb0EEEvNS_4cuda6detail10TensorInfoIT_T0_EENS8_IKS9_SA_EEllSA_
; %bb.0:
	s_load_dword s2, s[4:5], 0x364
	s_load_dwordx4 s[8:11], s[4:5], 0x340
	s_add_u32 s0, s4, 0x358
	v_mov_b32_e32 v2, 0
	s_addc_u32 s1, s5, 0
	s_waitcnt lgkmcnt(0)
	s_and_b32 s7, s2, 0xffff
	v_mov_b32_e32 v1, v2
	v_mov_b32_e32 v3, s6
	v_mad_u64_u32 v[0:1], s[2:3], s7, v3, v[0:1]
	v_lshlrev_b64 v[0:1], 1, v[0:1]
	v_cmp_gt_i64_e32 vcc, s[10:11], v[0:1]
	s_and_saveexec_b64 s[2:3], vcc
	s_cbranch_execz .LBB39_38
; %bb.1:
	s_load_dword s6, s[0:1], 0x0
	s_load_dword s24, s[4:5], 0x338
	s_add_u32 s33, s4, 0x1a0
	s_addc_u32 s62, s5, 0
	s_load_dwordx2 s[2:3], s[4:5], 0x1a0
	s_waitcnt lgkmcnt(0)
	s_mul_i32 s30, s6, s7
	s_ashr_i32 s25, s24, 31
	s_lshl_b64 s[0:1], s[24:25], 3
	s_add_u32 s20, s33, s0
	s_addc_u32 s21, s62, s1
	s_add_u32 s22, s20, -8
	s_addc_u32 s23, s21, -1
	s_add_u32 s0, s4, s0
	v_cmp_gt_i64_e64 s[6:7], s[24:25], 2
	s_addc_u32 s1, s5, s1
	s_add_i32 s24, s24, -3
	s_ashr_i32 s25, s24, 31
	s_lshl_b32 s63, s30, 1
	s_bitcmp0_b32 s24, 0
	s_load_dwordx4 s[12:15], s[22:23], 0x0
	s_load_dwordx4 s[16:19], s[20:21], 0xc0
	s_cselect_b64 s[30:31], -1, 0
	s_load_dwordx4 s[20:23], s[0:1], 0xc0
	s_lshl_b64 s[0:1], s[24:25], 3
	s_add_u32 s34, s33, s0
	s_addc_u32 s35, s62, s1
	s_add_u32 s36, s4, s0
	s_addc_u32 s37, s5, s1
	s_load_dwordx2 s[26:27], s[4:5], 0x350
	s_load_dwordx2 s[28:29], s[4:5], 0x0
	s_add_u32 s38, s24, -1
	s_addc_u32 s39, s25, -1
	s_cmp_lg_u32 s24, 0
	s_cselect_b64 s[40:41], -1, 0
	s_add_u32 s64, s4, 0xc8
	s_addc_u32 s65, s5, 0
	s_mov_b64 s[4:5], 0
	s_branch .LBB39_3
.LBB39_2:                               ;   in Loop: Header=BB39_3 Depth=1
	s_or_b64 exec, exec, s[0:1]
	v_add_co_u32_e32 v0, vcc, s63, v0
	v_addc_co_u32_e32 v1, vcc, 0, v1, vcc
	v_cmp_le_i64_e32 vcc, s[10:11], v[0:1]
	s_or_b64 s[4:5], vcc, s[4:5]
	s_andn2_b64 exec, exec, s[4:5]
	s_cbranch_execz .LBB39_38
.LBB39_3:                               ; =>This Loop Header: Depth=1
                                        ;     Child Loop BB39_21 Depth 2
	s_waitcnt lgkmcnt(0)
	v_or_b32_e32 v3, s27, v1
	v_cmp_ne_u64_e32 vcc, 0, v[2:3]
                                        ; implicit-def: $vgpr6_vgpr7
	s_and_saveexec_b64 s[0:1], vcc
	s_xor_b64 s[42:43], exec, s[0:1]
	s_cbranch_execz .LBB39_5
; %bb.4:                                ;   in Loop: Header=BB39_3 Depth=1
	s_ashr_i32 s44, s27, 31
	s_add_u32 s0, s26, s44
	s_mov_b32 s45, s44
	s_addc_u32 s1, s27, s44
	s_xor_b64 s[46:47], s[0:1], s[44:45]
	v_cvt_f32_u32_e32 v3, s46
	v_cvt_f32_u32_e32 v4, s47
	s_sub_u32 s45, 0, s46
	s_subb_u32 s48, 0, s47
	v_ashrrev_i32_e32 v7, 31, v1
	v_mac_f32_e32 v3, 0x4f800000, v4
	v_rcp_f32_e32 v3, v3
	v_mul_f32_e32 v3, 0x5f7ffffc, v3
	v_mul_f32_e32 v4, 0x2f800000, v3
	v_trunc_f32_e32 v4, v4
	v_mac_f32_e32 v3, 0xcf800000, v4
	v_cvt_u32_f32_e32 v4, v4
	v_cvt_u32_f32_e32 v3, v3
	v_readfirstlane_b32 s49, v4
	v_readfirstlane_b32 s0, v3
	s_mul_i32 s1, s45, s49
	s_mul_hi_u32 s51, s45, s0
	s_mul_i32 s50, s48, s0
	s_add_i32 s1, s51, s1
	s_add_i32 s1, s1, s50
	s_mul_i32 s52, s45, s0
	s_mul_i32 s51, s0, s1
	s_mul_hi_u32 s53, s0, s52
	s_mul_hi_u32 s50, s0, s1
	s_add_u32 s51, s53, s51
	s_addc_u32 s50, 0, s50
	s_mul_hi_u32 s54, s49, s52
	s_mul_i32 s52, s49, s52
	s_add_u32 s51, s51, s52
	s_mul_hi_u32 s53, s49, s1
	s_addc_u32 s50, s50, s54
	s_addc_u32 s51, s53, 0
	s_mul_i32 s1, s49, s1
	s_add_u32 s1, s50, s1
	s_addc_u32 s50, 0, s51
	s_add_u32 s51, s0, s1
	s_cselect_b64 s[0:1], -1, 0
	s_cmp_lg_u64 s[0:1], 0
	s_addc_u32 s49, s49, s50
	s_mul_i32 s0, s45, s49
	s_mul_hi_u32 s1, s45, s51
	s_add_i32 s0, s1, s0
	s_mul_i32 s48, s48, s51
	s_add_i32 s0, s0, s48
	s_mul_i32 s45, s45, s51
	s_mul_hi_u32 s48, s49, s45
	s_mul_i32 s50, s49, s45
	s_mul_i32 s53, s51, s0
	s_mul_hi_u32 s45, s51, s45
	s_mul_hi_u32 s52, s51, s0
	s_add_u32 s45, s45, s53
	s_addc_u32 s52, 0, s52
	s_add_u32 s45, s45, s50
	s_mul_hi_u32 s1, s49, s0
	s_addc_u32 s45, s52, s48
	s_addc_u32 s1, s1, 0
	s_mul_i32 s0, s49, s0
	s_add_u32 s0, s45, s0
	s_addc_u32 s45, 0, s1
	s_add_u32 s48, s51, s0
	s_cselect_b64 s[0:1], -1, 0
	s_cmp_lg_u64 s[0:1], 0
	v_add_co_u32_e32 v3, vcc, v0, v7
	s_addc_u32 s45, s49, s45
	v_xor_b32_e32 v8, v3, v7
	v_mad_u64_u32 v[3:4], s[0:1], v8, s45, 0
	v_mul_hi_u32 v6, v8, s48
	v_addc_co_u32_e32 v5, vcc, v1, v7, vcc
	v_xor_b32_e32 v9, v5, v7
	v_add_co_u32_e32 v10, vcc, v6, v3
	v_addc_co_u32_e32 v11, vcc, 0, v4, vcc
	v_mad_u64_u32 v[3:4], s[0:1], v9, s48, 0
	v_mad_u64_u32 v[5:6], s[0:1], v9, s45, 0
	v_add_co_u32_e32 v3, vcc, v10, v3
	v_addc_co_u32_e32 v3, vcc, v11, v4, vcc
	v_addc_co_u32_e32 v4, vcc, 0, v6, vcc
	v_add_co_u32_e32 v5, vcc, v3, v5
	v_addc_co_u32_e32 v6, vcc, 0, v4, vcc
	v_mul_lo_u32 v10, s47, v5
	v_mul_lo_u32 v11, s46, v6
	v_mad_u64_u32 v[3:4], s[0:1], s46, v5, 0
	v_add3_u32 v4, v4, v11, v10
	v_sub_u32_e32 v10, v9, v4
	v_mov_b32_e32 v11, s47
	v_sub_co_u32_e32 v3, vcc, v8, v3
	v_subb_co_u32_e64 v8, s[0:1], v10, v11, vcc
	v_subrev_co_u32_e64 v10, s[0:1], s46, v3
	v_subbrev_co_u32_e64 v8, s[0:1], 0, v8, s[0:1]
	v_cmp_le_u32_e64 s[0:1], s47, v8
	v_cndmask_b32_e64 v11, 0, -1, s[0:1]
	v_cmp_le_u32_e64 s[0:1], s46, v10
	v_cndmask_b32_e64 v10, 0, -1, s[0:1]
	v_cmp_eq_u32_e64 s[0:1], s47, v8
	v_cndmask_b32_e64 v8, v11, v10, s[0:1]
	v_add_co_u32_e64 v10, s[0:1], 2, v5
	v_subb_co_u32_e32 v4, vcc, v9, v4, vcc
	v_addc_co_u32_e64 v11, s[0:1], 0, v6, s[0:1]
	v_cmp_le_u32_e32 vcc, s47, v4
	v_add_co_u32_e64 v12, s[0:1], 1, v5
	v_cndmask_b32_e64 v9, 0, -1, vcc
	v_cmp_le_u32_e32 vcc, s46, v3
	v_addc_co_u32_e64 v13, s[0:1], 0, v6, s[0:1]
	v_cndmask_b32_e64 v3, 0, -1, vcc
	v_cmp_eq_u32_e32 vcc, s47, v4
	v_cmp_ne_u32_e64 s[0:1], 0, v8
	v_cndmask_b32_e32 v3, v9, v3, vcc
	v_cmp_ne_u32_e32 vcc, 0, v3
	v_cndmask_b32_e64 v4, v12, v10, s[0:1]
	v_cndmask_b32_e64 v8, v13, v11, s[0:1]
	v_cndmask_b32_e32 v4, v5, v4, vcc
	v_xor_b32_e32 v5, s44, v7
	v_cndmask_b32_e32 v3, v6, v8, vcc
	v_xor_b32_e32 v4, v4, v5
	v_xor_b32_e32 v3, v3, v5
	v_sub_co_u32_e32 v6, vcc, v4, v5
	v_subb_co_u32_e32 v7, vcc, v3, v5, vcc
.LBB39_5:                               ;   in Loop: Header=BB39_3 Depth=1
	s_andn2_saveexec_b64 s[0:1], s[42:43]
	s_cbranch_execz .LBB39_7
; %bb.6:                                ;   in Loop: Header=BB39_3 Depth=1
	v_cvt_f32_u32_e32 v3, s26
	s_sub_i32 s42, 0, s26
	v_mov_b32_e32 v7, v2
	v_rcp_iflag_f32_e32 v3, v3
	v_mul_f32_e32 v3, 0x4f7ffffe, v3
	v_cvt_u32_f32_e32 v3, v3
	v_mul_lo_u32 v4, s42, v3
	v_mul_hi_u32 v4, v3, v4
	v_add_u32_e32 v3, v3, v4
	v_mul_hi_u32 v3, v0, v3
	v_mul_lo_u32 v4, v3, s26
	v_add_u32_e32 v5, 1, v3
	v_sub_u32_e32 v4, v0, v4
	v_subrev_u32_e32 v6, s26, v4
	v_cmp_le_u32_e32 vcc, s26, v4
	v_cndmask_b32_e32 v4, v4, v6, vcc
	v_cndmask_b32_e32 v3, v3, v5, vcc
	v_add_u32_e32 v5, 1, v3
	v_cmp_le_u32_e32 vcc, s26, v4
	v_cndmask_b32_e32 v6, v3, v5, vcc
.LBB39_7:                               ;   in Loop: Header=BB39_3 Depth=1
	s_or_b64 exec, exec, s[0:1]
	v_or_b32_e32 v3, s13, v7
	v_cmp_ne_u64_e32 vcc, 0, v[2:3]
                                        ; implicit-def: $vgpr10_vgpr11
	s_and_saveexec_b64 s[0:1], vcc
	s_xor_b64 s[42:43], exec, s[0:1]
	s_cbranch_execz .LBB39_9
; %bb.8:                                ;   in Loop: Header=BB39_3 Depth=1
	s_ashr_i32 s44, s13, 31
	s_add_u32 s0, s12, s44
	s_mov_b32 s45, s44
	s_addc_u32 s1, s13, s44
	s_xor_b64 s[46:47], s[0:1], s[44:45]
	v_cvt_f32_u32_e32 v3, s46
	v_cvt_f32_u32_e32 v4, s47
	s_sub_u32 s45, 0, s46
	s_subb_u32 s48, 0, s47
	v_ashrrev_i32_e32 v5, 31, v7
	v_mac_f32_e32 v3, 0x4f800000, v4
	v_rcp_f32_e32 v3, v3
	v_mul_f32_e32 v3, 0x5f7ffffc, v3
	v_mul_f32_e32 v4, 0x2f800000, v3
	v_trunc_f32_e32 v4, v4
	v_mac_f32_e32 v3, 0xcf800000, v4
	v_cvt_u32_f32_e32 v4, v4
	v_cvt_u32_f32_e32 v3, v3
	v_readfirstlane_b32 s49, v4
	v_readfirstlane_b32 s0, v3
	s_mul_i32 s1, s45, s49
	s_mul_hi_u32 s51, s45, s0
	s_mul_i32 s50, s48, s0
	s_add_i32 s1, s51, s1
	s_add_i32 s1, s1, s50
	s_mul_i32 s52, s45, s0
	s_mul_i32 s51, s0, s1
	s_mul_hi_u32 s53, s0, s52
	s_mul_hi_u32 s50, s0, s1
	s_add_u32 s51, s53, s51
	s_addc_u32 s50, 0, s50
	s_mul_hi_u32 s54, s49, s52
	s_mul_i32 s52, s49, s52
	s_add_u32 s51, s51, s52
	s_mul_hi_u32 s53, s49, s1
	s_addc_u32 s50, s50, s54
	s_addc_u32 s51, s53, 0
	s_mul_i32 s1, s49, s1
	s_add_u32 s1, s50, s1
	s_addc_u32 s50, 0, s51
	s_add_u32 s51, s0, s1
	s_cselect_b64 s[0:1], -1, 0
	s_cmp_lg_u64 s[0:1], 0
	s_addc_u32 s49, s49, s50
	s_mul_i32 s0, s45, s49
	s_mul_hi_u32 s1, s45, s51
	s_add_i32 s0, s1, s0
	s_mul_i32 s48, s48, s51
	s_add_i32 s0, s0, s48
	s_mul_i32 s45, s45, s51
	s_mul_hi_u32 s48, s49, s45
	s_mul_i32 s50, s49, s45
	s_mul_i32 s53, s51, s0
	s_mul_hi_u32 s45, s51, s45
	s_mul_hi_u32 s52, s51, s0
	s_add_u32 s45, s45, s53
	s_addc_u32 s52, 0, s52
	s_add_u32 s45, s45, s50
	s_mul_hi_u32 s1, s49, s0
	s_addc_u32 s45, s52, s48
	s_addc_u32 s1, s1, 0
	s_mul_i32 s0, s49, s0
	s_add_u32 s0, s45, s0
	s_addc_u32 s45, 0, s1
	s_add_u32 s48, s51, s0
	s_cselect_b64 s[0:1], -1, 0
	s_cmp_lg_u64 s[0:1], 0
	v_add_co_u32_e32 v3, vcc, v6, v5
	s_addc_u32 s45, s49, s45
	v_xor_b32_e32 v10, v3, v5
	v_mad_u64_u32 v[3:4], s[0:1], v10, s45, 0
	v_mul_hi_u32 v9, v10, s48
	v_addc_co_u32_e32 v8, vcc, v7, v5, vcc
	v_xor_b32_e32 v11, v8, v5
	v_add_co_u32_e32 v12, vcc, v9, v3
	v_addc_co_u32_e32 v13, vcc, 0, v4, vcc
	v_mad_u64_u32 v[3:4], s[0:1], v11, s48, 0
	v_mad_u64_u32 v[8:9], s[0:1], v11, s45, 0
	v_add_co_u32_e32 v3, vcc, v12, v3
	v_addc_co_u32_e32 v3, vcc, v13, v4, vcc
	v_addc_co_u32_e32 v4, vcc, 0, v9, vcc
	v_add_co_u32_e32 v8, vcc, v3, v8
	v_addc_co_u32_e32 v9, vcc, 0, v4, vcc
	v_mul_lo_u32 v12, s47, v8
	v_mul_lo_u32 v13, s46, v9
	v_mad_u64_u32 v[3:4], s[0:1], s46, v8, 0
	v_xor_b32_e32 v5, s44, v5
	v_add3_u32 v4, v4, v13, v12
	v_sub_u32_e32 v12, v11, v4
	v_mov_b32_e32 v13, s47
	v_sub_co_u32_e32 v3, vcc, v10, v3
	v_subb_co_u32_e64 v10, s[0:1], v12, v13, vcc
	v_subrev_co_u32_e64 v12, s[0:1], s46, v3
	v_subbrev_co_u32_e64 v10, s[0:1], 0, v10, s[0:1]
	v_cmp_le_u32_e64 s[0:1], s47, v10
	v_cndmask_b32_e64 v13, 0, -1, s[0:1]
	v_cmp_le_u32_e64 s[0:1], s46, v12
	v_cndmask_b32_e64 v12, 0, -1, s[0:1]
	v_cmp_eq_u32_e64 s[0:1], s47, v10
	v_cndmask_b32_e64 v10, v13, v12, s[0:1]
	v_add_co_u32_e64 v12, s[0:1], 2, v8
	v_subb_co_u32_e32 v4, vcc, v11, v4, vcc
	v_addc_co_u32_e64 v13, s[0:1], 0, v9, s[0:1]
	v_cmp_le_u32_e32 vcc, s47, v4
	v_add_co_u32_e64 v14, s[0:1], 1, v8
	v_cndmask_b32_e64 v11, 0, -1, vcc
	v_cmp_le_u32_e32 vcc, s46, v3
	v_addc_co_u32_e64 v15, s[0:1], 0, v9, s[0:1]
	v_cndmask_b32_e64 v3, 0, -1, vcc
	v_cmp_eq_u32_e32 vcc, s47, v4
	v_cmp_ne_u32_e64 s[0:1], 0, v10
	v_cndmask_b32_e32 v3, v11, v3, vcc
	v_cmp_ne_u32_e32 vcc, 0, v3
	v_cndmask_b32_e64 v4, v14, v12, s[0:1]
	v_cndmask_b32_e64 v10, v15, v13, s[0:1]
	v_cndmask_b32_e32 v4, v8, v4, vcc
	v_cndmask_b32_e32 v3, v9, v10, vcc
	v_xor_b32_e32 v4, v4, v5
	v_xor_b32_e32 v3, v3, v5
	v_sub_co_u32_e32 v10, vcc, v4, v5
	v_subb_co_u32_e32 v11, vcc, v3, v5, vcc
.LBB39_9:                               ;   in Loop: Header=BB39_3 Depth=1
	s_andn2_saveexec_b64 s[0:1], s[42:43]
	s_cbranch_execz .LBB39_11
; %bb.10:                               ;   in Loop: Header=BB39_3 Depth=1
	v_cvt_f32_u32_e32 v3, s12
	s_sub_i32 s42, 0, s12
	v_mov_b32_e32 v11, v2
	v_rcp_iflag_f32_e32 v3, v3
	v_mul_f32_e32 v3, 0x4f7ffffe, v3
	v_cvt_u32_f32_e32 v3, v3
	v_mul_lo_u32 v4, s42, v3
	v_mul_hi_u32 v4, v3, v4
	v_add_u32_e32 v3, v3, v4
	v_mul_hi_u32 v3, v6, v3
	v_mul_lo_u32 v4, v3, s12
	v_add_u32_e32 v5, 1, v3
	v_sub_u32_e32 v4, v6, v4
	v_subrev_u32_e32 v8, s12, v4
	v_cmp_le_u32_e32 vcc, s12, v4
	v_cndmask_b32_e32 v4, v4, v8, vcc
	v_cndmask_b32_e32 v3, v3, v5, vcc
	v_add_u32_e32 v5, 1, v3
	v_cmp_le_u32_e32 vcc, s12, v4
	v_cndmask_b32_e32 v10, v3, v5, vcc
.LBB39_11:                              ;   in Loop: Header=BB39_3 Depth=1
	s_or_b64 exec, exec, s[0:1]
	v_mul_lo_u32 v5, v7, s26
	v_mul_lo_u32 v8, v6, s27
	v_mad_u64_u32 v[3:4], s[0:1], v6, s26, 0
	v_mul_lo_u32 v12, v11, s12
	v_mul_lo_u32 v13, v10, s13
	v_add3_u32 v5, v4, v8, v5
	v_mad_u64_u32 v[8:9], s[0:1], v10, s12, 0
	v_sub_co_u32_e32 v4, vcc, v0, v3
	v_subb_co_u32_e32 v5, vcc, v1, v5, vcc
	v_add3_u32 v3, v9, v13, v12
	v_mul_lo_u32 v9, s19, v4
	v_mul_lo_u32 v14, s18, v5
	v_mad_u64_u32 v[12:13], s[0:1], s18, v4, 0
	v_sub_co_u32_e32 v16, vcc, v6, v8
	v_subb_co_u32_e32 v17, vcc, v7, v3, vcc
	v_add3_u32 v13, v13, v14, v9
	v_mul_lo_u32 v3, s23, v4
	v_mul_lo_u32 v14, s22, v5
	v_mad_u64_u32 v[6:7], s[0:1], s22, v4, 0
	v_mad_u64_u32 v[8:9], s[0:1], s16, v16, v[12:13]
	v_mul_lo_u32 v12, s16, v17
	v_mul_lo_u32 v13, s17, v16
	v_add3_u32 v7, v7, v14, v3
	v_mad_u64_u32 v[6:7], s[0:1], s20, v16, v[6:7]
	v_add3_u32 v9, v13, v9, v12
	v_mul_lo_u32 v3, s20, v17
	v_mul_lo_u32 v12, s21, v16
	s_andn2_b64 vcc, exec, s[6:7]
	v_add3_u32 v7, v12, v7, v3
	s_cbranch_vccnz .LBB39_29
; %bb.12:                               ;   in Loop: Header=BB39_3 Depth=1
	s_andn2_b64 vcc, exec, s[30:31]
	s_cbranch_vccnz .LBB39_18
; %bb.13:                               ;   in Loop: Header=BB39_3 Depth=1
	s_load_dwordx2 s[42:43], s[34:35], 0x8
                                        ; implicit-def: $vgpr12_vgpr13
	s_waitcnt lgkmcnt(0)
	v_or_b32_e32 v3, s43, v11
	v_cmp_ne_u64_e32 vcc, 0, v[2:3]
	s_and_saveexec_b64 s[0:1], vcc
	s_xor_b64 s[44:45], exec, s[0:1]
	s_cbranch_execz .LBB39_15
; %bb.14:                               ;   in Loop: Header=BB39_3 Depth=1
	s_ashr_i32 s46, s43, 31
	s_add_u32 s0, s42, s46
	s_mov_b32 s47, s46
	s_addc_u32 s1, s43, s46
	s_xor_b64 s[48:49], s[0:1], s[46:47]
	v_cvt_f32_u32_e32 v3, s48
	v_cvt_f32_u32_e32 v12, s49
	s_sub_u32 s47, 0, s48
	s_subb_u32 s50, 0, s49
	v_mac_f32_e32 v3, 0x4f800000, v12
	v_rcp_f32_e32 v3, v3
	v_mul_f32_e32 v3, 0x5f7ffffc, v3
	v_mul_f32_e32 v12, 0x2f800000, v3
	v_trunc_f32_e32 v12, v12
	v_mac_f32_e32 v3, 0xcf800000, v12
	v_cvt_u32_f32_e32 v12, v12
	v_cvt_u32_f32_e32 v3, v3
	v_readfirstlane_b32 s51, v12
	v_readfirstlane_b32 s0, v3
	s_mul_i32 s1, s47, s51
	s_mul_hi_u32 s53, s47, s0
	s_mul_i32 s52, s50, s0
	s_add_i32 s1, s53, s1
	s_add_i32 s1, s1, s52
	s_mul_i32 s54, s47, s0
	s_mul_i32 s53, s0, s1
	s_mul_hi_u32 s55, s0, s54
	s_mul_hi_u32 s52, s0, s1
	s_add_u32 s53, s55, s53
	s_addc_u32 s52, 0, s52
	s_mul_hi_u32 s56, s51, s54
	s_mul_i32 s54, s51, s54
	s_add_u32 s53, s53, s54
	s_mul_hi_u32 s55, s51, s1
	s_addc_u32 s52, s52, s56
	s_addc_u32 s53, s55, 0
	s_mul_i32 s1, s51, s1
	s_add_u32 s1, s52, s1
	s_addc_u32 s52, 0, s53
	s_add_u32 s53, s0, s1
	s_cselect_b64 s[0:1], -1, 0
	s_cmp_lg_u64 s[0:1], 0
	s_addc_u32 s51, s51, s52
	s_mul_i32 s0, s47, s51
	s_mul_hi_u32 s1, s47, s53
	s_add_i32 s0, s1, s0
	s_mul_i32 s50, s50, s53
	s_add_i32 s0, s0, s50
	s_mul_i32 s47, s47, s53
	s_mul_hi_u32 s50, s51, s47
	s_mul_i32 s52, s51, s47
	s_mul_i32 s55, s53, s0
	s_mul_hi_u32 s47, s53, s47
	s_mul_hi_u32 s54, s53, s0
	s_add_u32 s47, s47, s55
	s_addc_u32 s54, 0, s54
	s_add_u32 s47, s47, s52
	s_mul_hi_u32 s1, s51, s0
	s_addc_u32 s47, s54, s50
	s_addc_u32 s1, s1, 0
	s_mul_i32 s0, s51, s0
	s_add_u32 s0, s47, s0
	s_addc_u32 s47, 0, s1
	s_add_u32 s50, s53, s0
	s_cselect_b64 s[0:1], -1, 0
	v_ashrrev_i32_e32 v3, 31, v11
	s_cmp_lg_u64 s[0:1], 0
	v_add_co_u32_e32 v12, vcc, v10, v3
	s_addc_u32 s47, s51, s47
	v_xor_b32_e32 v18, v12, v3
	v_mad_u64_u32 v[12:13], s[0:1], v18, s47, 0
	v_mul_hi_u32 v15, v18, s50
	v_addc_co_u32_e32 v14, vcc, v11, v3, vcc
	v_xor_b32_e32 v19, v14, v3
	v_add_co_u32_e32 v20, vcc, v15, v12
	v_addc_co_u32_e32 v21, vcc, 0, v13, vcc
	v_mad_u64_u32 v[12:13], s[0:1], v19, s50, 0
	v_mad_u64_u32 v[14:15], s[0:1], v19, s47, 0
	v_add_co_u32_e32 v12, vcc, v20, v12
	v_addc_co_u32_e32 v12, vcc, v21, v13, vcc
	v_addc_co_u32_e32 v13, vcc, 0, v15, vcc
	v_add_co_u32_e32 v14, vcc, v12, v14
	v_addc_co_u32_e32 v15, vcc, 0, v13, vcc
	v_mul_lo_u32 v20, s49, v14
	v_mul_lo_u32 v21, s48, v15
	v_mad_u64_u32 v[12:13], s[0:1], s48, v14, 0
	v_xor_b32_e32 v3, s46, v3
	v_add3_u32 v13, v13, v21, v20
	v_sub_u32_e32 v20, v19, v13
	v_mov_b32_e32 v21, s49
	v_sub_co_u32_e32 v12, vcc, v18, v12
	v_subb_co_u32_e64 v18, s[0:1], v20, v21, vcc
	v_subrev_co_u32_e64 v20, s[0:1], s48, v12
	v_subbrev_co_u32_e64 v18, s[0:1], 0, v18, s[0:1]
	v_cmp_le_u32_e64 s[0:1], s49, v18
	v_cndmask_b32_e64 v21, 0, -1, s[0:1]
	v_cmp_le_u32_e64 s[0:1], s48, v20
	v_cndmask_b32_e64 v20, 0, -1, s[0:1]
	v_cmp_eq_u32_e64 s[0:1], s49, v18
	v_cndmask_b32_e64 v18, v21, v20, s[0:1]
	v_add_co_u32_e64 v20, s[0:1], 2, v14
	v_subb_co_u32_e32 v13, vcc, v19, v13, vcc
	v_addc_co_u32_e64 v21, s[0:1], 0, v15, s[0:1]
	v_cmp_le_u32_e32 vcc, s49, v13
	v_add_co_u32_e64 v22, s[0:1], 1, v14
	v_cndmask_b32_e64 v19, 0, -1, vcc
	v_cmp_le_u32_e32 vcc, s48, v12
	v_addc_co_u32_e64 v23, s[0:1], 0, v15, s[0:1]
	v_cndmask_b32_e64 v12, 0, -1, vcc
	v_cmp_eq_u32_e32 vcc, s49, v13
	v_cmp_ne_u32_e64 s[0:1], 0, v18
	v_cndmask_b32_e32 v12, v19, v12, vcc
	v_cndmask_b32_e64 v18, v23, v21, s[0:1]
	v_cmp_ne_u32_e32 vcc, 0, v12
	v_cndmask_b32_e64 v13, v22, v20, s[0:1]
	v_cndmask_b32_e32 v12, v15, v18, vcc
	v_cndmask_b32_e32 v13, v14, v13, vcc
	v_xor_b32_e32 v14, v12, v3
	v_xor_b32_e32 v12, v13, v3
	v_sub_co_u32_e32 v12, vcc, v12, v3
	v_subb_co_u32_e32 v13, vcc, v14, v3, vcc
.LBB39_15:                              ;   in Loop: Header=BB39_3 Depth=1
	s_andn2_saveexec_b64 s[0:1], s[44:45]
	s_cbranch_execz .LBB39_17
; %bb.16:                               ;   in Loop: Header=BB39_3 Depth=1
	v_cvt_f32_u32_e32 v3, s42
	s_sub_i32 s44, 0, s42
	v_rcp_iflag_f32_e32 v3, v3
	v_mul_f32_e32 v3, 0x4f7ffffe, v3
	v_cvt_u32_f32_e32 v3, v3
	v_mul_lo_u32 v12, s44, v3
	v_mul_hi_u32 v12, v3, v12
	v_add_u32_e32 v3, v3, v12
	v_mul_hi_u32 v3, v10, v3
	v_mul_lo_u32 v12, v3, s42
	v_add_u32_e32 v13, 1, v3
	v_sub_u32_e32 v12, v10, v12
	v_subrev_u32_e32 v14, s42, v12
	v_cmp_le_u32_e32 vcc, s42, v12
	v_cndmask_b32_e32 v12, v12, v14, vcc
	v_cndmask_b32_e32 v3, v3, v13, vcc
	v_add_u32_e32 v13, 1, v3
	v_cmp_le_u32_e32 vcc, s42, v12
	v_cndmask_b32_e32 v12, v3, v13, vcc
	v_mov_b32_e32 v13, v2
.LBB39_17:                              ;   in Loop: Header=BB39_3 Depth=1
	s_or_b64 exec, exec, s[0:1]
	v_mul_lo_u32 v3, v13, s42
	v_mul_lo_u32 v18, v12, s43
	v_mad_u64_u32 v[14:15], s[0:1], v12, s42, 0
	s_load_dwordx2 s[0:1], s[34:35], 0xd0
	s_load_dwordx2 s[42:43], s[36:37], 0xd0
	v_add3_u32 v3, v15, v18, v3
	v_sub_co_u32_e32 v10, vcc, v10, v14
	v_subb_co_u32_e32 v3, vcc, v11, v3, vcc
	s_waitcnt lgkmcnt(0)
	v_mul_lo_u32 v11, s0, v3
	v_mul_lo_u32 v14, s1, v10
	v_mad_u64_u32 v[8:9], s[0:1], s0, v10, v[8:9]
	v_mul_lo_u32 v3, s42, v3
	v_mul_lo_u32 v15, s43, v10
	v_mad_u64_u32 v[6:7], s[0:1], s42, v10, v[6:7]
	v_add3_u32 v9, v14, v9, v11
	v_mov_b32_e32 v10, v12
	v_add3_u32 v7, v15, v7, v3
	v_mov_b32_e32 v11, v13
	s_mov_b64 s[0:1], s[38:39]
	s_andn2_b64 vcc, exec, s[40:41]
	s_cbranch_vccz .LBB39_19
	s_branch .LBB39_29
.LBB39_18:                              ;   in Loop: Header=BB39_3 Depth=1
	s_mov_b64 s[0:1], s[24:25]
	s_andn2_b64 vcc, exec, s[40:41]
	s_cbranch_vccnz .LBB39_29
.LBB39_19:                              ;   in Loop: Header=BB39_3 Depth=1
	s_lshl_b64 s[44:45], s[0:1], 3
	s_add_u32 s42, s64, s44
	s_addc_u32 s43, s65, s45
	s_add_u32 s44, s33, s44
	s_addc_u32 s45, s62, s45
	;; [unrolled: 2-line block ×3, first 2 shown]
	s_branch .LBB39_21
.LBB39_20:                              ;   in Loop: Header=BB39_21 Depth=2
	s_or_b64 exec, exec, s[0:1]
	v_mul_lo_u32 v3, v13, s48
	v_mul_lo_u32 v20, v12, s49
	v_mad_u64_u32 v[18:19], s[0:1], v12, s48, 0
	v_mul_lo_u32 v21, v15, s50
	v_mul_lo_u32 v22, v14, s51
	v_add3_u32 v3, v19, v20, v3
	v_sub_co_u32_e32 v10, vcc, v10, v18
	v_subb_co_u32_e32 v3, vcc, v11, v3, vcc
	v_mul_lo_u32 v18, s54, v3
	v_mul_lo_u32 v19, s55, v10
	v_mad_u64_u32 v[8:9], s[0:1], s54, v10, v[8:9]
	v_mul_lo_u32 v3, s52, v3
	v_mul_lo_u32 v20, s53, v10
	v_mad_u64_u32 v[6:7], s[0:1], s52, v10, v[6:7]
	v_mad_u64_u32 v[10:11], s[0:1], v14, s50, 0
	s_load_dwordx2 s[0:1], s[44:45], 0xc8
	s_load_dwordx2 s[48:49], s[42:43], 0x0
	v_add3_u32 v7, v20, v7, v3
	v_add3_u32 v3, v11, v22, v21
	v_sub_co_u32_e32 v10, vcc, v12, v10
	v_add3_u32 v9, v19, v9, v18
	v_subb_co_u32_e32 v3, vcc, v13, v3, vcc
	s_add_u32 s42, s42, -16
	s_waitcnt lgkmcnt(0)
	v_mad_u64_u32 v[8:9], s[50:51], s0, v10, v[8:9]
	v_mul_lo_u32 v11, s0, v3
	v_mul_lo_u32 v12, s1, v10
	v_mad_u64_u32 v[6:7], s[0:1], s48, v10, v[6:7]
	v_mul_lo_u32 v3, s48, v3
	v_mul_lo_u32 v10, s49, v10
	s_addc_u32 s43, s43, -1
	s_add_u32 s44, s44, -16
	s_addc_u32 s45, s45, -1
	s_add_u32 s46, s46, -2
	v_add3_u32 v9, v12, v9, v11
	v_add3_u32 v7, v10, v7, v3
	s_addc_u32 s47, s47, -1
	v_mov_b32_e32 v10, v14
	s_cmp_eq_u64 s[46:47], 0
	v_mov_b32_e32 v11, v15
	s_cbranch_scc1 .LBB39_29
.LBB39_21:                              ;   Parent Loop BB39_3 Depth=1
                                        ; =>  This Inner Loop Header: Depth=2
	s_load_dwordx2 s[48:49], s[44:45], 0x8
                                        ; implicit-def: $vgpr12_vgpr13
	s_waitcnt lgkmcnt(0)
	v_or_b32_e32 v3, s49, v11
	v_cmp_ne_u64_e32 vcc, 0, v[2:3]
	s_and_saveexec_b64 s[0:1], vcc
	s_xor_b64 s[50:51], exec, s[0:1]
	s_cbranch_execz .LBB39_23
; %bb.22:                               ;   in Loop: Header=BB39_21 Depth=2
	s_ashr_i32 s52, s49, 31
	s_add_u32 s0, s48, s52
	s_mov_b32 s53, s52
	s_addc_u32 s1, s49, s52
	s_xor_b64 s[54:55], s[0:1], s[52:53]
	v_cvt_f32_u32_e32 v3, s54
	v_cvt_f32_u32_e32 v12, s55
	s_sub_u32 s53, 0, s54
	s_subb_u32 s56, 0, s55
	v_mac_f32_e32 v3, 0x4f800000, v12
	v_rcp_f32_e32 v3, v3
	v_mul_f32_e32 v3, 0x5f7ffffc, v3
	v_mul_f32_e32 v12, 0x2f800000, v3
	v_trunc_f32_e32 v12, v12
	v_mac_f32_e32 v3, 0xcf800000, v12
	v_cvt_u32_f32_e32 v12, v12
	v_cvt_u32_f32_e32 v3, v3
	v_readfirstlane_b32 s57, v12
	v_readfirstlane_b32 s0, v3
	s_mul_i32 s1, s53, s57
	s_mul_hi_u32 s59, s53, s0
	s_mul_i32 s58, s56, s0
	s_add_i32 s1, s59, s1
	s_add_i32 s1, s1, s58
	s_mul_i32 s60, s53, s0
	s_mul_i32 s59, s0, s1
	s_mul_hi_u32 s61, s0, s60
	s_mul_hi_u32 s58, s0, s1
	s_add_u32 s59, s61, s59
	s_addc_u32 s58, 0, s58
	s_mul_hi_u32 s66, s57, s60
	s_mul_i32 s60, s57, s60
	s_add_u32 s59, s59, s60
	s_mul_hi_u32 s61, s57, s1
	s_addc_u32 s58, s58, s66
	s_addc_u32 s59, s61, 0
	s_mul_i32 s1, s57, s1
	s_add_u32 s1, s58, s1
	s_addc_u32 s58, 0, s59
	s_add_u32 s59, s0, s1
	s_cselect_b64 s[0:1], -1, 0
	s_cmp_lg_u64 s[0:1], 0
	s_addc_u32 s57, s57, s58
	s_mul_i32 s0, s53, s57
	s_mul_hi_u32 s1, s53, s59
	s_add_i32 s0, s1, s0
	s_mul_i32 s56, s56, s59
	s_add_i32 s0, s0, s56
	s_mul_i32 s53, s53, s59
	s_mul_hi_u32 s56, s57, s53
	s_mul_i32 s58, s57, s53
	s_mul_i32 s61, s59, s0
	s_mul_hi_u32 s53, s59, s53
	s_mul_hi_u32 s60, s59, s0
	s_add_u32 s53, s53, s61
	s_addc_u32 s60, 0, s60
	s_add_u32 s53, s53, s58
	s_mul_hi_u32 s1, s57, s0
	s_addc_u32 s53, s60, s56
	s_addc_u32 s1, s1, 0
	s_mul_i32 s0, s57, s0
	s_add_u32 s0, s53, s0
	s_addc_u32 s53, 0, s1
	s_add_u32 s56, s59, s0
	s_cselect_b64 s[0:1], -1, 0
	v_ashrrev_i32_e32 v3, 31, v11
	s_cmp_lg_u64 s[0:1], 0
	v_add_co_u32_e32 v12, vcc, v10, v3
	s_addc_u32 s53, s57, s53
	v_xor_b32_e32 v18, v12, v3
	v_mad_u64_u32 v[12:13], s[0:1], v18, s53, 0
	v_mul_hi_u32 v15, v18, s56
	v_addc_co_u32_e32 v14, vcc, v11, v3, vcc
	v_xor_b32_e32 v19, v14, v3
	v_add_co_u32_e32 v20, vcc, v15, v12
	v_addc_co_u32_e32 v21, vcc, 0, v13, vcc
	v_mad_u64_u32 v[12:13], s[0:1], v19, s56, 0
	v_mad_u64_u32 v[14:15], s[0:1], v19, s53, 0
	v_add_co_u32_e32 v12, vcc, v20, v12
	v_addc_co_u32_e32 v12, vcc, v21, v13, vcc
	v_addc_co_u32_e32 v13, vcc, 0, v15, vcc
	v_add_co_u32_e32 v14, vcc, v12, v14
	v_addc_co_u32_e32 v15, vcc, 0, v13, vcc
	v_mul_lo_u32 v20, s55, v14
	v_mul_lo_u32 v21, s54, v15
	v_mad_u64_u32 v[12:13], s[0:1], s54, v14, 0
	v_xor_b32_e32 v3, s52, v3
	v_add3_u32 v13, v13, v21, v20
	v_sub_u32_e32 v20, v19, v13
	v_mov_b32_e32 v21, s55
	v_sub_co_u32_e32 v12, vcc, v18, v12
	v_subb_co_u32_e64 v18, s[0:1], v20, v21, vcc
	v_subrev_co_u32_e64 v20, s[0:1], s54, v12
	v_subbrev_co_u32_e64 v18, s[0:1], 0, v18, s[0:1]
	v_cmp_le_u32_e64 s[0:1], s55, v18
	v_cndmask_b32_e64 v21, 0, -1, s[0:1]
	v_cmp_le_u32_e64 s[0:1], s54, v20
	v_cndmask_b32_e64 v20, 0, -1, s[0:1]
	v_cmp_eq_u32_e64 s[0:1], s55, v18
	v_cndmask_b32_e64 v18, v21, v20, s[0:1]
	v_add_co_u32_e64 v20, s[0:1], 2, v14
	v_subb_co_u32_e32 v13, vcc, v19, v13, vcc
	v_addc_co_u32_e64 v21, s[0:1], 0, v15, s[0:1]
	v_cmp_le_u32_e32 vcc, s55, v13
	v_add_co_u32_e64 v22, s[0:1], 1, v14
	v_cndmask_b32_e64 v19, 0, -1, vcc
	v_cmp_le_u32_e32 vcc, s54, v12
	v_addc_co_u32_e64 v23, s[0:1], 0, v15, s[0:1]
	v_cndmask_b32_e64 v12, 0, -1, vcc
	v_cmp_eq_u32_e32 vcc, s55, v13
	v_cmp_ne_u32_e64 s[0:1], 0, v18
	v_cndmask_b32_e32 v12, v19, v12, vcc
	v_cndmask_b32_e64 v18, v23, v21, s[0:1]
	v_cmp_ne_u32_e32 vcc, 0, v12
	v_cndmask_b32_e64 v13, v22, v20, s[0:1]
	v_cndmask_b32_e32 v12, v15, v18, vcc
	v_cndmask_b32_e32 v13, v14, v13, vcc
	v_xor_b32_e32 v14, v12, v3
	v_xor_b32_e32 v12, v13, v3
	v_sub_co_u32_e32 v12, vcc, v12, v3
	v_subb_co_u32_e32 v13, vcc, v14, v3, vcc
.LBB39_23:                              ;   in Loop: Header=BB39_21 Depth=2
	s_andn2_saveexec_b64 s[0:1], s[50:51]
	s_cbranch_execz .LBB39_25
; %bb.24:                               ;   in Loop: Header=BB39_21 Depth=2
	v_cvt_f32_u32_e32 v3, s48
	s_sub_i32 s50, 0, s48
	v_rcp_iflag_f32_e32 v3, v3
	v_mul_f32_e32 v3, 0x4f7ffffe, v3
	v_cvt_u32_f32_e32 v3, v3
	v_mul_lo_u32 v12, s50, v3
	v_mul_hi_u32 v12, v3, v12
	v_add_u32_e32 v3, v3, v12
	v_mul_hi_u32 v3, v10, v3
	v_mul_lo_u32 v12, v3, s48
	v_add_u32_e32 v13, 1, v3
	v_sub_u32_e32 v12, v10, v12
	v_subrev_u32_e32 v14, s48, v12
	v_cmp_le_u32_e32 vcc, s48, v12
	v_cndmask_b32_e32 v12, v12, v14, vcc
	v_cndmask_b32_e32 v3, v3, v13, vcc
	v_add_u32_e32 v13, 1, v3
	v_cmp_le_u32_e32 vcc, s48, v12
	v_cndmask_b32_e32 v12, v3, v13, vcc
	v_mov_b32_e32 v13, v2
.LBB39_25:                              ;   in Loop: Header=BB39_21 Depth=2
	s_or_b64 exec, exec, s[0:1]
	s_load_dwordx2 s[50:51], s[44:45], 0x0
	s_load_dwordx2 s[54:55], s[44:45], 0xd0
	;; [unrolled: 1-line block ×3, first 2 shown]
                                        ; implicit-def: $vgpr14_vgpr15
	s_waitcnt lgkmcnt(0)
	v_or_b32_e32 v3, s51, v13
	v_cmp_ne_u64_e32 vcc, 0, v[2:3]
	s_and_saveexec_b64 s[0:1], vcc
	s_xor_b64 s[56:57], exec, s[0:1]
	s_cbranch_execz .LBB39_27
; %bb.26:                               ;   in Loop: Header=BB39_21 Depth=2
	s_ashr_i32 s58, s51, 31
	s_add_u32 s0, s50, s58
	s_mov_b32 s59, s58
	s_addc_u32 s1, s51, s58
	s_xor_b64 s[60:61], s[0:1], s[58:59]
	v_cvt_f32_u32_e32 v3, s60
	v_cvt_f32_u32_e32 v14, s61
	s_sub_u32 s59, 0, s60
	s_subb_u32 s66, 0, s61
	v_mac_f32_e32 v3, 0x4f800000, v14
	v_rcp_f32_e32 v3, v3
	v_mul_f32_e32 v3, 0x5f7ffffc, v3
	v_mul_f32_e32 v14, 0x2f800000, v3
	v_trunc_f32_e32 v14, v14
	v_mac_f32_e32 v3, 0xcf800000, v14
	v_cvt_u32_f32_e32 v14, v14
	v_cvt_u32_f32_e32 v3, v3
	v_readfirstlane_b32 s67, v14
	v_readfirstlane_b32 s0, v3
	s_mul_i32 s1, s59, s67
	s_mul_hi_u32 s69, s59, s0
	s_mul_i32 s68, s66, s0
	s_add_i32 s1, s69, s1
	s_add_i32 s1, s1, s68
	s_mul_i32 s70, s59, s0
	s_mul_i32 s69, s0, s1
	s_mul_hi_u32 s71, s0, s70
	s_mul_hi_u32 s68, s0, s1
	s_add_u32 s69, s71, s69
	s_addc_u32 s68, 0, s68
	s_mul_hi_u32 s72, s67, s70
	s_mul_i32 s70, s67, s70
	s_add_u32 s69, s69, s70
	s_mul_hi_u32 s71, s67, s1
	s_addc_u32 s68, s68, s72
	s_addc_u32 s69, s71, 0
	s_mul_i32 s1, s67, s1
	s_add_u32 s1, s68, s1
	s_addc_u32 s68, 0, s69
	s_add_u32 s69, s0, s1
	s_cselect_b64 s[0:1], -1, 0
	s_cmp_lg_u64 s[0:1], 0
	s_addc_u32 s67, s67, s68
	s_mul_i32 s0, s59, s67
	s_mul_hi_u32 s1, s59, s69
	s_add_i32 s0, s1, s0
	s_mul_i32 s66, s66, s69
	s_add_i32 s0, s0, s66
	s_mul_i32 s59, s59, s69
	s_mul_hi_u32 s66, s67, s59
	s_mul_i32 s68, s67, s59
	s_mul_i32 s71, s69, s0
	s_mul_hi_u32 s59, s69, s59
	s_mul_hi_u32 s70, s69, s0
	s_add_u32 s59, s59, s71
	s_addc_u32 s70, 0, s70
	s_add_u32 s59, s59, s68
	s_mul_hi_u32 s1, s67, s0
	s_addc_u32 s59, s70, s66
	s_addc_u32 s1, s1, 0
	s_mul_i32 s0, s67, s0
	s_add_u32 s0, s59, s0
	s_addc_u32 s59, 0, s1
	s_add_u32 s66, s69, s0
	s_cselect_b64 s[0:1], -1, 0
	v_ashrrev_i32_e32 v3, 31, v13
	s_cmp_lg_u64 s[0:1], 0
	v_add_co_u32_e32 v14, vcc, v12, v3
	s_addc_u32 s59, s67, s59
	v_xor_b32_e32 v20, v14, v3
	v_mad_u64_u32 v[14:15], s[0:1], v20, s59, 0
	v_mul_hi_u32 v19, v20, s66
	v_addc_co_u32_e32 v18, vcc, v13, v3, vcc
	v_xor_b32_e32 v21, v18, v3
	v_add_co_u32_e32 v22, vcc, v19, v14
	v_addc_co_u32_e32 v23, vcc, 0, v15, vcc
	v_mad_u64_u32 v[14:15], s[0:1], v21, s66, 0
	v_mad_u64_u32 v[18:19], s[0:1], v21, s59, 0
	v_add_co_u32_e32 v14, vcc, v22, v14
	v_addc_co_u32_e32 v14, vcc, v23, v15, vcc
	v_addc_co_u32_e32 v15, vcc, 0, v19, vcc
	v_add_co_u32_e32 v18, vcc, v14, v18
	v_addc_co_u32_e32 v19, vcc, 0, v15, vcc
	v_mul_lo_u32 v22, s61, v18
	v_mul_lo_u32 v23, s60, v19
	v_mad_u64_u32 v[14:15], s[0:1], s60, v18, 0
	v_xor_b32_e32 v3, s58, v3
	v_add3_u32 v15, v15, v23, v22
	v_sub_u32_e32 v22, v21, v15
	v_mov_b32_e32 v23, s61
	v_sub_co_u32_e32 v14, vcc, v20, v14
	v_subb_co_u32_e64 v20, s[0:1], v22, v23, vcc
	v_subrev_co_u32_e64 v22, s[0:1], s60, v14
	v_subbrev_co_u32_e64 v20, s[0:1], 0, v20, s[0:1]
	v_cmp_le_u32_e64 s[0:1], s61, v20
	v_cndmask_b32_e64 v23, 0, -1, s[0:1]
	v_cmp_le_u32_e64 s[0:1], s60, v22
	v_cndmask_b32_e64 v22, 0, -1, s[0:1]
	v_cmp_eq_u32_e64 s[0:1], s61, v20
	v_cndmask_b32_e64 v20, v23, v22, s[0:1]
	v_add_co_u32_e64 v22, s[0:1], 2, v18
	v_subb_co_u32_e32 v15, vcc, v21, v15, vcc
	v_addc_co_u32_e64 v23, s[0:1], 0, v19, s[0:1]
	v_cmp_le_u32_e32 vcc, s61, v15
	v_add_co_u32_e64 v24, s[0:1], 1, v18
	v_cndmask_b32_e64 v21, 0, -1, vcc
	v_cmp_le_u32_e32 vcc, s60, v14
	v_addc_co_u32_e64 v25, s[0:1], 0, v19, s[0:1]
	v_cndmask_b32_e64 v14, 0, -1, vcc
	v_cmp_eq_u32_e32 vcc, s61, v15
	v_cmp_ne_u32_e64 s[0:1], 0, v20
	v_cndmask_b32_e32 v14, v21, v14, vcc
	v_cndmask_b32_e64 v20, v25, v23, s[0:1]
	v_cmp_ne_u32_e32 vcc, 0, v14
	v_cndmask_b32_e64 v15, v24, v22, s[0:1]
	v_cndmask_b32_e32 v14, v19, v20, vcc
	v_cndmask_b32_e32 v15, v18, v15, vcc
	v_xor_b32_e32 v18, v14, v3
	v_xor_b32_e32 v14, v15, v3
	v_sub_co_u32_e32 v14, vcc, v14, v3
	v_subb_co_u32_e32 v15, vcc, v18, v3, vcc
.LBB39_27:                              ;   in Loop: Header=BB39_21 Depth=2
	s_andn2_saveexec_b64 s[0:1], s[56:57]
	s_cbranch_execz .LBB39_20
; %bb.28:                               ;   in Loop: Header=BB39_21 Depth=2
	v_cvt_f32_u32_e32 v3, s50
	s_sub_i32 s56, 0, s50
	v_rcp_iflag_f32_e32 v3, v3
	v_mul_f32_e32 v3, 0x4f7ffffe, v3
	v_cvt_u32_f32_e32 v3, v3
	v_mul_lo_u32 v14, s56, v3
	v_mul_hi_u32 v14, v3, v14
	v_add_u32_e32 v3, v3, v14
	v_mul_hi_u32 v3, v12, v3
	v_mul_lo_u32 v14, v3, s50
	v_add_u32_e32 v15, 1, v3
	v_sub_u32_e32 v14, v12, v14
	v_subrev_u32_e32 v18, s50, v14
	v_cmp_le_u32_e32 vcc, s50, v14
	v_cndmask_b32_e32 v14, v14, v18, vcc
	v_cndmask_b32_e32 v3, v3, v15, vcc
	v_add_u32_e32 v15, 1, v3
	v_cmp_le_u32_e32 vcc, s50, v14
	v_cndmask_b32_e32 v14, v3, v15, vcc
	v_mov_b32_e32 v15, v2
	s_branch .LBB39_20
.LBB39_29:                              ;   in Loop: Header=BB39_3 Depth=1
	v_sub_co_u32_e32 v10, vcc, v4, v16
	v_subb_co_u32_e32 v11, vcc, v5, v17, vcc
	v_cmp_ge_i64_e32 vcc, s[8:9], v[10:11]
	v_mov_b32_e32 v3, 0
	v_mov_b32_e32 v12, 0
	;; [unrolled: 1-line block ×4, first 2 shown]
	s_and_saveexec_b64 s[0:1], vcc
	s_cbranch_execz .LBB39_35
; %bb.30:                               ;   in Loop: Header=BB39_3 Depth=1
	v_cmp_gt_i64_e32 vcc, s[14:15], v[4:5]
	v_mov_b32_e32 v14, 0
	v_mov_b32_e32 v13, 0
	;; [unrolled: 1-line block ×4, first 2 shown]
	s_and_saveexec_b64 s[42:43], vcc
	s_cbranch_execz .LBB39_34
; %bb.31:                               ;   in Loop: Header=BB39_3 Depth=1
	v_lshlrev_b64 v[8:9], 2, v[8:9]
	v_mov_b32_e32 v3, s3
	v_add_co_u32_e32 v8, vcc, s2, v8
	v_addc_co_u32_e32 v9, vcc, v3, v9, vcc
	global_load_dword v13, v[8:9], off
	v_add_co_u32_e32 v14, vcc, 1, v4
	v_addc_co_u32_e32 v15, vcc, 0, v5, vcc
	v_cmp_gt_i64_e32 vcc, s[14:15], v[14:15]
	v_mov_b32_e32 v3, 0
	v_mov_b32_e32 v12, 0
	s_and_saveexec_b64 s[44:45], vcc
	s_cbranch_execz .LBB39_33
; %bb.32:                               ;   in Loop: Header=BB39_3 Depth=1
	s_lshl_b64 s[46:47], s[18:19], 2
	v_mov_b32_e32 v3, s47
	v_add_co_u32_e32 v8, vcc, s46, v8
	v_addc_co_u32_e32 v9, vcc, v9, v3, vcc
	global_load_dword v3, v[8:9], off
	s_waitcnt vmcnt(0)
	v_and_b32_e32 v12, 0xffff0000, v3
	v_and_b32_e32 v3, 0xffff, v3
.LBB39_33:                              ;   in Loop: Header=BB39_3 Depth=1
	s_or_b64 exec, exec, s[44:45]
	s_waitcnt vmcnt(0)
	v_lshrrev_b32_e32 v14, 16, v13
.LBB39_34:                              ;   in Loop: Header=BB39_3 Depth=1
	s_or_b64 exec, exec, s[42:43]
	v_add_co_u32_e32 v8, vcc, 1, v10
	v_addc_co_u32_e32 v9, vcc, 0, v11, vcc
	v_cmp_lt_i64_e32 vcc, s[8:9], v[8:9]
	v_lshlrev_b32_e32 v14, 16, v14
	v_cndmask_b32_e64 v3, v3, 0, vcc
	v_cndmask_b32_e64 v12, v12, 0, vcc
	v_and_b32_e32 v13, 0xffff, v13
.LBB39_35:                              ;   in Loop: Header=BB39_3 Depth=1
	s_or_b64 exec, exec, s[0:1]
	v_cmp_gt_i64_e32 vcc, s[14:15], v[4:5]
	s_and_saveexec_b64 s[0:1], vcc
	s_cbranch_execz .LBB39_2
; %bb.36:                               ;   in Loop: Header=BB39_3 Depth=1
	v_lshlrev_b64 v[6:7], 2, v[6:7]
	v_mov_b32_e32 v8, s29
	v_add_co_u32_e32 v6, vcc, s28, v6
	v_addc_co_u32_e32 v7, vcc, v8, v7, vcc
	v_add_co_u32_e32 v4, vcc, 1, v4
	v_addc_co_u32_e32 v5, vcc, 0, v5, vcc
	v_cmp_gt_i64_e32 vcc, s[14:15], v[4:5]
	v_or_b32_e32 v8, v14, v13
	global_store_dword v[6:7], v8, off
	s_and_saveexec_b64 s[42:43], vcc
	s_xor_b64 s[42:43], exec, s[42:43]
	s_cbranch_execz .LBB39_2
; %bb.37:                               ;   in Loop: Header=BB39_3 Depth=1
	s_lshl_b64 s[42:43], s[22:23], 2
	v_mov_b32_e32 v5, s43
	v_add_co_u32_e32 v4, vcc, s42, v6
	v_addc_co_u32_e32 v5, vcc, v7, v5, vcc
	v_or_b32_e32 v3, v12, v3
	global_store_dword v[4:5], v3, off
	s_branch .LBB39_2
.LBB39_38:
	s_endpgm
	.section	.rodata,"a",@progbits
	.p2align	6, 0x0
	.amdhsa_kernel _ZN2at6native16triu_tril_kernelIN3c107complexINS2_4HalfEEElLb0ELi2ELb0EEEvNS_4cuda6detail10TensorInfoIT_T0_EENS8_IKS9_SA_EEllSA_
		.amdhsa_group_segment_fixed_size 0
		.amdhsa_private_segment_fixed_size 0
		.amdhsa_kernarg_size 1112
		.amdhsa_user_sgpr_count 6
		.amdhsa_user_sgpr_private_segment_buffer 1
		.amdhsa_user_sgpr_dispatch_ptr 0
		.amdhsa_user_sgpr_queue_ptr 0
		.amdhsa_user_sgpr_kernarg_segment_ptr 1
		.amdhsa_user_sgpr_dispatch_id 0
		.amdhsa_user_sgpr_flat_scratch_init 0
		.amdhsa_user_sgpr_private_segment_size 0
		.amdhsa_uses_dynamic_stack 0
		.amdhsa_system_sgpr_private_segment_wavefront_offset 0
		.amdhsa_system_sgpr_workgroup_id_x 1
		.amdhsa_system_sgpr_workgroup_id_y 0
		.amdhsa_system_sgpr_workgroup_id_z 0
		.amdhsa_system_sgpr_workgroup_info 0
		.amdhsa_system_vgpr_workitem_id 0
		.amdhsa_next_free_vgpr 26
		.amdhsa_next_free_sgpr 73
		.amdhsa_reserve_vcc 1
		.amdhsa_reserve_flat_scratch 0
		.amdhsa_float_round_mode_32 0
		.amdhsa_float_round_mode_16_64 0
		.amdhsa_float_denorm_mode_32 3
		.amdhsa_float_denorm_mode_16_64 3
		.amdhsa_dx10_clamp 1
		.amdhsa_ieee_mode 1
		.amdhsa_fp16_overflow 0
		.amdhsa_exception_fp_ieee_invalid_op 0
		.amdhsa_exception_fp_denorm_src 0
		.amdhsa_exception_fp_ieee_div_zero 0
		.amdhsa_exception_fp_ieee_overflow 0
		.amdhsa_exception_fp_ieee_underflow 0
		.amdhsa_exception_fp_ieee_inexact 0
		.amdhsa_exception_int_div_zero 0
	.end_amdhsa_kernel
	.section	.text._ZN2at6native16triu_tril_kernelIN3c107complexINS2_4HalfEEElLb0ELi2ELb0EEEvNS_4cuda6detail10TensorInfoIT_T0_EENS8_IKS9_SA_EEllSA_,"axG",@progbits,_ZN2at6native16triu_tril_kernelIN3c107complexINS2_4HalfEEElLb0ELi2ELb0EEEvNS_4cuda6detail10TensorInfoIT_T0_EENS8_IKS9_SA_EEllSA_,comdat
.Lfunc_end39:
	.size	_ZN2at6native16triu_tril_kernelIN3c107complexINS2_4HalfEEElLb0ELi2ELb0EEEvNS_4cuda6detail10TensorInfoIT_T0_EENS8_IKS9_SA_EEllSA_, .Lfunc_end39-_ZN2at6native16triu_tril_kernelIN3c107complexINS2_4HalfEEElLb0ELi2ELb0EEEvNS_4cuda6detail10TensorInfoIT_T0_EENS8_IKS9_SA_EEllSA_
                                        ; -- End function
	.set _ZN2at6native16triu_tril_kernelIN3c107complexINS2_4HalfEEElLb0ELi2ELb0EEEvNS_4cuda6detail10TensorInfoIT_T0_EENS8_IKS9_SA_EEllSA_.num_vgpr, 26
	.set _ZN2at6native16triu_tril_kernelIN3c107complexINS2_4HalfEEElLb0ELi2ELb0EEEvNS_4cuda6detail10TensorInfoIT_T0_EENS8_IKS9_SA_EEllSA_.num_agpr, 0
	.set _ZN2at6native16triu_tril_kernelIN3c107complexINS2_4HalfEEElLb0ELi2ELb0EEEvNS_4cuda6detail10TensorInfoIT_T0_EENS8_IKS9_SA_EEllSA_.numbered_sgpr, 73
	.set _ZN2at6native16triu_tril_kernelIN3c107complexINS2_4HalfEEElLb0ELi2ELb0EEEvNS_4cuda6detail10TensorInfoIT_T0_EENS8_IKS9_SA_EEllSA_.num_named_barrier, 0
	.set _ZN2at6native16triu_tril_kernelIN3c107complexINS2_4HalfEEElLb0ELi2ELb0EEEvNS_4cuda6detail10TensorInfoIT_T0_EENS8_IKS9_SA_EEllSA_.private_seg_size, 0
	.set _ZN2at6native16triu_tril_kernelIN3c107complexINS2_4HalfEEElLb0ELi2ELb0EEEvNS_4cuda6detail10TensorInfoIT_T0_EENS8_IKS9_SA_EEllSA_.uses_vcc, 1
	.set _ZN2at6native16triu_tril_kernelIN3c107complexINS2_4HalfEEElLb0ELi2ELb0EEEvNS_4cuda6detail10TensorInfoIT_T0_EENS8_IKS9_SA_EEllSA_.uses_flat_scratch, 0
	.set _ZN2at6native16triu_tril_kernelIN3c107complexINS2_4HalfEEElLb0ELi2ELb0EEEvNS_4cuda6detail10TensorInfoIT_T0_EENS8_IKS9_SA_EEllSA_.has_dyn_sized_stack, 0
	.set _ZN2at6native16triu_tril_kernelIN3c107complexINS2_4HalfEEElLb0ELi2ELb0EEEvNS_4cuda6detail10TensorInfoIT_T0_EENS8_IKS9_SA_EEllSA_.has_recursion, 0
	.set _ZN2at6native16triu_tril_kernelIN3c107complexINS2_4HalfEEElLb0ELi2ELb0EEEvNS_4cuda6detail10TensorInfoIT_T0_EENS8_IKS9_SA_EEllSA_.has_indirect_call, 0
	.section	.AMDGPU.csdata,"",@progbits
; Kernel info:
; codeLenInByte = 5060
; TotalNumSgprs: 77
; NumVgprs: 26
; ScratchSize: 0
; MemoryBound: 0
; FloatMode: 240
; IeeeMode: 1
; LDSByteSize: 0 bytes/workgroup (compile time only)
; SGPRBlocks: 9
; VGPRBlocks: 6
; NumSGPRsForWavesPerEU: 77
; NumVGPRsForWavesPerEU: 26
; Occupancy: 9
; WaveLimiterHint : 0
; COMPUTE_PGM_RSRC2:SCRATCH_EN: 0
; COMPUTE_PGM_RSRC2:USER_SGPR: 6
; COMPUTE_PGM_RSRC2:TRAP_HANDLER: 0
; COMPUTE_PGM_RSRC2:TGID_X_EN: 1
; COMPUTE_PGM_RSRC2:TGID_Y_EN: 0
; COMPUTE_PGM_RSRC2:TGID_Z_EN: 0
; COMPUTE_PGM_RSRC2:TIDIG_COMP_CNT: 0
	.section	.text._ZN2at6native16triu_tril_kernelIN3c104HalfEiLb0ELi4ELb1EEEvNS_4cuda6detail10TensorInfoIT_T0_EENS6_IKS7_S8_EEllS8_,"axG",@progbits,_ZN2at6native16triu_tril_kernelIN3c104HalfEiLb0ELi4ELb1EEEvNS_4cuda6detail10TensorInfoIT_T0_EENS6_IKS7_S8_EEllS8_,comdat
	.protected	_ZN2at6native16triu_tril_kernelIN3c104HalfEiLb0ELi4ELb1EEEvNS_4cuda6detail10TensorInfoIT_T0_EENS6_IKS7_S8_EEllS8_ ; -- Begin function _ZN2at6native16triu_tril_kernelIN3c104HalfEiLb0ELi4ELb1EEEvNS_4cuda6detail10TensorInfoIT_T0_EENS6_IKS7_S8_EEllS8_
	.globl	_ZN2at6native16triu_tril_kernelIN3c104HalfEiLb0ELi4ELb1EEEvNS_4cuda6detail10TensorInfoIT_T0_EENS6_IKS7_S8_EEllS8_
	.p2align	8
	.type	_ZN2at6native16triu_tril_kernelIN3c104HalfEiLb0ELi4ELb1EEEvNS_4cuda6detail10TensorInfoIT_T0_EENS6_IKS7_S8_EEllS8_,@function
_ZN2at6native16triu_tril_kernelIN3c104HalfEiLb0ELi4ELb1EEEvNS_4cuda6detail10TensorInfoIT_T0_EENS6_IKS7_S8_EEllS8_: ; @_ZN2at6native16triu_tril_kernelIN3c104HalfEiLb0ELi4ELb1EEEvNS_4cuda6detail10TensorInfoIT_T0_EENS6_IKS7_S8_EEllS8_
; %bb.0:
	s_load_dword s2, s[4:5], 0x1d4
	s_load_dwordx4 s[8:11], s[4:5], 0x1b0
	s_add_u32 s0, s4, 0x1c8
	v_mov_b32_e32 v2, 0
	s_addc_u32 s1, s5, 0
	s_waitcnt lgkmcnt(0)
	s_and_b32 s7, s2, 0xffff
	v_mov_b32_e32 v1, v2
	v_mov_b32_e32 v3, s6
	v_mad_u64_u32 v[0:1], s[2:3], s7, v3, v[0:1]
	v_lshlrev_b64 v[0:1], 2, v[0:1]
	v_cmp_gt_i64_e32 vcc, s[10:11], v[0:1]
	s_and_saveexec_b64 s[2:3], vcc
	s_cbranch_execz .LBB40_69
; %bb.1:
	s_load_dword s33, s[4:5], 0x1c0
	s_load_dword s16, s[4:5], 0x1a8
	s_add_u32 s42, s4, 0xd8
	s_addc_u32 s43, s5, 0
	s_load_dword s6, s[0:1], 0x0
	s_waitcnt lgkmcnt(0)
	s_ashr_i32 s44, s33, 31
	s_ashr_i32 s17, s16, 31
	s_lshl_b64 s[0:1], s[16:17], 2
	s_add_u32 s2, s42, s0
	s_addc_u32 s3, s43, s1
	s_load_dword s45, s[2:3], 0x0
	s_load_dwordx2 s[12:13], s[4:5], 0x0
	s_mul_i32 s18, s6, s7
	v_cmp_gt_i64_e64 s[6:7], s[16:17], 2
	s_mov_b32 s17, 0
	s_waitcnt lgkmcnt(0)
	s_ashr_i32 s46, s45, 31
	s_add_u32 s14, s4, s0
	s_addc_u32 s15, s5, s1
	s_add_i32 s0, s16, 6
	s_add_i32 s47, s16, -3
	s_lshl_b32 s48, s18, 2
	s_and_b32 s49, s0, 7
	s_and_b32 s0, s16, 7
	s_cmp_lg_u32 s0, 2
	s_cselect_b64 s[18:19], -1, 0
	s_cmp_gt_u32 s47, 6
	s_cselect_b64 s[20:21], -1, 0
	s_mov_b64 s[22:23], 0
	s_ashr_i32 s24, s44, 31
	s_branch .LBB40_3
.LBB40_2:                               ;   in Loop: Header=BB40_3 Depth=1
	s_or_b64 exec, exec, s[26:27]
	v_add_co_u32_e32 v0, vcc, s48, v0
	v_addc_co_u32_e32 v1, vcc, 0, v1, vcc
	v_cmp_le_i64_e32 vcc, s[10:11], v[0:1]
	s_or_b64 s[22:23], vcc, s[22:23]
	s_andn2_b64 exec, exec, s[22:23]
	s_cbranch_execz .LBB40_69
.LBB40_3:                               ; =>This Loop Header: Depth=1
                                        ;     Child Loop BB40_14 Depth 2
                                        ;     Child Loop BB40_23 Depth 2
	v_or_b32_e32 v3, s44, v1
	v_cmp_ne_u64_e32 vcc, 0, v[2:3]
                                        ; implicit-def: $vgpr4_vgpr5
	s_and_saveexec_b64 s[0:1], vcc
	s_xor_b64 s[26:27], exec, s[0:1]
	s_cbranch_execz .LBB40_5
; %bb.4:                                ;   in Loop: Header=BB40_3 Depth=1
	s_add_u32 s0, s33, s24
	s_mov_b32 s25, s24
	s_addc_u32 s1, s44, s24
	s_xor_b64 s[28:29], s[0:1], s[24:25]
	v_cvt_f32_u32_e32 v3, s28
	v_cvt_f32_u32_e32 v4, s29
	s_sub_u32 s16, 0, s28
	s_subb_u32 s25, 0, s29
	v_ashrrev_i32_e32 v7, 31, v1
	v_mac_f32_e32 v3, 0x4f800000, v4
	v_rcp_f32_e32 v3, v3
	v_mul_f32_e32 v3, 0x5f7ffffc, v3
	v_mul_f32_e32 v4, 0x2f800000, v3
	v_trunc_f32_e32 v4, v4
	v_mac_f32_e32 v3, 0xcf800000, v4
	v_cvt_u32_f32_e32 v4, v4
	v_cvt_u32_f32_e32 v3, v3
	v_readfirstlane_b32 s30, v4
	v_readfirstlane_b32 s0, v3
	s_mul_i32 s1, s16, s30
	s_mul_hi_u32 s34, s16, s0
	s_mul_i32 s31, s25, s0
	s_add_i32 s1, s34, s1
	s_add_i32 s1, s1, s31
	s_mul_i32 s35, s16, s0
	s_mul_i32 s34, s0, s1
	s_mul_hi_u32 s36, s0, s35
	s_mul_hi_u32 s31, s0, s1
	s_add_u32 s34, s36, s34
	s_addc_u32 s31, 0, s31
	s_mul_hi_u32 s37, s30, s35
	s_mul_i32 s35, s30, s35
	s_add_u32 s34, s34, s35
	s_mul_hi_u32 s36, s30, s1
	s_addc_u32 s31, s31, s37
	s_addc_u32 s34, s36, 0
	s_mul_i32 s1, s30, s1
	s_add_u32 s1, s31, s1
	s_addc_u32 s31, 0, s34
	s_add_u32 s34, s0, s1
	s_cselect_b64 s[0:1], -1, 0
	s_cmp_lg_u64 s[0:1], 0
	s_addc_u32 s30, s30, s31
	s_mul_i32 s0, s16, s30
	s_mul_hi_u32 s1, s16, s34
	s_add_i32 s0, s1, s0
	s_mul_i32 s25, s25, s34
	s_add_i32 s0, s0, s25
	s_mul_i32 s16, s16, s34
	s_mul_hi_u32 s25, s30, s16
	s_mul_i32 s31, s30, s16
	s_mul_i32 s36, s34, s0
	s_mul_hi_u32 s16, s34, s16
	s_mul_hi_u32 s35, s34, s0
	s_add_u32 s16, s16, s36
	s_addc_u32 s35, 0, s35
	s_add_u32 s16, s16, s31
	s_mul_hi_u32 s1, s30, s0
	s_addc_u32 s16, s35, s25
	s_addc_u32 s1, s1, 0
	s_mul_i32 s0, s30, s0
	s_add_u32 s0, s16, s0
	s_addc_u32 s16, 0, s1
	s_add_u32 s25, s34, s0
	s_cselect_b64 s[0:1], -1, 0
	s_cmp_lg_u64 s[0:1], 0
	v_add_co_u32_e32 v3, vcc, v0, v7
	s_addc_u32 s16, s30, s16
	v_xor_b32_e32 v8, v3, v7
	v_mad_u64_u32 v[3:4], s[0:1], v8, s16, 0
	v_mul_hi_u32 v6, v8, s25
	v_addc_co_u32_e32 v5, vcc, v1, v7, vcc
	v_xor_b32_e32 v9, v5, v7
	v_add_co_u32_e32 v10, vcc, v6, v3
	v_addc_co_u32_e32 v11, vcc, 0, v4, vcc
	v_mad_u64_u32 v[3:4], s[0:1], v9, s25, 0
	v_mad_u64_u32 v[5:6], s[0:1], v9, s16, 0
	v_add_co_u32_e32 v3, vcc, v10, v3
	v_addc_co_u32_e32 v3, vcc, v11, v4, vcc
	v_addc_co_u32_e32 v4, vcc, 0, v6, vcc
	v_add_co_u32_e32 v5, vcc, v3, v5
	v_addc_co_u32_e32 v6, vcc, 0, v4, vcc
	v_mul_lo_u32 v10, s29, v5
	v_mul_lo_u32 v11, s28, v6
	v_mad_u64_u32 v[3:4], s[0:1], s28, v5, 0
	v_add3_u32 v4, v4, v11, v10
	v_sub_u32_e32 v10, v9, v4
	v_mov_b32_e32 v11, s29
	v_sub_co_u32_e32 v3, vcc, v8, v3
	v_subb_co_u32_e64 v8, s[0:1], v10, v11, vcc
	v_subrev_co_u32_e64 v10, s[0:1], s28, v3
	v_subbrev_co_u32_e64 v8, s[0:1], 0, v8, s[0:1]
	v_cmp_le_u32_e64 s[0:1], s29, v8
	v_cndmask_b32_e64 v11, 0, -1, s[0:1]
	v_cmp_le_u32_e64 s[0:1], s28, v10
	v_cndmask_b32_e64 v10, 0, -1, s[0:1]
	v_cmp_eq_u32_e64 s[0:1], s29, v8
	v_cndmask_b32_e64 v8, v11, v10, s[0:1]
	v_add_co_u32_e64 v10, s[0:1], 2, v5
	v_subb_co_u32_e32 v4, vcc, v9, v4, vcc
	v_addc_co_u32_e64 v11, s[0:1], 0, v6, s[0:1]
	v_cmp_le_u32_e32 vcc, s29, v4
	v_add_co_u32_e64 v12, s[0:1], 1, v5
	v_cndmask_b32_e64 v9, 0, -1, vcc
	v_cmp_le_u32_e32 vcc, s28, v3
	v_addc_co_u32_e64 v13, s[0:1], 0, v6, s[0:1]
	v_cndmask_b32_e64 v3, 0, -1, vcc
	v_cmp_eq_u32_e32 vcc, s29, v4
	v_cmp_ne_u32_e64 s[0:1], 0, v8
	v_cndmask_b32_e32 v3, v9, v3, vcc
	v_cmp_ne_u32_e32 vcc, 0, v3
	v_cndmask_b32_e64 v4, v12, v10, s[0:1]
	v_cndmask_b32_e64 v8, v13, v11, s[0:1]
	v_cndmask_b32_e32 v4, v5, v4, vcc
	v_xor_b32_e32 v5, s24, v7
	v_cndmask_b32_e32 v3, v6, v8, vcc
	v_xor_b32_e32 v4, v4, v5
	v_xor_b32_e32 v3, v3, v5
	v_sub_co_u32_e32 v4, vcc, v4, v5
	v_subb_co_u32_e32 v5, vcc, v3, v5, vcc
.LBB40_5:                               ;   in Loop: Header=BB40_3 Depth=1
	s_andn2_saveexec_b64 s[0:1], s[26:27]
	s_cbranch_execz .LBB40_7
; %bb.6:                                ;   in Loop: Header=BB40_3 Depth=1
	v_cvt_f32_u32_e32 v3, s33
	s_sub_i32 s16, 0, s33
	v_rcp_iflag_f32_e32 v3, v3
	v_mul_f32_e32 v3, 0x4f7ffffe, v3
	v_cvt_u32_f32_e32 v3, v3
	v_mul_lo_u32 v4, s16, v3
	v_mul_hi_u32 v4, v3, v4
	v_add_u32_e32 v3, v3, v4
	v_mul_hi_u32 v3, v0, v3
	v_mul_lo_u32 v4, v3, s33
	v_add_u32_e32 v5, 1, v3
	v_sub_u32_e32 v4, v0, v4
	v_subrev_u32_e32 v6, s33, v4
	v_cmp_le_u32_e32 vcc, s33, v4
	v_cndmask_b32_e32 v4, v4, v6, vcc
	v_cndmask_b32_e32 v3, v3, v5, vcc
	v_add_u32_e32 v5, 1, v3
	v_cmp_le_u32_e32 vcc, s33, v4
	v_cndmask_b32_e32 v4, v3, v5, vcc
	v_mov_b32_e32 v5, v2
.LBB40_7:                               ;   in Loop: Header=BB40_3 Depth=1
	s_or_b64 exec, exec, s[0:1]
	v_or_b32_e32 v3, s46, v5
	v_cmp_ne_u64_e32 vcc, 0, v[2:3]
                                        ; implicit-def: $vgpr7_vgpr8
	s_and_saveexec_b64 s[0:1], vcc
	s_xor_b64 s[26:27], exec, s[0:1]
	s_cbranch_execz .LBB40_9
; %bb.8:                                ;   in Loop: Header=BB40_3 Depth=1
	s_ashr_i32 s28, s46, 31
	s_add_u32 s0, s45, s28
	s_mov_b32 s29, s28
	s_addc_u32 s1, s46, s28
	s_xor_b64 s[30:31], s[0:1], s[28:29]
	v_cvt_f32_u32_e32 v3, s30
	v_cvt_f32_u32_e32 v6, s31
	s_sub_u32 s16, 0, s30
	s_subb_u32 s25, 0, s31
	v_mac_f32_e32 v3, 0x4f800000, v6
	v_rcp_f32_e32 v3, v3
	v_mul_f32_e32 v3, 0x5f7ffffc, v3
	v_mul_f32_e32 v6, 0x2f800000, v3
	v_trunc_f32_e32 v6, v6
	v_mac_f32_e32 v3, 0xcf800000, v6
	v_cvt_u32_f32_e32 v6, v6
	v_cvt_u32_f32_e32 v3, v3
	v_readfirstlane_b32 s29, v6
	v_readfirstlane_b32 s0, v3
	s_mul_i32 s1, s16, s29
	s_mul_hi_u32 s35, s16, s0
	s_mul_i32 s34, s25, s0
	s_add_i32 s1, s35, s1
	s_add_i32 s1, s1, s34
	s_mul_i32 s36, s16, s0
	s_mul_i32 s35, s0, s1
	s_mul_hi_u32 s37, s0, s36
	s_mul_hi_u32 s34, s0, s1
	s_add_u32 s35, s37, s35
	s_addc_u32 s34, 0, s34
	s_mul_hi_u32 s38, s29, s36
	s_mul_i32 s36, s29, s36
	s_add_u32 s35, s35, s36
	s_mul_hi_u32 s37, s29, s1
	s_addc_u32 s34, s34, s38
	s_addc_u32 s35, s37, 0
	s_mul_i32 s1, s29, s1
	s_add_u32 s1, s34, s1
	s_addc_u32 s34, 0, s35
	s_add_u32 s35, s0, s1
	s_cselect_b64 s[0:1], -1, 0
	s_cmp_lg_u64 s[0:1], 0
	s_addc_u32 s29, s29, s34
	s_mul_i32 s0, s16, s29
	s_mul_hi_u32 s1, s16, s35
	s_add_i32 s0, s1, s0
	s_mul_i32 s25, s25, s35
	s_add_i32 s0, s0, s25
	s_mul_i32 s16, s16, s35
	s_mul_hi_u32 s25, s29, s16
	s_mul_i32 s34, s29, s16
	s_mul_i32 s37, s35, s0
	s_mul_hi_u32 s16, s35, s16
	s_mul_hi_u32 s36, s35, s0
	s_add_u32 s16, s16, s37
	s_addc_u32 s36, 0, s36
	s_add_u32 s16, s16, s34
	s_mul_hi_u32 s1, s29, s0
	s_addc_u32 s16, s36, s25
	s_addc_u32 s1, s1, 0
	s_mul_i32 s0, s29, s0
	s_add_u32 s0, s16, s0
	s_addc_u32 s16, 0, s1
	s_add_u32 s25, s35, s0
	s_cselect_b64 s[0:1], -1, 0
	v_ashrrev_i32_e32 v3, 31, v5
	s_cmp_lg_u64 s[0:1], 0
	v_add_co_u32_e32 v6, vcc, v4, v3
	s_addc_u32 s16, s29, s16
	v_xor_b32_e32 v9, v6, v3
	v_addc_co_u32_e32 v7, vcc, v5, v3, vcc
	v_mad_u64_u32 v[5:6], s[0:1], v9, s16, 0
	v_mul_hi_u32 v8, v9, s25
	v_xor_b32_e32 v10, v7, v3
	v_xor_b32_e32 v3, s28, v3
	v_add_co_u32_e32 v11, vcc, v8, v5
	v_addc_co_u32_e32 v12, vcc, 0, v6, vcc
	v_mad_u64_u32 v[5:6], s[0:1], v10, s25, 0
	v_mad_u64_u32 v[7:8], s[0:1], v10, s16, 0
	v_add_co_u32_e32 v5, vcc, v11, v5
	v_addc_co_u32_e32 v5, vcc, v12, v6, vcc
	v_addc_co_u32_e32 v6, vcc, 0, v8, vcc
	v_add_co_u32_e32 v7, vcc, v5, v7
	v_addc_co_u32_e32 v8, vcc, 0, v6, vcc
	v_mul_lo_u32 v11, s31, v7
	v_mul_lo_u32 v12, s30, v8
	v_mad_u64_u32 v[5:6], s[0:1], s30, v7, 0
	v_add3_u32 v6, v6, v12, v11
	v_sub_u32_e32 v11, v10, v6
	v_mov_b32_e32 v12, s31
	v_sub_co_u32_e32 v5, vcc, v9, v5
	v_subb_co_u32_e64 v9, s[0:1], v11, v12, vcc
	v_subrev_co_u32_e64 v11, s[0:1], s30, v5
	v_subbrev_co_u32_e64 v9, s[0:1], 0, v9, s[0:1]
	v_cmp_le_u32_e64 s[0:1], s31, v9
	v_cndmask_b32_e64 v12, 0, -1, s[0:1]
	v_cmp_le_u32_e64 s[0:1], s30, v11
	v_cndmask_b32_e64 v11, 0, -1, s[0:1]
	v_cmp_eq_u32_e64 s[0:1], s31, v9
	v_cndmask_b32_e64 v9, v12, v11, s[0:1]
	v_add_co_u32_e64 v11, s[0:1], 2, v7
	v_subb_co_u32_e32 v6, vcc, v10, v6, vcc
	v_addc_co_u32_e64 v12, s[0:1], 0, v8, s[0:1]
	v_cmp_le_u32_e32 vcc, s31, v6
	v_add_co_u32_e64 v13, s[0:1], 1, v7
	v_cndmask_b32_e64 v10, 0, -1, vcc
	v_cmp_le_u32_e32 vcc, s30, v5
	v_addc_co_u32_e64 v14, s[0:1], 0, v8, s[0:1]
	v_cndmask_b32_e64 v5, 0, -1, vcc
	v_cmp_eq_u32_e32 vcc, s31, v6
	v_cmp_ne_u32_e64 s[0:1], 0, v9
	v_cndmask_b32_e32 v5, v10, v5, vcc
	v_cmp_ne_u32_e32 vcc, 0, v5
	v_cndmask_b32_e64 v6, v13, v11, s[0:1]
	v_cndmask_b32_e64 v9, v14, v12, s[0:1]
	v_cndmask_b32_e32 v6, v7, v6, vcc
	v_cndmask_b32_e32 v5, v8, v9, vcc
	v_xor_b32_e32 v6, v6, v3
	v_xor_b32_e32 v5, v5, v3
	v_sub_co_u32_e32 v7, vcc, v6, v3
	v_subb_co_u32_e32 v8, vcc, v5, v3, vcc
.LBB40_9:                               ;   in Loop: Header=BB40_3 Depth=1
	s_andn2_saveexec_b64 s[0:1], s[26:27]
	s_cbranch_execz .LBB40_11
; %bb.10:                               ;   in Loop: Header=BB40_3 Depth=1
	v_cvt_f32_u32_e32 v3, s45
	s_sub_i32 s16, 0, s45
	v_mov_b32_e32 v8, v2
	v_rcp_iflag_f32_e32 v3, v3
	v_mul_f32_e32 v3, 0x4f7ffffe, v3
	v_cvt_u32_f32_e32 v3, v3
	v_mul_lo_u32 v5, s16, v3
	v_mul_hi_u32 v5, v3, v5
	v_add_u32_e32 v3, v3, v5
	v_mul_hi_u32 v3, v4, v3
	v_mul_lo_u32 v5, v3, s45
	v_add_u32_e32 v6, 1, v3
	v_sub_u32_e32 v5, v4, v5
	v_subrev_u32_e32 v7, s45, v5
	v_cmp_le_u32_e32 vcc, s45, v5
	v_cndmask_b32_e32 v5, v5, v7, vcc
	v_cndmask_b32_e32 v3, v3, v6, vcc
	v_add_u32_e32 v6, 1, v3
	v_cmp_le_u32_e32 vcc, s45, v5
	v_cndmask_b32_e32 v7, v3, v6, vcc
.LBB40_11:                              ;   in Loop: Header=BB40_3 Depth=1
	s_or_b64 exec, exec, s[0:1]
	v_mad_u64_u32 v[5:6], s[0:1], v4, s33, 0
	v_mad_u64_u32 v[9:10], s[0:1], v7, s45, 0
	v_sub_co_u32_e32 v26, vcc, v0, v5
	v_sub_co_u32_e32 v25, vcc, v4, v9
	v_sub_u32_e32 v6, v26, v25
	v_add_u32_e32 v3, 4, v6
	v_ashrrev_i32_e32 v4, 31, v3
	v_cmp_lt_i64_e32 vcc, s[8:9], v[3:4]
	s_and_saveexec_b64 s[26:27], vcc
	s_cbranch_execz .LBB40_2
; %bb.12:                               ;   in Loop: Header=BB40_3 Depth=1
	s_load_dwordx2 s[28:29], s[14:15], 0x64
	s_andn2_b64 vcc, exec, s[6:7]
	s_waitcnt lgkmcnt(0)
	v_mul_lo_u32 v3, s29, v26
	v_mad_u64_u32 v[4:5], s[0:1], s28, v25, v[3:4]
	s_cbranch_vccnz .LBB40_57
; %bb.13:                               ;   in Loop: Header=BB40_3 Depth=1
	s_andn2_b64 vcc, exec, s[18:19]
	s_mov_b32 s25, s49
	s_mov_b32 s16, s47
	s_mov_b32 s0, s47
	s_cbranch_vccnz .LBB40_21
.LBB40_14:                              ;   Parent Loop BB40_3 Depth=1
                                        ; =>  This Inner Loop Header: Depth=2
	s_lshl_b64 s[30:31], s[16:17], 2
	s_add_u32 s0, s42, s30
	s_addc_u32 s1, s43, s31
	s_load_dword s28, s[0:1], 0x8
                                        ; implicit-def: $vgpr9_vgpr10
	s_waitcnt lgkmcnt(0)
	s_ashr_i32 s0, s28, 31
	v_or_b32_e32 v3, s0, v8
	v_cmp_ne_u64_e32 vcc, 0, v[2:3]
	s_and_saveexec_b64 s[34:35], vcc
	s_xor_b64 s[34:35], exec, s[34:35]
	s_cbranch_execz .LBB40_16
; %bb.15:                               ;   in Loop: Header=BB40_14 Depth=2
	s_ashr_i32 s36, s0, 31
	s_add_u32 s38, s28, s36
	s_mov_b32 s37, s36
	s_addc_u32 s39, s0, s36
	s_xor_b64 s[38:39], s[38:39], s[36:37]
	v_cvt_f32_u32_e32 v3, s38
	v_cvt_f32_u32_e32 v5, s39
	s_sub_u32 s37, 0, s38
	s_subb_u32 s40, 0, s39
	v_mac_f32_e32 v3, 0x4f800000, v5
	v_rcp_f32_e32 v3, v3
	v_mul_f32_e32 v3, 0x5f7ffffc, v3
	v_mul_f32_e32 v5, 0x2f800000, v3
	v_trunc_f32_e32 v5, v5
	v_mac_f32_e32 v3, 0xcf800000, v5
	v_cvt_u32_f32_e32 v5, v5
	v_cvt_u32_f32_e32 v3, v3
	v_readfirstlane_b32 s41, v5
	v_readfirstlane_b32 s0, v3
	s_mul_i32 s1, s37, s41
	s_mul_hi_u32 s51, s37, s0
	s_mul_i32 s50, s40, s0
	s_add_i32 s1, s51, s1
	s_add_i32 s1, s1, s50
	s_mul_i32 s52, s37, s0
	s_mul_i32 s51, s0, s1
	s_mul_hi_u32 s53, s0, s52
	s_mul_hi_u32 s50, s0, s1
	s_add_u32 s51, s53, s51
	s_addc_u32 s50, 0, s50
	s_mul_hi_u32 s54, s41, s52
	s_mul_i32 s52, s41, s52
	s_add_u32 s51, s51, s52
	s_mul_hi_u32 s53, s41, s1
	s_addc_u32 s50, s50, s54
	s_addc_u32 s51, s53, 0
	s_mul_i32 s1, s41, s1
	s_add_u32 s1, s50, s1
	s_addc_u32 s50, 0, s51
	s_add_u32 s51, s0, s1
	s_cselect_b64 s[0:1], -1, 0
	s_cmp_lg_u64 s[0:1], 0
	s_addc_u32 s41, s41, s50
	s_mul_i32 s0, s37, s41
	s_mul_hi_u32 s1, s37, s51
	s_add_i32 s0, s1, s0
	s_mul_i32 s40, s40, s51
	s_add_i32 s0, s0, s40
	s_mul_i32 s37, s37, s51
	s_mul_hi_u32 s40, s41, s37
	s_mul_i32 s50, s41, s37
	s_mul_i32 s53, s51, s0
	s_mul_hi_u32 s37, s51, s37
	s_mul_hi_u32 s52, s51, s0
	s_add_u32 s37, s37, s53
	s_addc_u32 s52, 0, s52
	s_add_u32 s37, s37, s50
	s_mul_hi_u32 s1, s41, s0
	s_addc_u32 s37, s52, s40
	s_addc_u32 s1, s1, 0
	s_mul_i32 s0, s41, s0
	s_add_u32 s0, s37, s0
	s_addc_u32 s37, 0, s1
	s_add_u32 s40, s51, s0
	s_cselect_b64 s[0:1], -1, 0
	v_ashrrev_i32_e32 v3, 31, v8
	s_cmp_lg_u64 s[0:1], 0
	v_add_co_u32_e32 v5, vcc, v7, v3
	s_addc_u32 s37, s41, s37
	v_xor_b32_e32 v5, v5, v3
	v_addc_co_u32_e32 v10, vcc, v8, v3, vcc
	v_mad_u64_u32 v[8:9], s[0:1], v5, s37, 0
	v_mul_hi_u32 v11, v5, s40
	v_xor_b32_e32 v12, v10, v3
	v_xor_b32_e32 v3, s36, v3
	v_add_co_u32_e32 v13, vcc, v11, v8
	v_addc_co_u32_e32 v14, vcc, 0, v9, vcc
	v_mad_u64_u32 v[8:9], s[0:1], v12, s40, 0
	v_mad_u64_u32 v[10:11], s[0:1], v12, s37, 0
	v_add_co_u32_e32 v8, vcc, v13, v8
	v_addc_co_u32_e32 v8, vcc, v14, v9, vcc
	v_addc_co_u32_e32 v9, vcc, 0, v11, vcc
	v_add_co_u32_e32 v10, vcc, v8, v10
	v_addc_co_u32_e32 v11, vcc, 0, v9, vcc
	v_mul_lo_u32 v13, s39, v10
	v_mul_lo_u32 v14, s38, v11
	v_mad_u64_u32 v[8:9], s[0:1], s38, v10, 0
	v_add3_u32 v9, v9, v14, v13
	v_sub_u32_e32 v13, v12, v9
	v_mov_b32_e32 v14, s39
	v_sub_co_u32_e32 v5, vcc, v5, v8
	v_subb_co_u32_e64 v8, s[0:1], v13, v14, vcc
	v_subrev_co_u32_e64 v13, s[0:1], s38, v5
	v_subbrev_co_u32_e64 v8, s[0:1], 0, v8, s[0:1]
	v_cmp_le_u32_e64 s[0:1], s39, v8
	v_cndmask_b32_e64 v14, 0, -1, s[0:1]
	v_cmp_le_u32_e64 s[0:1], s38, v13
	v_cndmask_b32_e64 v13, 0, -1, s[0:1]
	v_cmp_eq_u32_e64 s[0:1], s39, v8
	v_cndmask_b32_e64 v8, v14, v13, s[0:1]
	v_add_co_u32_e64 v13, s[0:1], 2, v10
	v_subb_co_u32_e32 v9, vcc, v12, v9, vcc
	v_addc_co_u32_e64 v14, s[0:1], 0, v11, s[0:1]
	v_cmp_le_u32_e32 vcc, s39, v9
	v_add_co_u32_e64 v15, s[0:1], 1, v10
	v_cndmask_b32_e64 v12, 0, -1, vcc
	v_cmp_le_u32_e32 vcc, s38, v5
	v_addc_co_u32_e64 v16, s[0:1], 0, v11, s[0:1]
	v_cndmask_b32_e64 v5, 0, -1, vcc
	v_cmp_eq_u32_e32 vcc, s39, v9
	v_cmp_ne_u32_e64 s[0:1], 0, v8
	v_cndmask_b32_e32 v5, v12, v5, vcc
	v_cndmask_b32_e64 v8, v16, v14, s[0:1]
	v_cmp_ne_u32_e32 vcc, 0, v5
	v_cndmask_b32_e32 v5, v11, v8, vcc
	v_cndmask_b32_e64 v8, v15, v13, s[0:1]
	v_cndmask_b32_e32 v8, v10, v8, vcc
	v_xor_b32_e32 v8, v8, v3
	v_xor_b32_e32 v5, v5, v3
	v_sub_co_u32_e32 v9, vcc, v8, v3
	v_subb_co_u32_e32 v10, vcc, v5, v3, vcc
.LBB40_16:                              ;   in Loop: Header=BB40_14 Depth=2
	s_andn2_saveexec_b64 s[0:1], s[34:35]
	s_cbranch_execz .LBB40_18
; %bb.17:                               ;   in Loop: Header=BB40_14 Depth=2
	v_cvt_f32_u32_e32 v3, s28
	s_sub_i32 s34, 0, s28
	v_mov_b32_e32 v10, v2
	v_rcp_iflag_f32_e32 v3, v3
	v_mul_f32_e32 v3, 0x4f7ffffe, v3
	v_cvt_u32_f32_e32 v3, v3
	v_mul_lo_u32 v5, s34, v3
	v_mul_hi_u32 v5, v3, v5
	v_add_u32_e32 v3, v3, v5
	v_mul_hi_u32 v3, v7, v3
	v_mul_lo_u32 v5, v3, s28
	v_add_u32_e32 v8, 1, v3
	v_sub_u32_e32 v5, v7, v5
	v_subrev_u32_e32 v9, s28, v5
	v_cmp_le_u32_e32 vcc, s28, v5
	v_cndmask_b32_e32 v5, v5, v9, vcc
	v_cndmask_b32_e32 v3, v3, v8, vcc
	v_add_u32_e32 v8, 1, v3
	v_cmp_le_u32_e32 vcc, s28, v5
	v_cndmask_b32_e32 v9, v3, v8, vcc
.LBB40_18:                              ;   in Loop: Header=BB40_14 Depth=2
	s_or_b64 exec, exec, s[0:1]
	s_add_u32 s0, s4, s30
	s_addc_u32 s1, s5, s31
	v_mul_lo_u32 v3, v9, s28
	s_load_dword s0, s[0:1], 0x6c
	s_add_i32 s16, s16, -1
	s_add_i32 s25, s25, -1
	v_sub_u32_e32 v3, v7, v3
	s_cmp_lg_u32 s25, 0
	s_waitcnt lgkmcnt(0)
	v_mad_u64_u32 v[4:5], s[0:1], s0, v3, v[4:5]
	s_cbranch_scc0 .LBB40_20
; %bb.19:                               ;   in Loop: Header=BB40_14 Depth=2
	v_mov_b32_e32 v7, v9
	v_mov_b32_e32 v8, v10
	s_branch .LBB40_14
.LBB40_20:                              ;   in Loop: Header=BB40_3 Depth=1
	v_mov_b32_e32 v7, v9
	s_mov_b32 s0, s16
	v_mov_b32_e32 v8, v10
.LBB40_21:                              ;   in Loop: Header=BB40_3 Depth=1
	s_andn2_b64 vcc, exec, s[20:21]
	s_cbranch_vccnz .LBB40_57
; %bb.22:                               ;   in Loop: Header=BB40_3 Depth=1
	s_add_i32 s30, s0, -7
.LBB40_23:                              ;   Parent Loop BB40_3 Depth=1
                                        ; =>  This Inner Loop Header: Depth=2
	s_add_i32 s16, s30, 7
	s_lshl_b64 s[34:35], s[16:17], 2
	s_add_u32 s0, s42, s34
	s_addc_u32 s1, s43, s35
	s_load_dword s25, s[0:1], 0x8
                                        ; implicit-def: $vgpr9_vgpr10
	s_waitcnt lgkmcnt(0)
	s_ashr_i32 s0, s25, 31
	v_or_b32_e32 v3, s0, v8
	v_cmp_ne_u64_e32 vcc, 0, v[2:3]
	s_and_saveexec_b64 s[36:37], vcc
	s_xor_b64 s[36:37], exec, s[36:37]
	s_cbranch_execz .LBB40_25
; %bb.24:                               ;   in Loop: Header=BB40_23 Depth=2
	s_ashr_i32 s38, s0, 31
	s_add_u32 s40, s25, s38
	s_mov_b32 s39, s38
	s_addc_u32 s41, s0, s38
	s_xor_b64 s[40:41], s[40:41], s[38:39]
	v_cvt_f32_u32_e32 v3, s40
	v_cvt_f32_u32_e32 v5, s41
	s_sub_u32 s16, 0, s40
	s_subb_u32 s28, 0, s41
	v_mac_f32_e32 v3, 0x4f800000, v5
	v_rcp_f32_e32 v3, v3
	v_mul_f32_e32 v3, 0x5f7ffffc, v3
	v_mul_f32_e32 v5, 0x2f800000, v3
	v_trunc_f32_e32 v5, v5
	v_mac_f32_e32 v3, 0xcf800000, v5
	v_cvt_u32_f32_e32 v5, v5
	v_cvt_u32_f32_e32 v3, v3
	v_readfirstlane_b32 s31, v5
	v_readfirstlane_b32 s0, v3
	s_mul_i32 s1, s16, s31
	s_mul_hi_u32 s50, s16, s0
	s_mul_i32 s39, s28, s0
	s_add_i32 s1, s50, s1
	s_add_i32 s1, s1, s39
	s_mul_i32 s51, s16, s0
	s_mul_i32 s50, s0, s1
	s_mul_hi_u32 s52, s0, s51
	s_mul_hi_u32 s39, s0, s1
	s_add_u32 s50, s52, s50
	s_addc_u32 s39, 0, s39
	s_mul_hi_u32 s53, s31, s51
	s_mul_i32 s51, s31, s51
	s_add_u32 s50, s50, s51
	s_mul_hi_u32 s52, s31, s1
	s_addc_u32 s39, s39, s53
	s_addc_u32 s50, s52, 0
	s_mul_i32 s1, s31, s1
	s_add_u32 s1, s39, s1
	s_addc_u32 s39, 0, s50
	s_add_u32 s50, s0, s1
	s_cselect_b64 s[0:1], -1, 0
	s_cmp_lg_u64 s[0:1], 0
	s_addc_u32 s31, s31, s39
	s_mul_i32 s0, s16, s31
	s_mul_hi_u32 s1, s16, s50
	s_add_i32 s0, s1, s0
	s_mul_i32 s28, s28, s50
	s_add_i32 s0, s0, s28
	s_mul_i32 s16, s16, s50
	s_mul_hi_u32 s28, s31, s16
	s_mul_i32 s39, s31, s16
	s_mul_i32 s52, s50, s0
	s_mul_hi_u32 s16, s50, s16
	s_mul_hi_u32 s51, s50, s0
	s_add_u32 s16, s16, s52
	s_addc_u32 s51, 0, s51
	s_add_u32 s16, s16, s39
	s_mul_hi_u32 s1, s31, s0
	s_addc_u32 s16, s51, s28
	s_addc_u32 s1, s1, 0
	s_mul_i32 s0, s31, s0
	s_add_u32 s0, s16, s0
	s_addc_u32 s16, 0, s1
	s_add_u32 s28, s50, s0
	s_cselect_b64 s[0:1], -1, 0
	v_ashrrev_i32_e32 v3, 31, v8
	s_cmp_lg_u64 s[0:1], 0
	v_add_co_u32_e32 v5, vcc, v7, v3
	s_addc_u32 s16, s31, s16
	v_xor_b32_e32 v5, v5, v3
	v_addc_co_u32_e32 v10, vcc, v8, v3, vcc
	v_mad_u64_u32 v[8:9], s[0:1], v5, s16, 0
	v_mul_hi_u32 v11, v5, s28
	v_xor_b32_e32 v12, v10, v3
	v_xor_b32_e32 v3, s38, v3
	v_add_co_u32_e32 v13, vcc, v11, v8
	v_addc_co_u32_e32 v14, vcc, 0, v9, vcc
	v_mad_u64_u32 v[8:9], s[0:1], v12, s28, 0
	v_mad_u64_u32 v[10:11], s[0:1], v12, s16, 0
	v_add_co_u32_e32 v8, vcc, v13, v8
	v_addc_co_u32_e32 v8, vcc, v14, v9, vcc
	v_addc_co_u32_e32 v9, vcc, 0, v11, vcc
	v_add_co_u32_e32 v10, vcc, v8, v10
	v_addc_co_u32_e32 v11, vcc, 0, v9, vcc
	v_mul_lo_u32 v13, s41, v10
	v_mul_lo_u32 v14, s40, v11
	v_mad_u64_u32 v[8:9], s[0:1], s40, v10, 0
	v_add3_u32 v9, v9, v14, v13
	v_sub_u32_e32 v13, v12, v9
	v_mov_b32_e32 v14, s41
	v_sub_co_u32_e32 v5, vcc, v5, v8
	v_subb_co_u32_e64 v8, s[0:1], v13, v14, vcc
	v_subrev_co_u32_e64 v13, s[0:1], s40, v5
	v_subbrev_co_u32_e64 v8, s[0:1], 0, v8, s[0:1]
	v_cmp_le_u32_e64 s[0:1], s41, v8
	v_cndmask_b32_e64 v14, 0, -1, s[0:1]
	v_cmp_le_u32_e64 s[0:1], s40, v13
	v_cndmask_b32_e64 v13, 0, -1, s[0:1]
	v_cmp_eq_u32_e64 s[0:1], s41, v8
	v_cndmask_b32_e64 v8, v14, v13, s[0:1]
	v_add_co_u32_e64 v13, s[0:1], 2, v10
	v_subb_co_u32_e32 v9, vcc, v12, v9, vcc
	v_addc_co_u32_e64 v14, s[0:1], 0, v11, s[0:1]
	v_cmp_le_u32_e32 vcc, s41, v9
	v_add_co_u32_e64 v15, s[0:1], 1, v10
	v_cndmask_b32_e64 v12, 0, -1, vcc
	v_cmp_le_u32_e32 vcc, s40, v5
	v_addc_co_u32_e64 v16, s[0:1], 0, v11, s[0:1]
	v_cndmask_b32_e64 v5, 0, -1, vcc
	v_cmp_eq_u32_e32 vcc, s41, v9
	v_cmp_ne_u32_e64 s[0:1], 0, v8
	v_cndmask_b32_e32 v5, v12, v5, vcc
	v_cndmask_b32_e64 v8, v16, v14, s[0:1]
	v_cmp_ne_u32_e32 vcc, 0, v5
	v_cndmask_b32_e32 v5, v11, v8, vcc
	v_cndmask_b32_e64 v8, v15, v13, s[0:1]
	v_cndmask_b32_e32 v8, v10, v8, vcc
	v_xor_b32_e32 v8, v8, v3
	v_xor_b32_e32 v5, v5, v3
	v_sub_co_u32_e32 v9, vcc, v8, v3
	v_subb_co_u32_e32 v10, vcc, v5, v3, vcc
.LBB40_25:                              ;   in Loop: Header=BB40_23 Depth=2
	s_andn2_saveexec_b64 s[0:1], s[36:37]
	s_cbranch_execz .LBB40_27
; %bb.26:                               ;   in Loop: Header=BB40_23 Depth=2
	v_cvt_f32_u32_e32 v3, s25
	s_sub_i32 s16, 0, s25
	v_mov_b32_e32 v10, v2
	v_rcp_iflag_f32_e32 v3, v3
	v_mul_f32_e32 v3, 0x4f7ffffe, v3
	v_cvt_u32_f32_e32 v3, v3
	v_mul_lo_u32 v5, s16, v3
	v_mul_hi_u32 v5, v3, v5
	v_add_u32_e32 v3, v3, v5
	v_mul_hi_u32 v3, v7, v3
	v_mul_lo_u32 v5, v3, s25
	v_add_u32_e32 v8, 1, v3
	v_sub_u32_e32 v5, v7, v5
	v_subrev_u32_e32 v9, s25, v5
	v_cmp_le_u32_e32 vcc, s25, v5
	v_cndmask_b32_e32 v5, v5, v9, vcc
	v_cndmask_b32_e32 v3, v3, v8, vcc
	v_add_u32_e32 v8, 1, v3
	v_cmp_le_u32_e32 vcc, s25, v5
	v_cndmask_b32_e32 v9, v3, v8, vcc
.LBB40_27:                              ;   in Loop: Header=BB40_23 Depth=2
	s_or_b64 exec, exec, s[0:1]
	s_add_u32 s0, s4, s34
	s_addc_u32 s1, s5, s35
	s_add_i32 s16, s30, 6
	s_lshl_b64 s[34:35], s[16:17], 2
	s_add_u32 s36, s42, s34
	s_addc_u32 s37, s43, s35
	s_load_dword s50, s[36:37], 0x8
	s_load_dword s28, s[0:1], 0x6c
                                        ; implicit-def: $vgpr11_vgpr12
	s_waitcnt lgkmcnt(0)
	s_ashr_i32 s0, s50, 31
	v_or_b32_e32 v3, s0, v10
	v_cmp_ne_u64_e32 vcc, 0, v[2:3]
	s_and_saveexec_b64 s[36:37], vcc
	s_xor_b64 s[36:37], exec, s[36:37]
	s_cbranch_execz .LBB40_29
; %bb.28:                               ;   in Loop: Header=BB40_23 Depth=2
	s_ashr_i32 s38, s0, 31
	s_add_u32 s40, s50, s38
	s_mov_b32 s39, s38
	s_addc_u32 s41, s0, s38
	s_xor_b64 s[40:41], s[40:41], s[38:39]
	v_cvt_f32_u32_e32 v3, s40
	v_cvt_f32_u32_e32 v5, s41
	s_sub_u32 s16, 0, s40
	s_subb_u32 s31, 0, s41
	v_mac_f32_e32 v3, 0x4f800000, v5
	v_rcp_f32_e32 v3, v3
	v_mul_f32_e32 v3, 0x5f7ffffc, v3
	v_mul_f32_e32 v5, 0x2f800000, v3
	v_trunc_f32_e32 v5, v5
	v_mac_f32_e32 v3, 0xcf800000, v5
	v_cvt_u32_f32_e32 v5, v5
	v_cvt_u32_f32_e32 v3, v3
	v_readfirstlane_b32 s39, v5
	v_readfirstlane_b32 s0, v3
	s_mul_i32 s1, s16, s39
	s_mul_hi_u32 s52, s16, s0
	s_mul_i32 s51, s31, s0
	s_add_i32 s1, s52, s1
	s_add_i32 s1, s1, s51
	s_mul_i32 s53, s16, s0
	s_mul_i32 s52, s0, s1
	s_mul_hi_u32 s54, s0, s53
	s_mul_hi_u32 s51, s0, s1
	s_add_u32 s52, s54, s52
	s_addc_u32 s51, 0, s51
	s_mul_hi_u32 s55, s39, s53
	s_mul_i32 s53, s39, s53
	s_add_u32 s52, s52, s53
	s_mul_hi_u32 s54, s39, s1
	s_addc_u32 s51, s51, s55
	s_addc_u32 s52, s54, 0
	s_mul_i32 s1, s39, s1
	s_add_u32 s1, s51, s1
	s_addc_u32 s51, 0, s52
	s_add_u32 s52, s0, s1
	s_cselect_b64 s[0:1], -1, 0
	s_cmp_lg_u64 s[0:1], 0
	s_addc_u32 s39, s39, s51
	s_mul_i32 s0, s16, s39
	s_mul_hi_u32 s1, s16, s52
	s_add_i32 s0, s1, s0
	s_mul_i32 s31, s31, s52
	s_add_i32 s0, s0, s31
	s_mul_i32 s16, s16, s52
	s_mul_hi_u32 s31, s39, s16
	s_mul_i32 s51, s39, s16
	s_mul_i32 s54, s52, s0
	s_mul_hi_u32 s16, s52, s16
	s_mul_hi_u32 s53, s52, s0
	s_add_u32 s16, s16, s54
	s_addc_u32 s53, 0, s53
	s_add_u32 s16, s16, s51
	s_mul_hi_u32 s1, s39, s0
	s_addc_u32 s16, s53, s31
	s_addc_u32 s1, s1, 0
	s_mul_i32 s0, s39, s0
	s_add_u32 s0, s16, s0
	s_addc_u32 s16, 0, s1
	s_add_u32 s31, s52, s0
	s_cselect_b64 s[0:1], -1, 0
	v_ashrrev_i32_e32 v3, 31, v10
	s_cmp_lg_u64 s[0:1], 0
	v_add_co_u32_e32 v5, vcc, v9, v3
	s_addc_u32 s16, s39, s16
	v_xor_b32_e32 v5, v5, v3
	v_addc_co_u32_e32 v8, vcc, v10, v3, vcc
	v_mad_u64_u32 v[10:11], s[0:1], v5, s16, 0
	v_mul_hi_u32 v12, v5, s31
	v_xor_b32_e32 v8, v8, v3
	v_xor_b32_e32 v3, s38, v3
	v_add_co_u32_e32 v14, vcc, v12, v10
	v_addc_co_u32_e32 v15, vcc, 0, v11, vcc
	v_mad_u64_u32 v[10:11], s[0:1], v8, s31, 0
	v_mad_u64_u32 v[12:13], s[0:1], v8, s16, 0
	v_add_co_u32_e32 v10, vcc, v14, v10
	v_addc_co_u32_e32 v10, vcc, v15, v11, vcc
	v_addc_co_u32_e32 v11, vcc, 0, v13, vcc
	v_add_co_u32_e32 v12, vcc, v10, v12
	v_addc_co_u32_e32 v13, vcc, 0, v11, vcc
	v_mul_lo_u32 v14, s41, v12
	v_mul_lo_u32 v15, s40, v13
	v_mad_u64_u32 v[10:11], s[0:1], s40, v12, 0
	v_add3_u32 v11, v11, v15, v14
	v_sub_u32_e32 v14, v8, v11
	v_mov_b32_e32 v15, s41
	v_sub_co_u32_e32 v5, vcc, v5, v10
	v_subb_co_u32_e64 v10, s[0:1], v14, v15, vcc
	v_subrev_co_u32_e64 v14, s[0:1], s40, v5
	v_subbrev_co_u32_e64 v10, s[0:1], 0, v10, s[0:1]
	v_cmp_le_u32_e64 s[0:1], s41, v10
	v_cndmask_b32_e64 v15, 0, -1, s[0:1]
	v_cmp_le_u32_e64 s[0:1], s40, v14
	v_cndmask_b32_e64 v14, 0, -1, s[0:1]
	v_cmp_eq_u32_e64 s[0:1], s41, v10
	v_cndmask_b32_e64 v10, v15, v14, s[0:1]
	v_add_co_u32_e64 v14, s[0:1], 2, v12
	v_subb_co_u32_e32 v8, vcc, v8, v11, vcc
	v_addc_co_u32_e64 v15, s[0:1], 0, v13, s[0:1]
	v_cmp_le_u32_e32 vcc, s41, v8
	v_add_co_u32_e64 v16, s[0:1], 1, v12
	v_cndmask_b32_e64 v11, 0, -1, vcc
	v_cmp_le_u32_e32 vcc, s40, v5
	v_addc_co_u32_e64 v17, s[0:1], 0, v13, s[0:1]
	v_cndmask_b32_e64 v5, 0, -1, vcc
	v_cmp_eq_u32_e32 vcc, s41, v8
	v_cmp_ne_u32_e64 s[0:1], 0, v10
	v_cndmask_b32_e32 v5, v11, v5, vcc
	v_cmp_ne_u32_e32 vcc, 0, v5
	v_cndmask_b32_e64 v8, v16, v14, s[0:1]
	v_cndmask_b32_e64 v10, v17, v15, s[0:1]
	v_cndmask_b32_e32 v8, v12, v8, vcc
	v_cndmask_b32_e32 v5, v13, v10, vcc
	v_xor_b32_e32 v8, v8, v3
	v_xor_b32_e32 v5, v5, v3
	v_sub_co_u32_e32 v11, vcc, v8, v3
	v_subb_co_u32_e32 v12, vcc, v5, v3, vcc
.LBB40_29:                              ;   in Loop: Header=BB40_23 Depth=2
	s_andn2_saveexec_b64 s[0:1], s[36:37]
	s_cbranch_execz .LBB40_31
; %bb.30:                               ;   in Loop: Header=BB40_23 Depth=2
	v_cvt_f32_u32_e32 v3, s50
	s_sub_i32 s16, 0, s50
	v_mov_b32_e32 v12, v2
	v_rcp_iflag_f32_e32 v3, v3
	v_mul_f32_e32 v3, 0x4f7ffffe, v3
	v_cvt_u32_f32_e32 v3, v3
	v_mul_lo_u32 v5, s16, v3
	v_mul_hi_u32 v5, v3, v5
	v_add_u32_e32 v3, v3, v5
	v_mul_hi_u32 v3, v9, v3
	v_mul_lo_u32 v5, v3, s50
	v_add_u32_e32 v8, 1, v3
	v_sub_u32_e32 v5, v9, v5
	v_subrev_u32_e32 v10, s50, v5
	v_cmp_le_u32_e32 vcc, s50, v5
	v_cndmask_b32_e32 v5, v5, v10, vcc
	v_cndmask_b32_e32 v3, v3, v8, vcc
	v_add_u32_e32 v8, 1, v3
	v_cmp_le_u32_e32 vcc, s50, v5
	v_cndmask_b32_e32 v11, v3, v8, vcc
.LBB40_31:                              ;   in Loop: Header=BB40_23 Depth=2
	s_or_b64 exec, exec, s[0:1]
	s_add_u32 s0, s4, s34
	s_addc_u32 s1, s5, s35
	s_add_i32 s16, s30, 5
	s_lshl_b64 s[34:35], s[16:17], 2
	s_add_u32 s36, s42, s34
	s_addc_u32 s37, s43, s35
	s_load_dword s52, s[36:37], 0x8
	s_load_dword s51, s[0:1], 0x6c
                                        ; implicit-def: $vgpr13_vgpr14
	s_waitcnt lgkmcnt(0)
	s_ashr_i32 s0, s52, 31
	v_or_b32_e32 v3, s0, v12
	v_cmp_ne_u64_e32 vcc, 0, v[2:3]
	s_and_saveexec_b64 s[36:37], vcc
	s_xor_b64 s[36:37], exec, s[36:37]
	s_cbranch_execz .LBB40_33
; %bb.32:                               ;   in Loop: Header=BB40_23 Depth=2
	s_ashr_i32 s38, s0, 31
	s_add_u32 s40, s52, s38
	s_mov_b32 s39, s38
	s_addc_u32 s41, s0, s38
	s_xor_b64 s[40:41], s[40:41], s[38:39]
	v_cvt_f32_u32_e32 v3, s40
	v_cvt_f32_u32_e32 v5, s41
	s_sub_u32 s16, 0, s40
	s_subb_u32 s31, 0, s41
	v_mac_f32_e32 v3, 0x4f800000, v5
	v_rcp_f32_e32 v3, v3
	v_mul_f32_e32 v3, 0x5f7ffffc, v3
	v_mul_f32_e32 v5, 0x2f800000, v3
	v_trunc_f32_e32 v5, v5
	v_mac_f32_e32 v3, 0xcf800000, v5
	v_cvt_u32_f32_e32 v5, v5
	v_cvt_u32_f32_e32 v3, v3
	v_readfirstlane_b32 s39, v5
	v_readfirstlane_b32 s0, v3
	s_mul_i32 s1, s16, s39
	s_mul_hi_u32 s54, s16, s0
	s_mul_i32 s53, s31, s0
	s_add_i32 s1, s54, s1
	s_add_i32 s1, s1, s53
	s_mul_i32 s55, s16, s0
	s_mul_i32 s54, s0, s1
	s_mul_hi_u32 s56, s0, s55
	s_mul_hi_u32 s53, s0, s1
	s_add_u32 s54, s56, s54
	s_addc_u32 s53, 0, s53
	s_mul_hi_u32 s57, s39, s55
	s_mul_i32 s55, s39, s55
	s_add_u32 s54, s54, s55
	s_mul_hi_u32 s56, s39, s1
	s_addc_u32 s53, s53, s57
	s_addc_u32 s54, s56, 0
	s_mul_i32 s1, s39, s1
	s_add_u32 s1, s53, s1
	s_addc_u32 s53, 0, s54
	s_add_u32 s54, s0, s1
	s_cselect_b64 s[0:1], -1, 0
	s_cmp_lg_u64 s[0:1], 0
	s_addc_u32 s39, s39, s53
	s_mul_i32 s0, s16, s39
	s_mul_hi_u32 s1, s16, s54
	s_add_i32 s0, s1, s0
	s_mul_i32 s31, s31, s54
	s_add_i32 s0, s0, s31
	s_mul_i32 s16, s16, s54
	s_mul_hi_u32 s31, s39, s16
	s_mul_i32 s53, s39, s16
	s_mul_i32 s56, s54, s0
	s_mul_hi_u32 s16, s54, s16
	s_mul_hi_u32 s55, s54, s0
	s_add_u32 s16, s16, s56
	s_addc_u32 s55, 0, s55
	s_add_u32 s16, s16, s53
	s_mul_hi_u32 s1, s39, s0
	s_addc_u32 s16, s55, s31
	s_addc_u32 s1, s1, 0
	s_mul_i32 s0, s39, s0
	s_add_u32 s0, s16, s0
	s_addc_u32 s16, 0, s1
	s_add_u32 s31, s54, s0
	s_cselect_b64 s[0:1], -1, 0
	v_ashrrev_i32_e32 v3, 31, v12
	s_cmp_lg_u64 s[0:1], 0
	v_add_co_u32_e32 v5, vcc, v11, v3
	s_addc_u32 s16, s39, s16
	v_xor_b32_e32 v5, v5, v3
	v_addc_co_u32_e32 v8, vcc, v12, v3, vcc
	v_mad_u64_u32 v[12:13], s[0:1], v5, s16, 0
	v_mul_hi_u32 v10, v5, s31
	v_xor_b32_e32 v8, v8, v3
	v_mad_u64_u32 v[14:15], s[0:1], v8, s16, 0
	v_add_co_u32_e32 v10, vcc, v10, v12
	v_addc_co_u32_e32 v16, vcc, 0, v13, vcc
	v_mad_u64_u32 v[12:13], s[0:1], v8, s31, 0
	v_xor_b32_e32 v3, s38, v3
	v_add_co_u32_e32 v10, vcc, v10, v12
	v_addc_co_u32_e32 v10, vcc, v16, v13, vcc
	v_addc_co_u32_e32 v12, vcc, 0, v15, vcc
	v_add_co_u32_e32 v10, vcc, v10, v14
	v_addc_co_u32_e32 v14, vcc, 0, v12, vcc
	v_mul_lo_u32 v15, s41, v10
	v_mul_lo_u32 v16, s40, v14
	v_mad_u64_u32 v[12:13], s[0:1], s40, v10, 0
	v_add3_u32 v13, v13, v16, v15
	v_sub_u32_e32 v15, v8, v13
	v_mov_b32_e32 v16, s41
	v_sub_co_u32_e32 v5, vcc, v5, v12
	v_subb_co_u32_e64 v12, s[0:1], v15, v16, vcc
	v_subrev_co_u32_e64 v15, s[0:1], s40, v5
	v_subbrev_co_u32_e64 v12, s[0:1], 0, v12, s[0:1]
	v_cmp_le_u32_e64 s[0:1], s41, v12
	v_cndmask_b32_e64 v16, 0, -1, s[0:1]
	v_cmp_le_u32_e64 s[0:1], s40, v15
	v_cndmask_b32_e64 v15, 0, -1, s[0:1]
	v_cmp_eq_u32_e64 s[0:1], s41, v12
	v_cndmask_b32_e64 v12, v16, v15, s[0:1]
	v_add_co_u32_e64 v15, s[0:1], 2, v10
	v_subb_co_u32_e32 v8, vcc, v8, v13, vcc
	v_addc_co_u32_e64 v16, s[0:1], 0, v14, s[0:1]
	v_cmp_le_u32_e32 vcc, s41, v8
	v_add_co_u32_e64 v17, s[0:1], 1, v10
	v_cndmask_b32_e64 v13, 0, -1, vcc
	v_cmp_le_u32_e32 vcc, s40, v5
	v_addc_co_u32_e64 v18, s[0:1], 0, v14, s[0:1]
	v_cndmask_b32_e64 v5, 0, -1, vcc
	v_cmp_eq_u32_e32 vcc, s41, v8
	v_cmp_ne_u32_e64 s[0:1], 0, v12
	v_cndmask_b32_e32 v5, v13, v5, vcc
	v_cmp_ne_u32_e32 vcc, 0, v5
	v_cndmask_b32_e64 v8, v17, v15, s[0:1]
	v_cndmask_b32_e64 v12, v18, v16, s[0:1]
	v_cndmask_b32_e32 v8, v10, v8, vcc
	v_cndmask_b32_e32 v5, v14, v12, vcc
	v_xor_b32_e32 v8, v8, v3
	v_xor_b32_e32 v5, v5, v3
	v_sub_co_u32_e32 v13, vcc, v8, v3
	v_subb_co_u32_e32 v14, vcc, v5, v3, vcc
.LBB40_33:                              ;   in Loop: Header=BB40_23 Depth=2
	s_andn2_saveexec_b64 s[0:1], s[36:37]
	s_cbranch_execz .LBB40_35
; %bb.34:                               ;   in Loop: Header=BB40_23 Depth=2
	v_cvt_f32_u32_e32 v3, s52
	s_sub_i32 s16, 0, s52
	v_mov_b32_e32 v14, v2
	v_rcp_iflag_f32_e32 v3, v3
	v_mul_f32_e32 v3, 0x4f7ffffe, v3
	v_cvt_u32_f32_e32 v3, v3
	v_mul_lo_u32 v5, s16, v3
	v_mul_hi_u32 v5, v3, v5
	v_add_u32_e32 v3, v3, v5
	v_mul_hi_u32 v3, v11, v3
	v_mul_lo_u32 v5, v3, s52
	v_add_u32_e32 v8, 1, v3
	v_sub_u32_e32 v5, v11, v5
	v_subrev_u32_e32 v10, s52, v5
	v_cmp_le_u32_e32 vcc, s52, v5
	v_cndmask_b32_e32 v5, v5, v10, vcc
	v_cndmask_b32_e32 v3, v3, v8, vcc
	v_add_u32_e32 v8, 1, v3
	v_cmp_le_u32_e32 vcc, s52, v5
	v_cndmask_b32_e32 v13, v3, v8, vcc
.LBB40_35:                              ;   in Loop: Header=BB40_23 Depth=2
	s_or_b64 exec, exec, s[0:1]
	s_add_u32 s0, s4, s34
	s_addc_u32 s1, s5, s35
	s_add_i32 s16, s30, 4
	s_lshl_b64 s[34:35], s[16:17], 2
	s_add_u32 s36, s42, s34
	s_addc_u32 s37, s43, s35
	s_load_dword s54, s[36:37], 0x8
	s_load_dword s53, s[0:1], 0x6c
                                        ; implicit-def: $vgpr15_vgpr16
	s_waitcnt lgkmcnt(0)
	s_ashr_i32 s0, s54, 31
	v_or_b32_e32 v3, s0, v14
	v_cmp_ne_u64_e32 vcc, 0, v[2:3]
	s_and_saveexec_b64 s[36:37], vcc
	s_xor_b64 s[36:37], exec, s[36:37]
	s_cbranch_execz .LBB40_37
; %bb.36:                               ;   in Loop: Header=BB40_23 Depth=2
	s_ashr_i32 s38, s0, 31
	s_add_u32 s40, s54, s38
	s_mov_b32 s39, s38
	s_addc_u32 s41, s0, s38
	s_xor_b64 s[40:41], s[40:41], s[38:39]
	v_cvt_f32_u32_e32 v3, s40
	v_cvt_f32_u32_e32 v5, s41
	s_sub_u32 s16, 0, s40
	s_subb_u32 s31, 0, s41
	v_mac_f32_e32 v3, 0x4f800000, v5
	v_rcp_f32_e32 v3, v3
	v_mul_f32_e32 v3, 0x5f7ffffc, v3
	v_mul_f32_e32 v5, 0x2f800000, v3
	v_trunc_f32_e32 v5, v5
	v_mac_f32_e32 v3, 0xcf800000, v5
	v_cvt_u32_f32_e32 v5, v5
	v_cvt_u32_f32_e32 v3, v3
	v_readfirstlane_b32 s39, v5
	v_readfirstlane_b32 s0, v3
	s_mul_i32 s1, s16, s39
	s_mul_hi_u32 s56, s16, s0
	s_mul_i32 s55, s31, s0
	s_add_i32 s1, s56, s1
	s_add_i32 s1, s1, s55
	s_mul_i32 s57, s16, s0
	s_mul_i32 s56, s0, s1
	s_mul_hi_u32 s58, s0, s57
	s_mul_hi_u32 s55, s0, s1
	s_add_u32 s56, s58, s56
	s_addc_u32 s55, 0, s55
	s_mul_hi_u32 s59, s39, s57
	s_mul_i32 s57, s39, s57
	s_add_u32 s56, s56, s57
	s_mul_hi_u32 s58, s39, s1
	s_addc_u32 s55, s55, s59
	s_addc_u32 s56, s58, 0
	s_mul_i32 s1, s39, s1
	s_add_u32 s1, s55, s1
	s_addc_u32 s55, 0, s56
	s_add_u32 s56, s0, s1
	s_cselect_b64 s[0:1], -1, 0
	s_cmp_lg_u64 s[0:1], 0
	s_addc_u32 s39, s39, s55
	s_mul_i32 s0, s16, s39
	s_mul_hi_u32 s1, s16, s56
	s_add_i32 s0, s1, s0
	s_mul_i32 s31, s31, s56
	s_add_i32 s0, s0, s31
	s_mul_i32 s16, s16, s56
	s_mul_hi_u32 s31, s39, s16
	s_mul_i32 s55, s39, s16
	s_mul_i32 s58, s56, s0
	s_mul_hi_u32 s16, s56, s16
	s_mul_hi_u32 s57, s56, s0
	s_add_u32 s16, s16, s58
	s_addc_u32 s57, 0, s57
	s_add_u32 s16, s16, s55
	s_mul_hi_u32 s1, s39, s0
	s_addc_u32 s16, s57, s31
	s_addc_u32 s1, s1, 0
	s_mul_i32 s0, s39, s0
	s_add_u32 s0, s16, s0
	s_addc_u32 s16, 0, s1
	s_add_u32 s31, s56, s0
	s_cselect_b64 s[0:1], -1, 0
	v_ashrrev_i32_e32 v3, 31, v14
	s_cmp_lg_u64 s[0:1], 0
	v_add_co_u32_e32 v5, vcc, v13, v3
	s_addc_u32 s16, s39, s16
	v_xor_b32_e32 v5, v5, v3
	v_addc_co_u32_e32 v8, vcc, v14, v3, vcc
	v_mad_u64_u32 v[14:15], s[0:1], v5, s16, 0
	v_mul_hi_u32 v10, v5, s31
	v_xor_b32_e32 v8, v8, v3
	v_mad_u64_u32 v[16:17], s[0:1], v8, s16, 0
	v_add_co_u32_e32 v10, vcc, v10, v14
	v_addc_co_u32_e32 v12, vcc, 0, v15, vcc
	v_mad_u64_u32 v[14:15], s[0:1], v8, s31, 0
	v_xor_b32_e32 v3, s38, v3
	v_add_co_u32_e32 v10, vcc, v10, v14
	v_addc_co_u32_e32 v10, vcc, v12, v15, vcc
	v_addc_co_u32_e32 v12, vcc, 0, v17, vcc
	v_add_co_u32_e32 v10, vcc, v10, v16
	v_addc_co_u32_e32 v12, vcc, 0, v12, vcc
	v_mul_lo_u32 v16, s41, v10
	v_mul_lo_u32 v17, s40, v12
	v_mad_u64_u32 v[14:15], s[0:1], s40, v10, 0
	v_add3_u32 v15, v15, v17, v16
	v_sub_u32_e32 v16, v8, v15
	v_mov_b32_e32 v17, s41
	v_sub_co_u32_e32 v5, vcc, v5, v14
	v_subb_co_u32_e64 v14, s[0:1], v16, v17, vcc
	v_subrev_co_u32_e64 v16, s[0:1], s40, v5
	v_subbrev_co_u32_e64 v14, s[0:1], 0, v14, s[0:1]
	v_cmp_le_u32_e64 s[0:1], s41, v14
	v_cndmask_b32_e64 v17, 0, -1, s[0:1]
	v_cmp_le_u32_e64 s[0:1], s40, v16
	v_cndmask_b32_e64 v16, 0, -1, s[0:1]
	v_cmp_eq_u32_e64 s[0:1], s41, v14
	v_cndmask_b32_e64 v14, v17, v16, s[0:1]
	v_add_co_u32_e64 v16, s[0:1], 2, v10
	v_subb_co_u32_e32 v8, vcc, v8, v15, vcc
	v_addc_co_u32_e64 v17, s[0:1], 0, v12, s[0:1]
	v_cmp_le_u32_e32 vcc, s41, v8
	v_add_co_u32_e64 v18, s[0:1], 1, v10
	v_cndmask_b32_e64 v15, 0, -1, vcc
	v_cmp_le_u32_e32 vcc, s40, v5
	v_addc_co_u32_e64 v19, s[0:1], 0, v12, s[0:1]
	v_cndmask_b32_e64 v5, 0, -1, vcc
	v_cmp_eq_u32_e32 vcc, s41, v8
	v_cmp_ne_u32_e64 s[0:1], 0, v14
	v_cndmask_b32_e32 v5, v15, v5, vcc
	v_cmp_ne_u32_e32 vcc, 0, v5
	v_cndmask_b32_e64 v8, v18, v16, s[0:1]
	v_cndmask_b32_e64 v14, v19, v17, s[0:1]
	v_cndmask_b32_e32 v8, v10, v8, vcc
	v_cndmask_b32_e32 v5, v12, v14, vcc
	v_xor_b32_e32 v8, v8, v3
	v_xor_b32_e32 v5, v5, v3
	v_sub_co_u32_e32 v15, vcc, v8, v3
	v_subb_co_u32_e32 v16, vcc, v5, v3, vcc
.LBB40_37:                              ;   in Loop: Header=BB40_23 Depth=2
	s_andn2_saveexec_b64 s[0:1], s[36:37]
	s_cbranch_execz .LBB40_39
; %bb.38:                               ;   in Loop: Header=BB40_23 Depth=2
	v_cvt_f32_u32_e32 v3, s54
	s_sub_i32 s16, 0, s54
	v_mov_b32_e32 v16, v2
	v_rcp_iflag_f32_e32 v3, v3
	v_mul_f32_e32 v3, 0x4f7ffffe, v3
	v_cvt_u32_f32_e32 v3, v3
	v_mul_lo_u32 v5, s16, v3
	v_mul_hi_u32 v5, v3, v5
	v_add_u32_e32 v3, v3, v5
	v_mul_hi_u32 v3, v13, v3
	v_mul_lo_u32 v5, v3, s54
	v_add_u32_e32 v8, 1, v3
	v_sub_u32_e32 v5, v13, v5
	v_subrev_u32_e32 v10, s54, v5
	v_cmp_le_u32_e32 vcc, s54, v5
	v_cndmask_b32_e32 v5, v5, v10, vcc
	v_cndmask_b32_e32 v3, v3, v8, vcc
	v_add_u32_e32 v8, 1, v3
	v_cmp_le_u32_e32 vcc, s54, v5
	v_cndmask_b32_e32 v15, v3, v8, vcc
.LBB40_39:                              ;   in Loop: Header=BB40_23 Depth=2
	s_or_b64 exec, exec, s[0:1]
	s_add_u32 s0, s4, s34
	s_addc_u32 s1, s5, s35
	s_add_i32 s16, s30, 3
	s_lshl_b64 s[34:35], s[16:17], 2
	s_add_u32 s36, s42, s34
	s_addc_u32 s37, s43, s35
	s_load_dword s55, s[36:37], 0x8
	s_load_dword s56, s[0:1], 0x6c
                                        ; implicit-def: $vgpr17_vgpr18
	s_waitcnt lgkmcnt(0)
	s_ashr_i32 s0, s55, 31
	v_or_b32_e32 v3, s0, v16
	v_cmp_ne_u64_e32 vcc, 0, v[2:3]
	s_and_saveexec_b64 s[36:37], vcc
	s_xor_b64 s[36:37], exec, s[36:37]
	s_cbranch_execz .LBB40_41
; %bb.40:                               ;   in Loop: Header=BB40_23 Depth=2
	s_ashr_i32 s38, s0, 31
	s_add_u32 s40, s55, s38
	s_mov_b32 s39, s38
	s_addc_u32 s41, s0, s38
	s_xor_b64 s[40:41], s[40:41], s[38:39]
	v_cvt_f32_u32_e32 v3, s40
	v_cvt_f32_u32_e32 v5, s41
	s_sub_u32 s16, 0, s40
	s_subb_u32 s31, 0, s41
	v_mac_f32_e32 v3, 0x4f800000, v5
	v_rcp_f32_e32 v3, v3
	v_mul_f32_e32 v3, 0x5f7ffffc, v3
	v_mul_f32_e32 v5, 0x2f800000, v3
	v_trunc_f32_e32 v5, v5
	v_mac_f32_e32 v3, 0xcf800000, v5
	v_cvt_u32_f32_e32 v5, v5
	v_cvt_u32_f32_e32 v3, v3
	v_readfirstlane_b32 s39, v5
	v_readfirstlane_b32 s0, v3
	s_mul_i32 s1, s16, s39
	s_mul_hi_u32 s58, s16, s0
	s_mul_i32 s57, s31, s0
	s_add_i32 s1, s58, s1
	s_add_i32 s1, s1, s57
	s_mul_i32 s59, s16, s0
	s_mul_i32 s58, s0, s1
	s_mul_hi_u32 s60, s0, s59
	s_mul_hi_u32 s57, s0, s1
	s_add_u32 s58, s60, s58
	s_addc_u32 s57, 0, s57
	s_mul_hi_u32 s61, s39, s59
	s_mul_i32 s59, s39, s59
	s_add_u32 s58, s58, s59
	s_mul_hi_u32 s60, s39, s1
	s_addc_u32 s57, s57, s61
	s_addc_u32 s58, s60, 0
	s_mul_i32 s1, s39, s1
	s_add_u32 s1, s57, s1
	s_addc_u32 s57, 0, s58
	s_add_u32 s58, s0, s1
	s_cselect_b64 s[0:1], -1, 0
	s_cmp_lg_u64 s[0:1], 0
	s_addc_u32 s39, s39, s57
	s_mul_i32 s0, s16, s39
	s_mul_hi_u32 s1, s16, s58
	s_add_i32 s0, s1, s0
	s_mul_i32 s31, s31, s58
	s_add_i32 s0, s0, s31
	s_mul_i32 s16, s16, s58
	s_mul_hi_u32 s31, s39, s16
	s_mul_i32 s57, s39, s16
	s_mul_i32 s60, s58, s0
	s_mul_hi_u32 s16, s58, s16
	s_mul_hi_u32 s59, s58, s0
	s_add_u32 s16, s16, s60
	s_addc_u32 s59, 0, s59
	s_add_u32 s16, s16, s57
	s_mul_hi_u32 s1, s39, s0
	s_addc_u32 s16, s59, s31
	s_addc_u32 s1, s1, 0
	s_mul_i32 s0, s39, s0
	s_add_u32 s0, s16, s0
	s_addc_u32 s16, 0, s1
	s_add_u32 s31, s58, s0
	s_cselect_b64 s[0:1], -1, 0
	v_ashrrev_i32_e32 v3, 31, v16
	s_cmp_lg_u64 s[0:1], 0
	v_add_co_u32_e32 v5, vcc, v15, v3
	s_addc_u32 s16, s39, s16
	v_xor_b32_e32 v5, v5, v3
	v_addc_co_u32_e32 v8, vcc, v16, v3, vcc
	v_mad_u64_u32 v[16:17], s[0:1], v5, s16, 0
	v_mul_hi_u32 v10, v5, s31
	v_xor_b32_e32 v8, v8, v3
	v_mad_u64_u32 v[18:19], s[0:1], v8, s16, 0
	v_add_co_u32_e32 v10, vcc, v10, v16
	v_addc_co_u32_e32 v12, vcc, 0, v17, vcc
	v_mad_u64_u32 v[16:17], s[0:1], v8, s31, 0
	v_xor_b32_e32 v3, s38, v3
	v_add_co_u32_e32 v10, vcc, v10, v16
	v_addc_co_u32_e32 v10, vcc, v12, v17, vcc
	v_addc_co_u32_e32 v12, vcc, 0, v19, vcc
	v_add_co_u32_e32 v10, vcc, v10, v18
	v_addc_co_u32_e32 v12, vcc, 0, v12, vcc
	v_mul_lo_u32 v14, s41, v10
	v_mul_lo_u32 v18, s40, v12
	v_mad_u64_u32 v[16:17], s[0:1], s40, v10, 0
	v_add3_u32 v14, v17, v18, v14
	v_sub_u32_e32 v17, v8, v14
	v_mov_b32_e32 v18, s41
	v_sub_co_u32_e32 v5, vcc, v5, v16
	v_subb_co_u32_e64 v16, s[0:1], v17, v18, vcc
	v_subrev_co_u32_e64 v17, s[0:1], s40, v5
	v_subbrev_co_u32_e64 v16, s[0:1], 0, v16, s[0:1]
	v_cmp_le_u32_e64 s[0:1], s41, v16
	v_cndmask_b32_e64 v18, 0, -1, s[0:1]
	v_cmp_le_u32_e64 s[0:1], s40, v17
	v_cndmask_b32_e64 v17, 0, -1, s[0:1]
	v_cmp_eq_u32_e64 s[0:1], s41, v16
	v_cndmask_b32_e64 v16, v18, v17, s[0:1]
	v_add_co_u32_e64 v17, s[0:1], 2, v10
	v_subb_co_u32_e32 v8, vcc, v8, v14, vcc
	v_addc_co_u32_e64 v18, s[0:1], 0, v12, s[0:1]
	v_cmp_le_u32_e32 vcc, s41, v8
	v_add_co_u32_e64 v19, s[0:1], 1, v10
	v_cndmask_b32_e64 v14, 0, -1, vcc
	v_cmp_le_u32_e32 vcc, s40, v5
	v_addc_co_u32_e64 v20, s[0:1], 0, v12, s[0:1]
	v_cndmask_b32_e64 v5, 0, -1, vcc
	v_cmp_eq_u32_e32 vcc, s41, v8
	v_cmp_ne_u32_e64 s[0:1], 0, v16
	v_cndmask_b32_e32 v5, v14, v5, vcc
	v_cmp_ne_u32_e32 vcc, 0, v5
	v_cndmask_b32_e64 v8, v19, v17, s[0:1]
	v_cndmask_b32_e64 v16, v20, v18, s[0:1]
	v_cndmask_b32_e32 v8, v10, v8, vcc
	v_cndmask_b32_e32 v5, v12, v16, vcc
	v_xor_b32_e32 v8, v8, v3
	v_xor_b32_e32 v5, v5, v3
	v_sub_co_u32_e32 v17, vcc, v8, v3
	v_subb_co_u32_e32 v18, vcc, v5, v3, vcc
.LBB40_41:                              ;   in Loop: Header=BB40_23 Depth=2
	s_andn2_saveexec_b64 s[0:1], s[36:37]
	s_cbranch_execz .LBB40_43
; %bb.42:                               ;   in Loop: Header=BB40_23 Depth=2
	v_cvt_f32_u32_e32 v3, s55
	s_sub_i32 s16, 0, s55
	v_mov_b32_e32 v18, v2
	v_rcp_iflag_f32_e32 v3, v3
	v_mul_f32_e32 v3, 0x4f7ffffe, v3
	v_cvt_u32_f32_e32 v3, v3
	v_mul_lo_u32 v5, s16, v3
	v_mul_hi_u32 v5, v3, v5
	v_add_u32_e32 v3, v3, v5
	v_mul_hi_u32 v3, v15, v3
	v_mul_lo_u32 v5, v3, s55
	v_add_u32_e32 v8, 1, v3
	v_sub_u32_e32 v5, v15, v5
	v_subrev_u32_e32 v10, s55, v5
	v_cmp_le_u32_e32 vcc, s55, v5
	v_cndmask_b32_e32 v5, v5, v10, vcc
	v_cndmask_b32_e32 v3, v3, v8, vcc
	v_add_u32_e32 v8, 1, v3
	v_cmp_le_u32_e32 vcc, s55, v5
	v_cndmask_b32_e32 v17, v3, v8, vcc
.LBB40_43:                              ;   in Loop: Header=BB40_23 Depth=2
	s_or_b64 exec, exec, s[0:1]
	s_add_u32 s0, s4, s34
	s_addc_u32 s1, s5, s35
	s_add_i32 s16, s30, 2
	s_lshl_b64 s[34:35], s[16:17], 2
	s_add_u32 s36, s42, s34
	s_addc_u32 s37, s43, s35
	s_load_dword s58, s[36:37], 0x8
	s_load_dword s57, s[0:1], 0x6c
                                        ; implicit-def: $vgpr19_vgpr20
	s_waitcnt lgkmcnt(0)
	s_ashr_i32 s0, s58, 31
	v_or_b32_e32 v3, s0, v18
	v_cmp_ne_u64_e32 vcc, 0, v[2:3]
	s_and_saveexec_b64 s[36:37], vcc
	s_xor_b64 s[36:37], exec, s[36:37]
	s_cbranch_execz .LBB40_45
; %bb.44:                               ;   in Loop: Header=BB40_23 Depth=2
	s_ashr_i32 s38, s0, 31
	s_add_u32 s40, s58, s38
	s_mov_b32 s39, s38
	s_addc_u32 s41, s0, s38
	s_xor_b64 s[40:41], s[40:41], s[38:39]
	v_cvt_f32_u32_e32 v3, s40
	v_cvt_f32_u32_e32 v5, s41
	s_sub_u32 s16, 0, s40
	s_subb_u32 s31, 0, s41
	v_mac_f32_e32 v3, 0x4f800000, v5
	v_rcp_f32_e32 v3, v3
	v_mul_f32_e32 v3, 0x5f7ffffc, v3
	v_mul_f32_e32 v5, 0x2f800000, v3
	v_trunc_f32_e32 v5, v5
	v_mac_f32_e32 v3, 0xcf800000, v5
	v_cvt_u32_f32_e32 v5, v5
	v_cvt_u32_f32_e32 v3, v3
	v_readfirstlane_b32 s39, v5
	v_readfirstlane_b32 s0, v3
	s_mul_i32 s1, s16, s39
	s_mul_hi_u32 s60, s16, s0
	s_mul_i32 s59, s31, s0
	s_add_i32 s1, s60, s1
	s_add_i32 s1, s1, s59
	s_mul_i32 s61, s16, s0
	s_mul_i32 s60, s0, s1
	s_mul_hi_u32 s62, s0, s61
	s_mul_hi_u32 s59, s0, s1
	s_add_u32 s60, s62, s60
	s_addc_u32 s59, 0, s59
	s_mul_hi_u32 s63, s39, s61
	s_mul_i32 s61, s39, s61
	s_add_u32 s60, s60, s61
	s_mul_hi_u32 s62, s39, s1
	s_addc_u32 s59, s59, s63
	s_addc_u32 s60, s62, 0
	s_mul_i32 s1, s39, s1
	s_add_u32 s1, s59, s1
	s_addc_u32 s59, 0, s60
	s_add_u32 s60, s0, s1
	s_cselect_b64 s[0:1], -1, 0
	s_cmp_lg_u64 s[0:1], 0
	s_addc_u32 s39, s39, s59
	s_mul_i32 s0, s16, s39
	s_mul_hi_u32 s1, s16, s60
	s_add_i32 s0, s1, s0
	s_mul_i32 s31, s31, s60
	s_add_i32 s0, s0, s31
	s_mul_i32 s16, s16, s60
	s_mul_hi_u32 s31, s39, s16
	s_mul_i32 s59, s39, s16
	s_mul_i32 s62, s60, s0
	s_mul_hi_u32 s16, s60, s16
	s_mul_hi_u32 s61, s60, s0
	s_add_u32 s16, s16, s62
	s_addc_u32 s61, 0, s61
	s_add_u32 s16, s16, s59
	s_mul_hi_u32 s1, s39, s0
	s_addc_u32 s16, s61, s31
	s_addc_u32 s1, s1, 0
	s_mul_i32 s0, s39, s0
	s_add_u32 s0, s16, s0
	s_addc_u32 s16, 0, s1
	s_add_u32 s31, s60, s0
	s_cselect_b64 s[0:1], -1, 0
	v_ashrrev_i32_e32 v3, 31, v18
	s_cmp_lg_u64 s[0:1], 0
	v_add_co_u32_e32 v5, vcc, v17, v3
	s_addc_u32 s16, s39, s16
	v_xor_b32_e32 v5, v5, v3
	v_addc_co_u32_e32 v8, vcc, v18, v3, vcc
	v_mad_u64_u32 v[18:19], s[0:1], v5, s16, 0
	v_mul_hi_u32 v10, v5, s31
	v_xor_b32_e32 v8, v8, v3
	v_mad_u64_u32 v[20:21], s[0:1], v8, s16, 0
	v_add_co_u32_e32 v10, vcc, v10, v18
	v_addc_co_u32_e32 v12, vcc, 0, v19, vcc
	v_mad_u64_u32 v[18:19], s[0:1], v8, s31, 0
	v_xor_b32_e32 v3, s38, v3
	v_add_co_u32_e32 v10, vcc, v10, v18
	v_addc_co_u32_e32 v10, vcc, v12, v19, vcc
	v_addc_co_u32_e32 v12, vcc, 0, v21, vcc
	v_add_co_u32_e32 v10, vcc, v10, v20
	v_addc_co_u32_e32 v12, vcc, 0, v12, vcc
	v_mul_lo_u32 v14, s41, v10
	v_mul_lo_u32 v16, s40, v12
	v_mad_u64_u32 v[18:19], s[0:1], s40, v10, 0
	v_add3_u32 v14, v19, v16, v14
	v_sub_u32_e32 v16, v8, v14
	v_mov_b32_e32 v19, s41
	v_sub_co_u32_e32 v5, vcc, v5, v18
	v_subb_co_u32_e64 v16, s[0:1], v16, v19, vcc
	v_subrev_co_u32_e64 v18, s[0:1], s40, v5
	v_subbrev_co_u32_e64 v16, s[0:1], 0, v16, s[0:1]
	v_cmp_le_u32_e64 s[0:1], s41, v16
	v_cndmask_b32_e64 v19, 0, -1, s[0:1]
	v_cmp_le_u32_e64 s[0:1], s40, v18
	v_cndmask_b32_e64 v18, 0, -1, s[0:1]
	v_cmp_eq_u32_e64 s[0:1], s41, v16
	v_cndmask_b32_e64 v16, v19, v18, s[0:1]
	v_add_co_u32_e64 v18, s[0:1], 2, v10
	v_subb_co_u32_e32 v8, vcc, v8, v14, vcc
	v_addc_co_u32_e64 v19, s[0:1], 0, v12, s[0:1]
	v_cmp_le_u32_e32 vcc, s41, v8
	v_add_co_u32_e64 v20, s[0:1], 1, v10
	v_cndmask_b32_e64 v14, 0, -1, vcc
	v_cmp_le_u32_e32 vcc, s40, v5
	v_addc_co_u32_e64 v21, s[0:1], 0, v12, s[0:1]
	v_cndmask_b32_e64 v5, 0, -1, vcc
	v_cmp_eq_u32_e32 vcc, s41, v8
	v_cmp_ne_u32_e64 s[0:1], 0, v16
	v_cndmask_b32_e32 v5, v14, v5, vcc
	v_cmp_ne_u32_e32 vcc, 0, v5
	v_cndmask_b32_e64 v8, v20, v18, s[0:1]
	v_cndmask_b32_e64 v16, v21, v19, s[0:1]
	v_cndmask_b32_e32 v8, v10, v8, vcc
	v_cndmask_b32_e32 v5, v12, v16, vcc
	v_xor_b32_e32 v8, v8, v3
	v_xor_b32_e32 v5, v5, v3
	v_sub_co_u32_e32 v19, vcc, v8, v3
	v_subb_co_u32_e32 v20, vcc, v5, v3, vcc
.LBB40_45:                              ;   in Loop: Header=BB40_23 Depth=2
	s_andn2_saveexec_b64 s[0:1], s[36:37]
	s_cbranch_execz .LBB40_47
; %bb.46:                               ;   in Loop: Header=BB40_23 Depth=2
	v_cvt_f32_u32_e32 v3, s58
	s_sub_i32 s16, 0, s58
	v_mov_b32_e32 v20, v2
	v_rcp_iflag_f32_e32 v3, v3
	v_mul_f32_e32 v3, 0x4f7ffffe, v3
	v_cvt_u32_f32_e32 v3, v3
	v_mul_lo_u32 v5, s16, v3
	v_mul_hi_u32 v5, v3, v5
	v_add_u32_e32 v3, v3, v5
	v_mul_hi_u32 v3, v17, v3
	v_mul_lo_u32 v5, v3, s58
	v_add_u32_e32 v8, 1, v3
	v_sub_u32_e32 v5, v17, v5
	v_subrev_u32_e32 v10, s58, v5
	v_cmp_le_u32_e32 vcc, s58, v5
	v_cndmask_b32_e32 v5, v5, v10, vcc
	v_cndmask_b32_e32 v3, v3, v8, vcc
	v_add_u32_e32 v8, 1, v3
	v_cmp_le_u32_e32 vcc, s58, v5
	v_cndmask_b32_e32 v19, v3, v8, vcc
.LBB40_47:                              ;   in Loop: Header=BB40_23 Depth=2
	s_or_b64 exec, exec, s[0:1]
	s_add_u32 s0, s4, s34
	s_addc_u32 s1, s5, s35
	s_add_i32 s16, s30, 1
	s_lshl_b64 s[34:35], s[16:17], 2
	s_add_u32 s36, s42, s34
	s_addc_u32 s37, s43, s35
	s_load_dword s59, s[36:37], 0x8
	s_load_dword s16, s[0:1], 0x6c
                                        ; implicit-def: $vgpr21_vgpr22
	s_waitcnt lgkmcnt(0)
	s_ashr_i32 s0, s59, 31
	v_or_b32_e32 v3, s0, v20
	v_cmp_ne_u64_e32 vcc, 0, v[2:3]
	s_and_saveexec_b64 s[36:37], vcc
	s_xor_b64 s[36:37], exec, s[36:37]
	s_cbranch_execz .LBB40_49
; %bb.48:                               ;   in Loop: Header=BB40_23 Depth=2
	s_ashr_i32 s38, s0, 31
	s_add_u32 s40, s59, s38
	s_mov_b32 s39, s38
	s_addc_u32 s41, s0, s38
	s_xor_b64 s[40:41], s[40:41], s[38:39]
	v_cvt_f32_u32_e32 v3, s40
	v_cvt_f32_u32_e32 v5, s41
	s_sub_u32 s31, 0, s40
	s_subb_u32 s39, 0, s41
	v_mov_b32_e32 v18, s41
	v_mac_f32_e32 v3, 0x4f800000, v5
	v_rcp_f32_e32 v3, v3
	v_mul_f32_e32 v3, 0x5f7ffffc, v3
	v_mul_f32_e32 v5, 0x2f800000, v3
	v_trunc_f32_e32 v5, v5
	v_mac_f32_e32 v3, 0xcf800000, v5
	v_cvt_u32_f32_e32 v5, v5
	v_cvt_u32_f32_e32 v3, v3
	v_readfirstlane_b32 s60, v5
	v_readfirstlane_b32 s0, v3
	s_mul_i32 s1, s31, s60
	s_mul_hi_u32 s62, s31, s0
	s_mul_i32 s61, s39, s0
	s_add_i32 s1, s62, s1
	s_add_i32 s1, s1, s61
	s_mul_i32 s63, s31, s0
	s_mul_i32 s62, s0, s1
	s_mul_hi_u32 s64, s0, s63
	s_mul_hi_u32 s61, s0, s1
	s_add_u32 s62, s64, s62
	s_addc_u32 s61, 0, s61
	s_mul_hi_u32 s65, s60, s63
	s_mul_i32 s63, s60, s63
	s_add_u32 s62, s62, s63
	s_mul_hi_u32 s64, s60, s1
	s_addc_u32 s61, s61, s65
	s_addc_u32 s62, s64, 0
	s_mul_i32 s1, s60, s1
	s_add_u32 s1, s61, s1
	s_addc_u32 s61, 0, s62
	s_add_u32 s62, s0, s1
	s_cselect_b64 s[0:1], -1, 0
	s_cmp_lg_u64 s[0:1], 0
	s_addc_u32 s60, s60, s61
	s_mul_i32 s0, s31, s60
	s_mul_hi_u32 s1, s31, s62
	s_add_i32 s0, s1, s0
	s_mul_i32 s39, s39, s62
	s_add_i32 s0, s0, s39
	s_mul_i32 s31, s31, s62
	s_mul_hi_u32 s39, s60, s31
	s_mul_i32 s61, s60, s31
	s_mul_i32 s64, s62, s0
	s_mul_hi_u32 s31, s62, s31
	s_mul_hi_u32 s63, s62, s0
	s_add_u32 s31, s31, s64
	s_addc_u32 s63, 0, s63
	s_add_u32 s31, s31, s61
	s_mul_hi_u32 s1, s60, s0
	s_addc_u32 s31, s63, s39
	s_addc_u32 s1, s1, 0
	s_mul_i32 s0, s60, s0
	s_add_u32 s0, s31, s0
	s_addc_u32 s31, 0, s1
	s_add_u32 s39, s62, s0
	s_cselect_b64 s[0:1], -1, 0
	v_ashrrev_i32_e32 v3, 31, v20
	s_cmp_lg_u64 s[0:1], 0
	v_add_co_u32_e32 v5, vcc, v19, v3
	s_addc_u32 s31, s60, s31
	v_xor_b32_e32 v5, v5, v3
	v_addc_co_u32_e32 v8, vcc, v20, v3, vcc
	v_mad_u64_u32 v[20:21], s[0:1], v5, s31, 0
	v_mul_hi_u32 v10, v5, s39
	v_xor_b32_e32 v8, v8, v3
	v_mad_u64_u32 v[22:23], s[0:1], v8, s31, 0
	v_add_co_u32_e32 v10, vcc, v10, v20
	v_addc_co_u32_e32 v12, vcc, 0, v21, vcc
	v_mad_u64_u32 v[20:21], s[0:1], v8, s39, 0
	v_xor_b32_e32 v3, s38, v3
	v_add_co_u32_e32 v10, vcc, v10, v20
	v_addc_co_u32_e32 v10, vcc, v12, v21, vcc
	v_addc_co_u32_e32 v12, vcc, 0, v23, vcc
	v_add_co_u32_e32 v10, vcc, v10, v22
	v_addc_co_u32_e32 v12, vcc, 0, v12, vcc
	v_mul_lo_u32 v14, s41, v10
	v_mul_lo_u32 v16, s40, v12
	v_mad_u64_u32 v[20:21], s[0:1], s40, v10, 0
	v_add3_u32 v14, v21, v16, v14
	v_sub_u32_e32 v16, v8, v14
	v_sub_co_u32_e32 v5, vcc, v5, v20
	v_subb_co_u32_e64 v16, s[0:1], v16, v18, vcc
	v_subrev_co_u32_e64 v18, s[0:1], s40, v5
	v_subbrev_co_u32_e64 v16, s[0:1], 0, v16, s[0:1]
	v_cmp_le_u32_e64 s[0:1], s41, v16
	v_cndmask_b32_e64 v20, 0, -1, s[0:1]
	v_cmp_le_u32_e64 s[0:1], s40, v18
	v_cndmask_b32_e64 v18, 0, -1, s[0:1]
	v_cmp_eq_u32_e64 s[0:1], s41, v16
	v_cndmask_b32_e64 v16, v20, v18, s[0:1]
	v_add_co_u32_e64 v18, s[0:1], 2, v10
	v_subb_co_u32_e32 v8, vcc, v8, v14, vcc
	v_addc_co_u32_e64 v20, s[0:1], 0, v12, s[0:1]
	v_cmp_le_u32_e32 vcc, s41, v8
	v_add_co_u32_e64 v21, s[0:1], 1, v10
	v_cndmask_b32_e64 v14, 0, -1, vcc
	v_cmp_le_u32_e32 vcc, s40, v5
	v_addc_co_u32_e64 v22, s[0:1], 0, v12, s[0:1]
	v_cndmask_b32_e64 v5, 0, -1, vcc
	v_cmp_eq_u32_e32 vcc, s41, v8
	v_cmp_ne_u32_e64 s[0:1], 0, v16
	v_cndmask_b32_e32 v5, v14, v5, vcc
	v_cmp_ne_u32_e32 vcc, 0, v5
	v_cndmask_b32_e64 v8, v21, v18, s[0:1]
	v_cndmask_b32_e64 v16, v22, v20, s[0:1]
	v_cndmask_b32_e32 v8, v10, v8, vcc
	v_cndmask_b32_e32 v5, v12, v16, vcc
	v_xor_b32_e32 v8, v8, v3
	v_xor_b32_e32 v5, v5, v3
	v_sub_co_u32_e32 v21, vcc, v8, v3
	v_subb_co_u32_e32 v22, vcc, v5, v3, vcc
.LBB40_49:                              ;   in Loop: Header=BB40_23 Depth=2
	s_andn2_saveexec_b64 s[0:1], s[36:37]
	s_cbranch_execz .LBB40_51
; %bb.50:                               ;   in Loop: Header=BB40_23 Depth=2
	v_cvt_f32_u32_e32 v3, s59
	s_sub_i32 s31, 0, s59
	v_mov_b32_e32 v22, v2
	v_rcp_iflag_f32_e32 v3, v3
	v_mul_f32_e32 v3, 0x4f7ffffe, v3
	v_cvt_u32_f32_e32 v3, v3
	v_mul_lo_u32 v5, s31, v3
	v_mul_hi_u32 v5, v3, v5
	v_add_u32_e32 v3, v3, v5
	v_mul_hi_u32 v3, v19, v3
	v_mul_lo_u32 v5, v3, s59
	v_add_u32_e32 v8, 1, v3
	v_sub_u32_e32 v5, v19, v5
	v_subrev_u32_e32 v10, s59, v5
	v_cmp_le_u32_e32 vcc, s59, v5
	v_cndmask_b32_e32 v5, v5, v10, vcc
	v_cndmask_b32_e32 v3, v3, v8, vcc
	v_add_u32_e32 v8, 1, v3
	v_cmp_le_u32_e32 vcc, s59, v5
	v_cndmask_b32_e32 v21, v3, v8, vcc
.LBB40_51:                              ;   in Loop: Header=BB40_23 Depth=2
	s_or_b64 exec, exec, s[0:1]
	s_add_u32 s0, s4, s34
	s_mov_b32 s31, s17
	s_addc_u32 s1, s5, s35
	s_lshl_b64 s[34:35], s[30:31], 2
	s_add_u32 s36, s42, s34
	s_addc_u32 s37, s43, s35
	s_load_dword s60, s[36:37], 0x8
	s_load_dword s31, s[0:1], 0x6c
                                        ; implicit-def: $vgpr23_vgpr24
	s_waitcnt lgkmcnt(0)
	s_ashr_i32 s0, s60, 31
	v_or_b32_e32 v3, s0, v22
	v_cmp_ne_u64_e32 vcc, 0, v[2:3]
	s_and_saveexec_b64 s[36:37], vcc
	s_xor_b64 s[36:37], exec, s[36:37]
	s_cbranch_execz .LBB40_53
; %bb.52:                               ;   in Loop: Header=BB40_23 Depth=2
	s_ashr_i32 s38, s0, 31
	s_add_u32 s40, s60, s38
	s_mov_b32 s39, s38
	s_addc_u32 s41, s0, s38
	s_xor_b64 s[40:41], s[40:41], s[38:39]
	v_cvt_f32_u32_e32 v3, s40
	v_cvt_f32_u32_e32 v5, s41
	s_sub_u32 s39, 0, s40
	s_subb_u32 s61, 0, s41
	v_mov_b32_e32 v18, s41
	v_mac_f32_e32 v3, 0x4f800000, v5
	v_rcp_f32_e32 v3, v3
	v_mul_f32_e32 v3, 0x5f7ffffc, v3
	v_mul_f32_e32 v5, 0x2f800000, v3
	v_trunc_f32_e32 v5, v5
	v_mac_f32_e32 v3, 0xcf800000, v5
	v_cvt_u32_f32_e32 v5, v5
	v_cvt_u32_f32_e32 v3, v3
	v_readfirstlane_b32 s62, v5
	v_readfirstlane_b32 s0, v3
	s_mul_i32 s1, s39, s62
	s_mul_hi_u32 s64, s39, s0
	s_mul_i32 s63, s61, s0
	s_add_i32 s1, s64, s1
	s_add_i32 s1, s1, s63
	s_mul_i32 s65, s39, s0
	s_mul_i32 s64, s0, s1
	s_mul_hi_u32 s66, s0, s65
	s_mul_hi_u32 s63, s0, s1
	s_add_u32 s64, s66, s64
	s_addc_u32 s63, 0, s63
	s_mul_hi_u32 s67, s62, s65
	s_mul_i32 s65, s62, s65
	s_add_u32 s64, s64, s65
	s_mul_hi_u32 s66, s62, s1
	s_addc_u32 s63, s63, s67
	s_addc_u32 s64, s66, 0
	s_mul_i32 s1, s62, s1
	s_add_u32 s1, s63, s1
	s_addc_u32 s63, 0, s64
	s_add_u32 s64, s0, s1
	s_cselect_b64 s[0:1], -1, 0
	s_cmp_lg_u64 s[0:1], 0
	s_addc_u32 s62, s62, s63
	s_mul_i32 s0, s39, s62
	s_mul_hi_u32 s1, s39, s64
	s_add_i32 s0, s1, s0
	s_mul_i32 s61, s61, s64
	s_add_i32 s0, s0, s61
	s_mul_i32 s39, s39, s64
	s_mul_hi_u32 s61, s62, s39
	s_mul_i32 s63, s62, s39
	s_mul_i32 s66, s64, s0
	s_mul_hi_u32 s39, s64, s39
	s_mul_hi_u32 s65, s64, s0
	s_add_u32 s39, s39, s66
	s_addc_u32 s65, 0, s65
	s_add_u32 s39, s39, s63
	s_mul_hi_u32 s1, s62, s0
	s_addc_u32 s39, s65, s61
	s_addc_u32 s1, s1, 0
	s_mul_i32 s0, s62, s0
	s_add_u32 s0, s39, s0
	s_addc_u32 s39, 0, s1
	s_add_u32 s61, s64, s0
	s_cselect_b64 s[0:1], -1, 0
	v_ashrrev_i32_e32 v3, 31, v22
	s_cmp_lg_u64 s[0:1], 0
	v_add_co_u32_e32 v5, vcc, v21, v3
	s_addc_u32 s39, s62, s39
	v_xor_b32_e32 v5, v5, v3
	v_addc_co_u32_e32 v8, vcc, v22, v3, vcc
	v_mad_u64_u32 v[22:23], s[0:1], v5, s39, 0
	v_mul_hi_u32 v10, v5, s61
	v_xor_b32_e32 v8, v8, v3
	v_mad_u64_u32 v[27:28], s[0:1], v8, s39, 0
	v_add_co_u32_e32 v10, vcc, v10, v22
	v_addc_co_u32_e32 v12, vcc, 0, v23, vcc
	v_mad_u64_u32 v[22:23], s[0:1], v8, s61, 0
	v_xor_b32_e32 v3, s38, v3
	v_add_co_u32_e32 v10, vcc, v10, v22
	v_addc_co_u32_e32 v10, vcc, v12, v23, vcc
	v_addc_co_u32_e32 v12, vcc, 0, v28, vcc
	v_add_co_u32_e32 v10, vcc, v10, v27
	v_addc_co_u32_e32 v12, vcc, 0, v12, vcc
	v_mul_lo_u32 v14, s41, v10
	v_mul_lo_u32 v16, s40, v12
	v_mad_u64_u32 v[22:23], s[0:1], s40, v10, 0
	v_add3_u32 v14, v23, v16, v14
	v_sub_u32_e32 v16, v8, v14
	v_sub_co_u32_e32 v5, vcc, v5, v22
	v_subb_co_u32_e64 v16, s[0:1], v16, v18, vcc
	v_subrev_co_u32_e64 v18, s[0:1], s40, v5
	v_subbrev_co_u32_e64 v16, s[0:1], 0, v16, s[0:1]
	v_cmp_le_u32_e64 s[0:1], s41, v16
	v_cndmask_b32_e64 v20, 0, -1, s[0:1]
	v_cmp_le_u32_e64 s[0:1], s40, v18
	v_cndmask_b32_e64 v18, 0, -1, s[0:1]
	v_cmp_eq_u32_e64 s[0:1], s41, v16
	v_cndmask_b32_e64 v16, v20, v18, s[0:1]
	v_add_co_u32_e64 v18, s[0:1], 2, v10
	v_subb_co_u32_e32 v8, vcc, v8, v14, vcc
	v_addc_co_u32_e64 v20, s[0:1], 0, v12, s[0:1]
	v_cmp_le_u32_e32 vcc, s41, v8
	v_add_co_u32_e64 v22, s[0:1], 1, v10
	v_cndmask_b32_e64 v14, 0, -1, vcc
	v_cmp_le_u32_e32 vcc, s40, v5
	v_addc_co_u32_e64 v23, s[0:1], 0, v12, s[0:1]
	v_cndmask_b32_e64 v5, 0, -1, vcc
	v_cmp_eq_u32_e32 vcc, s41, v8
	v_cmp_ne_u32_e64 s[0:1], 0, v16
	v_cndmask_b32_e32 v5, v14, v5, vcc
	v_cmp_ne_u32_e32 vcc, 0, v5
	v_cndmask_b32_e64 v8, v22, v18, s[0:1]
	v_cndmask_b32_e64 v16, v23, v20, s[0:1]
	v_cndmask_b32_e32 v8, v10, v8, vcc
	v_cndmask_b32_e32 v5, v12, v16, vcc
	v_xor_b32_e32 v8, v8, v3
	v_xor_b32_e32 v5, v5, v3
	v_sub_co_u32_e32 v23, vcc, v8, v3
	v_subb_co_u32_e32 v24, vcc, v5, v3, vcc
.LBB40_53:                              ;   in Loop: Header=BB40_23 Depth=2
	s_andn2_saveexec_b64 s[0:1], s[36:37]
	s_cbranch_execz .LBB40_55
; %bb.54:                               ;   in Loop: Header=BB40_23 Depth=2
	v_cvt_f32_u32_e32 v3, s60
	s_sub_i32 s36, 0, s60
	v_mov_b32_e32 v24, v2
	v_rcp_iflag_f32_e32 v3, v3
	v_mul_f32_e32 v3, 0x4f7ffffe, v3
	v_cvt_u32_f32_e32 v3, v3
	v_mul_lo_u32 v5, s36, v3
	v_mul_hi_u32 v5, v3, v5
	v_add_u32_e32 v3, v3, v5
	v_mul_hi_u32 v3, v21, v3
	v_mul_lo_u32 v5, v3, s60
	v_add_u32_e32 v8, 1, v3
	v_sub_u32_e32 v5, v21, v5
	v_subrev_u32_e32 v10, s60, v5
	v_cmp_le_u32_e32 vcc, s60, v5
	v_cndmask_b32_e32 v5, v5, v10, vcc
	v_cndmask_b32_e32 v3, v3, v8, vcc
	v_add_u32_e32 v8, 1, v3
	v_cmp_le_u32_e32 vcc, s60, v5
	v_cndmask_b32_e32 v23, v3, v8, vcc
.LBB40_55:                              ;   in Loop: Header=BB40_23 Depth=2
	s_or_b64 exec, exec, s[0:1]
	v_mul_lo_u32 v3, v9, s25
	v_mul_lo_u32 v5, v11, s50
	;; [unrolled: 1-line block ×3, first 2 shown]
	s_add_u32 s0, s4, s34
	v_sub_u32_e32 v3, v7, v3
	v_mul_lo_u32 v7, v15, s54
	v_sub_u32_e32 v5, v9, v5
	v_mul_lo_u32 v3, s28, v3
	v_mul_lo_u32 v5, s51, v5
	v_sub_u32_e32 v8, v11, v8
	v_sub_u32_e32 v7, v13, v7
	v_mul_lo_u32 v8, s53, v8
	v_mul_lo_u32 v7, s56, v7
	;; [unrolled: 1-line block ×3, first 2 shown]
	v_add3_u32 v3, v3, v4, v5
	v_mul_lo_u32 v4, v19, s58
	s_addc_u32 s1, s5, s35
	v_add3_u32 v3, v8, v3, v7
	v_mul_lo_u32 v7, v21, s59
	v_mul_lo_u32 v8, v23, s60
	s_load_dword s0, s[0:1], 0x6c
	v_sub_u32_e32 v5, v15, v9
	v_sub_u32_e32 v4, v17, v4
	v_mul_lo_u32 v5, s57, v5
	v_mul_lo_u32 v4, s16, v4
	v_sub_u32_e32 v7, v19, v7
	v_sub_u32_e32 v8, v21, v8
	v_mul_lo_u32 v7, s31, v7
	s_waitcnt lgkmcnt(0)
	v_mul_lo_u32 v8, s0, v8
	v_add3_u32 v3, v5, v3, v4
	s_add_i32 s30, s30, -8
	s_cmp_eq_u32 s30, -8
	v_add3_u32 v4, v7, v3, v8
	s_cbranch_scc1 .LBB40_57
; %bb.56:                               ;   in Loop: Header=BB40_23 Depth=2
	v_mov_b32_e32 v7, v23
	v_mov_b32_e32 v8, v24
	s_branch .LBB40_23
.LBB40_57:                              ;   in Loop: Header=BB40_3 Depth=1
	s_load_dword s16, s[2:3], 0x4
	s_waitcnt lgkmcnt(0)
	v_cmp_gt_i32_e32 vcc, s16, v26
	s_and_b64 exec, exec, vcc
	s_cbranch_execz .LBB40_2
; %bb.58:                               ;   in Loop: Header=BB40_3 Depth=1
	v_ashrrev_i32_e32 v7, 31, v6
	v_cmp_lt_i64_e32 vcc, s[8:9], v[6:7]
	s_and_saveexec_b64 s[0:1], vcc
	s_cbranch_execz .LBB40_60
; %bb.59:                               ;   in Loop: Header=BB40_3 Depth=1
	v_ashrrev_i32_e32 v5, 31, v4
	v_lshlrev_b64 v[5:6], 1, v[4:5]
	v_mov_b32_e32 v3, s13
	v_add_co_u32_e32 v5, vcc, s12, v5
	v_addc_co_u32_e32 v6, vcc, v3, v6, vcc
	global_store_short v[5:6], v2, off
.LBB40_60:                              ;   in Loop: Header=BB40_3 Depth=1
	s_or_b64 exec, exec, s[0:1]
	v_add_u32_e32 v3, 1, v26
	v_cmp_gt_i32_e32 vcc, s16, v3
	s_and_b64 exec, exec, vcc
	s_cbranch_execz .LBB40_2
; %bb.61:                               ;   in Loop: Header=BB40_3 Depth=1
	v_sub_u32_e32 v5, v3, v25
	v_ashrrev_i32_e32 v6, 31, v5
	v_cmp_lt_i64_e32 vcc, s[8:9], v[5:6]
	s_and_saveexec_b64 s[0:1], vcc
	s_cbranch_execz .LBB40_63
; %bb.62:                               ;   in Loop: Header=BB40_3 Depth=1
	v_add_u32_e32 v5, s29, v4
	v_ashrrev_i32_e32 v6, 31, v5
	v_lshlrev_b64 v[5:6], 1, v[5:6]
	v_mov_b32_e32 v3, s13
	v_add_co_u32_e32 v5, vcc, s12, v5
	v_addc_co_u32_e32 v6, vcc, v3, v6, vcc
	global_store_short v[5:6], v2, off
.LBB40_63:                              ;   in Loop: Header=BB40_3 Depth=1
	s_or_b64 exec, exec, s[0:1]
	v_add_u32_e32 v3, 2, v26
	v_cmp_gt_i32_e32 vcc, s16, v3
	s_and_b64 exec, exec, vcc
	s_cbranch_execz .LBB40_2
; %bb.64:                               ;   in Loop: Header=BB40_3 Depth=1
	v_sub_u32_e32 v5, v3, v25
	v_ashrrev_i32_e32 v6, 31, v5
	v_cmp_lt_i64_e32 vcc, s[8:9], v[5:6]
	s_and_saveexec_b64 s[0:1], vcc
	s_cbranch_execz .LBB40_66
; %bb.65:                               ;   in Loop: Header=BB40_3 Depth=1
	v_lshl_add_u32 v5, s29, 1, v4
	v_ashrrev_i32_e32 v6, 31, v5
	v_lshlrev_b64 v[5:6], 1, v[5:6]
	v_mov_b32_e32 v3, s13
	v_add_co_u32_e32 v5, vcc, s12, v5
	v_addc_co_u32_e32 v6, vcc, v3, v6, vcc
	global_store_short v[5:6], v2, off
.LBB40_66:                              ;   in Loop: Header=BB40_3 Depth=1
	s_or_b64 exec, exec, s[0:1]
	v_add_u32_e32 v3, 3, v26
	v_cmp_gt_i32_e32 vcc, s16, v3
	s_and_b64 exec, exec, vcc
	s_cbranch_execz .LBB40_2
; %bb.67:                               ;   in Loop: Header=BB40_3 Depth=1
	v_sub_u32_e32 v5, v3, v25
	v_ashrrev_i32_e32 v6, 31, v5
	v_cmp_lt_i64_e32 vcc, s[8:9], v[5:6]
	s_and_b64 exec, exec, vcc
	s_cbranch_execz .LBB40_2
; %bb.68:                               ;   in Loop: Header=BB40_3 Depth=1
	v_mad_u64_u32 v[3:4], s[0:1], s29, 3, v[4:5]
	v_mov_b32_e32 v5, s13
	v_ashrrev_i32_e32 v4, 31, v3
	v_lshlrev_b64 v[3:4], 1, v[3:4]
	v_add_co_u32_e32 v3, vcc, s12, v3
	v_addc_co_u32_e32 v4, vcc, v5, v4, vcc
	global_store_short v[3:4], v2, off
	s_branch .LBB40_2
.LBB40_69:
	s_endpgm
	.section	.rodata,"a",@progbits
	.p2align	6, 0x0
	.amdhsa_kernel _ZN2at6native16triu_tril_kernelIN3c104HalfEiLb0ELi4ELb1EEEvNS_4cuda6detail10TensorInfoIT_T0_EENS6_IKS7_S8_EEllS8_
		.amdhsa_group_segment_fixed_size 0
		.amdhsa_private_segment_fixed_size 0
		.amdhsa_kernarg_size 712
		.amdhsa_user_sgpr_count 6
		.amdhsa_user_sgpr_private_segment_buffer 1
		.amdhsa_user_sgpr_dispatch_ptr 0
		.amdhsa_user_sgpr_queue_ptr 0
		.amdhsa_user_sgpr_kernarg_segment_ptr 1
		.amdhsa_user_sgpr_dispatch_id 0
		.amdhsa_user_sgpr_flat_scratch_init 0
		.amdhsa_user_sgpr_private_segment_size 0
		.amdhsa_uses_dynamic_stack 0
		.amdhsa_system_sgpr_private_segment_wavefront_offset 0
		.amdhsa_system_sgpr_workgroup_id_x 1
		.amdhsa_system_sgpr_workgroup_id_y 0
		.amdhsa_system_sgpr_workgroup_id_z 0
		.amdhsa_system_sgpr_workgroup_info 0
		.amdhsa_system_vgpr_workitem_id 0
		.amdhsa_next_free_vgpr 29
		.amdhsa_next_free_sgpr 68
		.amdhsa_reserve_vcc 1
		.amdhsa_reserve_flat_scratch 0
		.amdhsa_float_round_mode_32 0
		.amdhsa_float_round_mode_16_64 0
		.amdhsa_float_denorm_mode_32 3
		.amdhsa_float_denorm_mode_16_64 3
		.amdhsa_dx10_clamp 1
		.amdhsa_ieee_mode 1
		.amdhsa_fp16_overflow 0
		.amdhsa_exception_fp_ieee_invalid_op 0
		.amdhsa_exception_fp_denorm_src 0
		.amdhsa_exception_fp_ieee_div_zero 0
		.amdhsa_exception_fp_ieee_overflow 0
		.amdhsa_exception_fp_ieee_underflow 0
		.amdhsa_exception_fp_ieee_inexact 0
		.amdhsa_exception_int_div_zero 0
	.end_amdhsa_kernel
	.section	.text._ZN2at6native16triu_tril_kernelIN3c104HalfEiLb0ELi4ELb1EEEvNS_4cuda6detail10TensorInfoIT_T0_EENS6_IKS7_S8_EEllS8_,"axG",@progbits,_ZN2at6native16triu_tril_kernelIN3c104HalfEiLb0ELi4ELb1EEEvNS_4cuda6detail10TensorInfoIT_T0_EENS6_IKS7_S8_EEllS8_,comdat
.Lfunc_end40:
	.size	_ZN2at6native16triu_tril_kernelIN3c104HalfEiLb0ELi4ELb1EEEvNS_4cuda6detail10TensorInfoIT_T0_EENS6_IKS7_S8_EEllS8_, .Lfunc_end40-_ZN2at6native16triu_tril_kernelIN3c104HalfEiLb0ELi4ELb1EEEvNS_4cuda6detail10TensorInfoIT_T0_EENS6_IKS7_S8_EEllS8_
                                        ; -- End function
	.set _ZN2at6native16triu_tril_kernelIN3c104HalfEiLb0ELi4ELb1EEEvNS_4cuda6detail10TensorInfoIT_T0_EENS6_IKS7_S8_EEllS8_.num_vgpr, 29
	.set _ZN2at6native16triu_tril_kernelIN3c104HalfEiLb0ELi4ELb1EEEvNS_4cuda6detail10TensorInfoIT_T0_EENS6_IKS7_S8_EEllS8_.num_agpr, 0
	.set _ZN2at6native16triu_tril_kernelIN3c104HalfEiLb0ELi4ELb1EEEvNS_4cuda6detail10TensorInfoIT_T0_EENS6_IKS7_S8_EEllS8_.numbered_sgpr, 68
	.set _ZN2at6native16triu_tril_kernelIN3c104HalfEiLb0ELi4ELb1EEEvNS_4cuda6detail10TensorInfoIT_T0_EENS6_IKS7_S8_EEllS8_.num_named_barrier, 0
	.set _ZN2at6native16triu_tril_kernelIN3c104HalfEiLb0ELi4ELb1EEEvNS_4cuda6detail10TensorInfoIT_T0_EENS6_IKS7_S8_EEllS8_.private_seg_size, 0
	.set _ZN2at6native16triu_tril_kernelIN3c104HalfEiLb0ELi4ELb1EEEvNS_4cuda6detail10TensorInfoIT_T0_EENS6_IKS7_S8_EEllS8_.uses_vcc, 1
	.set _ZN2at6native16triu_tril_kernelIN3c104HalfEiLb0ELi4ELb1EEEvNS_4cuda6detail10TensorInfoIT_T0_EENS6_IKS7_S8_EEllS8_.uses_flat_scratch, 0
	.set _ZN2at6native16triu_tril_kernelIN3c104HalfEiLb0ELi4ELb1EEEvNS_4cuda6detail10TensorInfoIT_T0_EENS6_IKS7_S8_EEllS8_.has_dyn_sized_stack, 0
	.set _ZN2at6native16triu_tril_kernelIN3c104HalfEiLb0ELi4ELb1EEEvNS_4cuda6detail10TensorInfoIT_T0_EENS6_IKS7_S8_EEllS8_.has_recursion, 0
	.set _ZN2at6native16triu_tril_kernelIN3c104HalfEiLb0ELi4ELb1EEEvNS_4cuda6detail10TensorInfoIT_T0_EENS6_IKS7_S8_EEllS8_.has_indirect_call, 0
	.section	.AMDGPU.csdata,"",@progbits
; Kernel info:
; codeLenInByte = 9500
; TotalNumSgprs: 72
; NumVgprs: 29
; ScratchSize: 0
; MemoryBound: 0
; FloatMode: 240
; IeeeMode: 1
; LDSByteSize: 0 bytes/workgroup (compile time only)
; SGPRBlocks: 8
; VGPRBlocks: 7
; NumSGPRsForWavesPerEU: 72
; NumVGPRsForWavesPerEU: 29
; Occupancy: 8
; WaveLimiterHint : 0
; COMPUTE_PGM_RSRC2:SCRATCH_EN: 0
; COMPUTE_PGM_RSRC2:USER_SGPR: 6
; COMPUTE_PGM_RSRC2:TRAP_HANDLER: 0
; COMPUTE_PGM_RSRC2:TGID_X_EN: 1
; COMPUTE_PGM_RSRC2:TGID_Y_EN: 0
; COMPUTE_PGM_RSRC2:TGID_Z_EN: 0
; COMPUTE_PGM_RSRC2:TIDIG_COMP_CNT: 0
	.section	.text._ZN2at6native16triu_tril_kernelIN3c104HalfEiLb0ELi4ELb0EEEvNS_4cuda6detail10TensorInfoIT_T0_EENS6_IKS7_S8_EEllS8_,"axG",@progbits,_ZN2at6native16triu_tril_kernelIN3c104HalfEiLb0ELi4ELb0EEEvNS_4cuda6detail10TensorInfoIT_T0_EENS6_IKS7_S8_EEllS8_,comdat
	.protected	_ZN2at6native16triu_tril_kernelIN3c104HalfEiLb0ELi4ELb0EEEvNS_4cuda6detail10TensorInfoIT_T0_EENS6_IKS7_S8_EEllS8_ ; -- Begin function _ZN2at6native16triu_tril_kernelIN3c104HalfEiLb0ELi4ELb0EEEvNS_4cuda6detail10TensorInfoIT_T0_EENS6_IKS7_S8_EEllS8_
	.globl	_ZN2at6native16triu_tril_kernelIN3c104HalfEiLb0ELi4ELb0EEEvNS_4cuda6detail10TensorInfoIT_T0_EENS6_IKS7_S8_EEllS8_
	.p2align	8
	.type	_ZN2at6native16triu_tril_kernelIN3c104HalfEiLb0ELi4ELb0EEEvNS_4cuda6detail10TensorInfoIT_T0_EENS6_IKS7_S8_EEllS8_,@function
_ZN2at6native16triu_tril_kernelIN3c104HalfEiLb0ELi4ELb0EEEvNS_4cuda6detail10TensorInfoIT_T0_EENS6_IKS7_S8_EEllS8_: ; @_ZN2at6native16triu_tril_kernelIN3c104HalfEiLb0ELi4ELb0EEEvNS_4cuda6detail10TensorInfoIT_T0_EENS6_IKS7_S8_EEllS8_
; %bb.0:
	s_load_dword s2, s[4:5], 0x1d4
	s_load_dwordx4 s[8:11], s[4:5], 0x1b0
	s_add_u32 s0, s4, 0x1c8
	v_mov_b32_e32 v2, 0
	s_addc_u32 s1, s5, 0
	s_waitcnt lgkmcnt(0)
	s_and_b32 s12, s2, 0xffff
	v_mov_b32_e32 v1, v2
	v_mov_b32_e32 v3, s6
	v_mad_u64_u32 v[0:1], s[2:3], s12, v3, v[0:1]
	v_lshlrev_b64 v[0:1], 2, v[0:1]
	v_cmp_gt_i64_e32 vcc, s[10:11], v[0:1]
	s_and_saveexec_b64 s[2:3], vcc
	s_cbranch_execz .LBB41_54
; %bb.1:
	s_load_dword s33, s[4:5], 0x1c0
	s_load_dwordx2 s[2:3], s[4:5], 0xd8
	s_load_dwordx2 s[18:19], s[4:5], 0x0
	s_load_dword s20, s[4:5], 0x1a8
	s_load_dword s13, s[0:1], 0x0
	s_add_u32 s46, s4, 0xd8
	s_addc_u32 s47, s5, 0
	s_waitcnt lgkmcnt(0)
	s_ashr_i32 s48, s33, 31
	s_ashr_i32 s21, s20, 31
	s_lshl_b64 s[0:1], s[20:21], 2
	s_add_u32 s16, s46, s0
	s_addc_u32 s17, s47, s1
	s_load_dwordx2 s[6:7], s[16:17], 0x0
	s_load_dwordx2 s[14:15], s[16:17], 0x64
	s_mul_i32 s22, s13, s12
	v_cmp_gt_i64_e64 s[12:13], s[20:21], 2
	s_mov_b32 s21, 0
	s_waitcnt lgkmcnt(0)
	s_ashr_i32 s49, s6, 31
	s_add_u32 s0, s4, s0
	s_addc_u32 s1, s5, s1
	s_load_dwordx2 s[16:17], s[0:1], 0x64
	s_add_i32 s50, s20, -3
	s_lshl_b32 s51, s22, 2
	s_and_b32 s52, s20, 3
	s_cmp_lg_u32 s52, 2
	s_cselect_b64 s[22:23], -1, 0
	s_cmp_gt_u32 s50, 2
	s_cselect_b64 s[24:25], -1, 0
	s_ashr_i32 s27, s15, 31
	s_mov_b32 s26, s15
	s_add_i32 s15, s15, s15
	s_waitcnt lgkmcnt(0)
	s_ashr_i32 s29, s17, 31
	s_mov_b32 s28, s17
	s_add_i32 s17, s17, s17
	s_mov_b64 s[30:31], 0
	s_ashr_i32 s34, s48, 31
	s_branch .LBB41_3
.LBB41_2:                               ;   in Loop: Header=BB41_3 Depth=1
	s_or_b64 exec, exec, s[0:1]
	v_add_co_u32_e32 v0, vcc, s51, v0
	v_addc_co_u32_e32 v1, vcc, 0, v1, vcc
	v_cmp_le_i64_e32 vcc, s[10:11], v[0:1]
	s_or_b64 s[30:31], vcc, s[30:31]
	s_andn2_b64 exec, exec, s[30:31]
	s_cbranch_execz .LBB41_54
.LBB41_3:                               ; =>This Loop Header: Depth=1
                                        ;     Child Loop BB41_13 Depth 2
                                        ;     Child Loop BB41_21 Depth 2
	v_or_b32_e32 v3, s48, v1
	v_cmp_ne_u64_e32 vcc, 0, v[2:3]
                                        ; implicit-def: $vgpr4_vgpr5
	s_and_saveexec_b64 s[0:1], vcc
	s_xor_b64 s[36:37], exec, s[0:1]
	s_cbranch_execz .LBB41_5
; %bb.4:                                ;   in Loop: Header=BB41_3 Depth=1
	s_add_u32 s0, s33, s34
	s_mov_b32 s35, s34
	s_addc_u32 s1, s48, s34
	s_xor_b64 s[38:39], s[0:1], s[34:35]
	v_cvt_f32_u32_e32 v3, s38
	v_cvt_f32_u32_e32 v4, s39
	s_sub_u32 s20, 0, s38
	s_subb_u32 s35, 0, s39
	v_ashrrev_i32_e32 v7, 31, v1
	v_mac_f32_e32 v3, 0x4f800000, v4
	v_rcp_f32_e32 v3, v3
	v_mul_f32_e32 v3, 0x5f7ffffc, v3
	v_mul_f32_e32 v4, 0x2f800000, v3
	v_trunc_f32_e32 v4, v4
	v_mac_f32_e32 v3, 0xcf800000, v4
	v_cvt_u32_f32_e32 v4, v4
	v_cvt_u32_f32_e32 v3, v3
	v_readfirstlane_b32 s40, v4
	v_readfirstlane_b32 s0, v3
	s_mul_i32 s1, s20, s40
	s_mul_hi_u32 s42, s20, s0
	s_mul_i32 s41, s35, s0
	s_add_i32 s1, s42, s1
	s_add_i32 s1, s1, s41
	s_mul_i32 s43, s20, s0
	s_mul_i32 s42, s0, s1
	s_mul_hi_u32 s44, s0, s43
	s_mul_hi_u32 s41, s0, s1
	s_add_u32 s42, s44, s42
	s_addc_u32 s41, 0, s41
	s_mul_hi_u32 s45, s40, s43
	s_mul_i32 s43, s40, s43
	s_add_u32 s42, s42, s43
	s_mul_hi_u32 s44, s40, s1
	s_addc_u32 s41, s41, s45
	s_addc_u32 s42, s44, 0
	s_mul_i32 s1, s40, s1
	s_add_u32 s1, s41, s1
	s_addc_u32 s41, 0, s42
	s_add_u32 s42, s0, s1
	s_cselect_b64 s[0:1], -1, 0
	s_cmp_lg_u64 s[0:1], 0
	s_addc_u32 s40, s40, s41
	s_mul_i32 s0, s20, s40
	s_mul_hi_u32 s1, s20, s42
	s_add_i32 s0, s1, s0
	s_mul_i32 s35, s35, s42
	s_add_i32 s0, s0, s35
	s_mul_i32 s20, s20, s42
	s_mul_hi_u32 s35, s40, s20
	s_mul_i32 s41, s40, s20
	s_mul_i32 s44, s42, s0
	s_mul_hi_u32 s20, s42, s20
	s_mul_hi_u32 s43, s42, s0
	s_add_u32 s20, s20, s44
	s_addc_u32 s43, 0, s43
	s_add_u32 s20, s20, s41
	s_mul_hi_u32 s1, s40, s0
	s_addc_u32 s20, s43, s35
	s_addc_u32 s1, s1, 0
	s_mul_i32 s0, s40, s0
	s_add_u32 s0, s20, s0
	s_addc_u32 s20, 0, s1
	s_add_u32 s35, s42, s0
	s_cselect_b64 s[0:1], -1, 0
	s_cmp_lg_u64 s[0:1], 0
	v_add_co_u32_e32 v3, vcc, v0, v7
	s_addc_u32 s20, s40, s20
	v_xor_b32_e32 v8, v3, v7
	v_mad_u64_u32 v[3:4], s[0:1], v8, s20, 0
	v_mul_hi_u32 v6, v8, s35
	v_addc_co_u32_e32 v5, vcc, v1, v7, vcc
	v_xor_b32_e32 v9, v5, v7
	v_add_co_u32_e32 v10, vcc, v6, v3
	v_addc_co_u32_e32 v11, vcc, 0, v4, vcc
	v_mad_u64_u32 v[3:4], s[0:1], v9, s35, 0
	v_mad_u64_u32 v[5:6], s[0:1], v9, s20, 0
	v_add_co_u32_e32 v3, vcc, v10, v3
	v_addc_co_u32_e32 v3, vcc, v11, v4, vcc
	v_addc_co_u32_e32 v4, vcc, 0, v6, vcc
	v_add_co_u32_e32 v5, vcc, v3, v5
	v_addc_co_u32_e32 v6, vcc, 0, v4, vcc
	v_mul_lo_u32 v10, s39, v5
	v_mul_lo_u32 v11, s38, v6
	v_mad_u64_u32 v[3:4], s[0:1], s38, v5, 0
	v_add3_u32 v4, v4, v11, v10
	v_sub_u32_e32 v10, v9, v4
	v_mov_b32_e32 v11, s39
	v_sub_co_u32_e32 v3, vcc, v8, v3
	v_subb_co_u32_e64 v8, s[0:1], v10, v11, vcc
	v_subrev_co_u32_e64 v10, s[0:1], s38, v3
	v_subbrev_co_u32_e64 v8, s[0:1], 0, v8, s[0:1]
	v_cmp_le_u32_e64 s[0:1], s39, v8
	v_cndmask_b32_e64 v11, 0, -1, s[0:1]
	v_cmp_le_u32_e64 s[0:1], s38, v10
	v_cndmask_b32_e64 v10, 0, -1, s[0:1]
	v_cmp_eq_u32_e64 s[0:1], s39, v8
	v_cndmask_b32_e64 v8, v11, v10, s[0:1]
	v_add_co_u32_e64 v10, s[0:1], 2, v5
	v_subb_co_u32_e32 v4, vcc, v9, v4, vcc
	v_addc_co_u32_e64 v11, s[0:1], 0, v6, s[0:1]
	v_cmp_le_u32_e32 vcc, s39, v4
	v_add_co_u32_e64 v12, s[0:1], 1, v5
	v_cndmask_b32_e64 v9, 0, -1, vcc
	v_cmp_le_u32_e32 vcc, s38, v3
	v_addc_co_u32_e64 v13, s[0:1], 0, v6, s[0:1]
	v_cndmask_b32_e64 v3, 0, -1, vcc
	v_cmp_eq_u32_e32 vcc, s39, v4
	v_cmp_ne_u32_e64 s[0:1], 0, v8
	v_cndmask_b32_e32 v3, v9, v3, vcc
	v_cmp_ne_u32_e32 vcc, 0, v3
	v_cndmask_b32_e64 v4, v12, v10, s[0:1]
	v_cndmask_b32_e64 v8, v13, v11, s[0:1]
	v_cndmask_b32_e32 v4, v5, v4, vcc
	v_xor_b32_e32 v5, s34, v7
	v_cndmask_b32_e32 v3, v6, v8, vcc
	v_xor_b32_e32 v4, v4, v5
	v_xor_b32_e32 v3, v3, v5
	v_sub_co_u32_e32 v4, vcc, v4, v5
	v_subb_co_u32_e32 v5, vcc, v3, v5, vcc
.LBB41_5:                               ;   in Loop: Header=BB41_3 Depth=1
	s_andn2_saveexec_b64 s[0:1], s[36:37]
	s_cbranch_execz .LBB41_7
; %bb.6:                                ;   in Loop: Header=BB41_3 Depth=1
	v_cvt_f32_u32_e32 v3, s33
	s_sub_i32 s20, 0, s33
	v_rcp_iflag_f32_e32 v3, v3
	v_mul_f32_e32 v3, 0x4f7ffffe, v3
	v_cvt_u32_f32_e32 v3, v3
	v_mul_lo_u32 v4, s20, v3
	v_mul_hi_u32 v4, v3, v4
	v_add_u32_e32 v3, v3, v4
	v_mul_hi_u32 v3, v0, v3
	v_mul_lo_u32 v4, v3, s33
	v_add_u32_e32 v5, 1, v3
	v_sub_u32_e32 v4, v0, v4
	v_subrev_u32_e32 v6, s33, v4
	v_cmp_le_u32_e32 vcc, s33, v4
	v_cndmask_b32_e32 v4, v4, v6, vcc
	v_cndmask_b32_e32 v3, v3, v5, vcc
	v_add_u32_e32 v5, 1, v3
	v_cmp_le_u32_e32 vcc, s33, v4
	v_cndmask_b32_e32 v4, v3, v5, vcc
	v_mov_b32_e32 v5, v2
.LBB41_7:                               ;   in Loop: Header=BB41_3 Depth=1
	s_or_b64 exec, exec, s[0:1]
	v_or_b32_e32 v3, s49, v5
	v_cmp_ne_u64_e32 vcc, 0, v[2:3]
                                        ; implicit-def: $vgpr8_vgpr9
	s_and_saveexec_b64 s[0:1], vcc
	s_xor_b64 s[36:37], exec, s[0:1]
	s_cbranch_execz .LBB41_9
; %bb.8:                                ;   in Loop: Header=BB41_3 Depth=1
	s_ashr_i32 s38, s49, 31
	s_add_u32 s0, s6, s38
	s_mov_b32 s39, s38
	s_addc_u32 s1, s49, s38
	s_xor_b64 s[40:41], s[0:1], s[38:39]
	v_cvt_f32_u32_e32 v3, s40
	v_cvt_f32_u32_e32 v6, s41
	s_sub_u32 s20, 0, s40
	s_subb_u32 s35, 0, s41
	v_mac_f32_e32 v3, 0x4f800000, v6
	v_rcp_f32_e32 v3, v3
	v_mul_f32_e32 v3, 0x5f7ffffc, v3
	v_mul_f32_e32 v6, 0x2f800000, v3
	v_trunc_f32_e32 v6, v6
	v_mac_f32_e32 v3, 0xcf800000, v6
	v_cvt_u32_f32_e32 v6, v6
	v_cvt_u32_f32_e32 v3, v3
	v_readfirstlane_b32 s39, v6
	v_readfirstlane_b32 s0, v3
	s_mul_i32 s1, s20, s39
	s_mul_hi_u32 s43, s20, s0
	s_mul_i32 s42, s35, s0
	s_add_i32 s1, s43, s1
	s_add_i32 s1, s1, s42
	s_mul_i32 s44, s20, s0
	s_mul_i32 s43, s0, s1
	s_mul_hi_u32 s45, s0, s44
	s_mul_hi_u32 s42, s0, s1
	s_add_u32 s43, s45, s43
	s_addc_u32 s42, 0, s42
	s_mul_hi_u32 s53, s39, s44
	s_mul_i32 s44, s39, s44
	s_add_u32 s43, s43, s44
	s_mul_hi_u32 s45, s39, s1
	s_addc_u32 s42, s42, s53
	s_addc_u32 s43, s45, 0
	s_mul_i32 s1, s39, s1
	s_add_u32 s1, s42, s1
	s_addc_u32 s42, 0, s43
	s_add_u32 s43, s0, s1
	s_cselect_b64 s[0:1], -1, 0
	s_cmp_lg_u64 s[0:1], 0
	s_addc_u32 s39, s39, s42
	s_mul_i32 s0, s20, s39
	s_mul_hi_u32 s1, s20, s43
	s_add_i32 s0, s1, s0
	s_mul_i32 s35, s35, s43
	s_add_i32 s0, s0, s35
	s_mul_i32 s20, s20, s43
	s_mul_hi_u32 s35, s39, s20
	s_mul_i32 s42, s39, s20
	s_mul_i32 s45, s43, s0
	s_mul_hi_u32 s20, s43, s20
	s_mul_hi_u32 s44, s43, s0
	s_add_u32 s20, s20, s45
	s_addc_u32 s44, 0, s44
	s_add_u32 s20, s20, s42
	s_mul_hi_u32 s1, s39, s0
	s_addc_u32 s20, s44, s35
	s_addc_u32 s1, s1, 0
	s_mul_i32 s0, s39, s0
	s_add_u32 s0, s20, s0
	s_addc_u32 s20, 0, s1
	s_add_u32 s35, s43, s0
	s_cselect_b64 s[0:1], -1, 0
	v_ashrrev_i32_e32 v3, 31, v5
	s_cmp_lg_u64 s[0:1], 0
	v_add_co_u32_e32 v6, vcc, v4, v3
	s_addc_u32 s20, s39, s20
	v_xor_b32_e32 v9, v6, v3
	v_addc_co_u32_e32 v7, vcc, v5, v3, vcc
	v_mad_u64_u32 v[5:6], s[0:1], v9, s20, 0
	v_mul_hi_u32 v8, v9, s35
	v_xor_b32_e32 v10, v7, v3
	v_xor_b32_e32 v3, s38, v3
	v_add_co_u32_e32 v11, vcc, v8, v5
	v_addc_co_u32_e32 v12, vcc, 0, v6, vcc
	v_mad_u64_u32 v[5:6], s[0:1], v10, s35, 0
	v_mad_u64_u32 v[7:8], s[0:1], v10, s20, 0
	v_add_co_u32_e32 v5, vcc, v11, v5
	v_addc_co_u32_e32 v5, vcc, v12, v6, vcc
	v_addc_co_u32_e32 v6, vcc, 0, v8, vcc
	v_add_co_u32_e32 v7, vcc, v5, v7
	v_addc_co_u32_e32 v8, vcc, 0, v6, vcc
	v_mul_lo_u32 v11, s41, v7
	v_mul_lo_u32 v12, s40, v8
	v_mad_u64_u32 v[5:6], s[0:1], s40, v7, 0
	v_add3_u32 v6, v6, v12, v11
	v_sub_u32_e32 v11, v10, v6
	v_mov_b32_e32 v12, s41
	v_sub_co_u32_e32 v5, vcc, v9, v5
	v_subb_co_u32_e64 v9, s[0:1], v11, v12, vcc
	v_subrev_co_u32_e64 v11, s[0:1], s40, v5
	v_subbrev_co_u32_e64 v9, s[0:1], 0, v9, s[0:1]
	v_cmp_le_u32_e64 s[0:1], s41, v9
	v_cndmask_b32_e64 v12, 0, -1, s[0:1]
	v_cmp_le_u32_e64 s[0:1], s40, v11
	v_cndmask_b32_e64 v11, 0, -1, s[0:1]
	v_cmp_eq_u32_e64 s[0:1], s41, v9
	v_cndmask_b32_e64 v9, v12, v11, s[0:1]
	v_add_co_u32_e64 v11, s[0:1], 2, v7
	v_subb_co_u32_e32 v6, vcc, v10, v6, vcc
	v_addc_co_u32_e64 v12, s[0:1], 0, v8, s[0:1]
	v_cmp_le_u32_e32 vcc, s41, v6
	v_add_co_u32_e64 v13, s[0:1], 1, v7
	v_cndmask_b32_e64 v10, 0, -1, vcc
	v_cmp_le_u32_e32 vcc, s40, v5
	v_addc_co_u32_e64 v14, s[0:1], 0, v8, s[0:1]
	v_cndmask_b32_e64 v5, 0, -1, vcc
	v_cmp_eq_u32_e32 vcc, s41, v6
	v_cmp_ne_u32_e64 s[0:1], 0, v9
	v_cndmask_b32_e32 v5, v10, v5, vcc
	v_cmp_ne_u32_e32 vcc, 0, v5
	v_cndmask_b32_e64 v6, v13, v11, s[0:1]
	v_cndmask_b32_e64 v9, v14, v12, s[0:1]
	v_cndmask_b32_e32 v6, v7, v6, vcc
	v_cndmask_b32_e32 v5, v8, v9, vcc
	v_xor_b32_e32 v6, v6, v3
	v_xor_b32_e32 v5, v5, v3
	v_sub_co_u32_e32 v8, vcc, v6, v3
	v_subb_co_u32_e32 v9, vcc, v5, v3, vcc
.LBB41_9:                               ;   in Loop: Header=BB41_3 Depth=1
	s_andn2_saveexec_b64 s[0:1], s[36:37]
	s_cbranch_execz .LBB41_11
; %bb.10:                               ;   in Loop: Header=BB41_3 Depth=1
	v_cvt_f32_u32_e32 v3, s6
	s_sub_i32 s20, 0, s6
	v_mov_b32_e32 v9, v2
	v_rcp_iflag_f32_e32 v3, v3
	v_mul_f32_e32 v3, 0x4f7ffffe, v3
	v_cvt_u32_f32_e32 v3, v3
	v_mul_lo_u32 v5, s20, v3
	v_mul_hi_u32 v5, v3, v5
	v_add_u32_e32 v3, v3, v5
	v_mul_hi_u32 v3, v4, v3
	v_mul_lo_u32 v5, v3, s6
	v_add_u32_e32 v6, 1, v3
	v_sub_u32_e32 v5, v4, v5
	v_subrev_u32_e32 v7, s6, v5
	v_cmp_le_u32_e32 vcc, s6, v5
	v_cndmask_b32_e32 v5, v5, v7, vcc
	v_cndmask_b32_e32 v3, v3, v6, vcc
	v_add_u32_e32 v6, 1, v3
	v_cmp_le_u32_e32 vcc, s6, v5
	v_cndmask_b32_e32 v8, v3, v6, vcc
.LBB41_11:                              ;   in Loop: Header=BB41_3 Depth=1
	s_or_b64 exec, exec, s[0:1]
	v_mad_u64_u32 v[5:6], s[0:1], v4, s33, 0
	v_mad_u64_u32 v[6:7], s[0:1], v8, s6, 0
	v_sub_co_u32_e32 v18, vcc, v0, v5
	v_mul_lo_u32 v3, s26, v18
	v_sub_co_u32_e32 v19, vcc, v4, v6
	v_mul_lo_u32 v4, s28, v18
	s_andn2_b64 vcc, exec, s[12:13]
	v_mad_u64_u32 v[6:7], s[0:1], s14, v19, v[3:4]
	v_mad_u64_u32 v[4:5], s[0:1], s16, v19, v[4:5]
	s_cbranch_vccnz .LBB41_39
; %bb.12:                               ;   in Loop: Header=BB41_3 Depth=1
	s_mov_b32 s35, 1
	s_andn2_b64 vcc, exec, s[22:23]
	s_mov_b32 s20, s50
	s_mov_b32 s0, s50
	s_cbranch_vccnz .LBB41_20
.LBB41_13:                              ;   Parent Loop BB41_3 Depth=1
                                        ; =>  This Inner Loop Header: Depth=2
	s_lshl_b64 s[36:37], s[20:21], 2
	s_add_u32 s38, s46, s36
	s_addc_u32 s39, s47, s37
	s_load_dword s53, s[38:39], 0x8
                                        ; implicit-def: $vgpr10_vgpr11
	s_waitcnt lgkmcnt(0)
	s_ashr_i32 s0, s53, 31
	v_or_b32_e32 v3, s0, v9
	v_cmp_ne_u64_e32 vcc, 0, v[2:3]
	s_and_saveexec_b64 s[40:41], vcc
	s_xor_b64 s[40:41], exec, s[40:41]
	s_cbranch_execz .LBB41_15
; %bb.14:                               ;   in Loop: Header=BB41_13 Depth=2
	s_ashr_i32 s42, s0, 31
	s_add_u32 s44, s53, s42
	s_mov_b32 s43, s42
	s_addc_u32 s45, s0, s42
	s_xor_b64 s[44:45], s[44:45], s[42:43]
	v_cvt_f32_u32_e32 v3, s44
	v_cvt_f32_u32_e32 v5, s45
	s_sub_u32 s43, 0, s44
	s_subb_u32 s54, 0, s45
	v_mac_f32_e32 v3, 0x4f800000, v5
	v_rcp_f32_e32 v3, v3
	v_mul_f32_e32 v3, 0x5f7ffffc, v3
	v_mul_f32_e32 v5, 0x2f800000, v3
	v_trunc_f32_e32 v5, v5
	v_mac_f32_e32 v3, 0xcf800000, v5
	v_cvt_u32_f32_e32 v5, v5
	v_cvt_u32_f32_e32 v3, v3
	v_readfirstlane_b32 s55, v5
	v_readfirstlane_b32 s0, v3
	s_mul_i32 s1, s43, s55
	s_mul_hi_u32 s57, s43, s0
	s_mul_i32 s56, s54, s0
	s_add_i32 s1, s57, s1
	s_add_i32 s1, s1, s56
	s_mul_i32 s58, s43, s0
	s_mul_i32 s57, s0, s1
	s_mul_hi_u32 s59, s0, s58
	s_mul_hi_u32 s56, s0, s1
	s_add_u32 s57, s59, s57
	s_addc_u32 s56, 0, s56
	s_mul_hi_u32 s60, s55, s58
	s_mul_i32 s58, s55, s58
	s_add_u32 s57, s57, s58
	s_mul_hi_u32 s59, s55, s1
	s_addc_u32 s56, s56, s60
	s_addc_u32 s57, s59, 0
	s_mul_i32 s1, s55, s1
	s_add_u32 s1, s56, s1
	s_addc_u32 s56, 0, s57
	s_add_u32 s57, s0, s1
	s_cselect_b64 s[0:1], -1, 0
	s_cmp_lg_u64 s[0:1], 0
	s_addc_u32 s55, s55, s56
	s_mul_i32 s0, s43, s55
	s_mul_hi_u32 s1, s43, s57
	s_add_i32 s0, s1, s0
	s_mul_i32 s54, s54, s57
	s_add_i32 s0, s0, s54
	s_mul_i32 s43, s43, s57
	s_mul_hi_u32 s54, s55, s43
	s_mul_i32 s56, s55, s43
	s_mul_i32 s59, s57, s0
	s_mul_hi_u32 s43, s57, s43
	s_mul_hi_u32 s58, s57, s0
	s_add_u32 s43, s43, s59
	s_addc_u32 s58, 0, s58
	s_add_u32 s43, s43, s56
	s_mul_hi_u32 s1, s55, s0
	s_addc_u32 s43, s58, s54
	s_addc_u32 s1, s1, 0
	s_mul_i32 s0, s55, s0
	s_add_u32 s0, s43, s0
	s_addc_u32 s43, 0, s1
	s_add_u32 s54, s57, s0
	s_cselect_b64 s[0:1], -1, 0
	v_ashrrev_i32_e32 v3, 31, v9
	s_cmp_lg_u64 s[0:1], 0
	v_add_co_u32_e32 v5, vcc, v8, v3
	s_addc_u32 s43, s55, s43
	v_xor_b32_e32 v5, v5, v3
	v_addc_co_u32_e32 v7, vcc, v9, v3, vcc
	v_mad_u64_u32 v[9:10], s[0:1], v5, s43, 0
	v_mul_hi_u32 v11, v5, s54
	v_xor_b32_e32 v7, v7, v3
	v_xor_b32_e32 v3, s42, v3
	v_add_co_u32_e32 v13, vcc, v11, v9
	v_addc_co_u32_e32 v14, vcc, 0, v10, vcc
	v_mad_u64_u32 v[9:10], s[0:1], v7, s54, 0
	v_mad_u64_u32 v[11:12], s[0:1], v7, s43, 0
	v_add_co_u32_e32 v9, vcc, v13, v9
	v_addc_co_u32_e32 v9, vcc, v14, v10, vcc
	v_addc_co_u32_e32 v10, vcc, 0, v12, vcc
	v_add_co_u32_e32 v11, vcc, v9, v11
	v_addc_co_u32_e32 v12, vcc, 0, v10, vcc
	v_mul_lo_u32 v13, s45, v11
	v_mul_lo_u32 v14, s44, v12
	v_mad_u64_u32 v[9:10], s[0:1], s44, v11, 0
	v_add3_u32 v10, v10, v14, v13
	v_sub_u32_e32 v13, v7, v10
	v_mov_b32_e32 v14, s45
	v_sub_co_u32_e32 v5, vcc, v5, v9
	v_subb_co_u32_e64 v9, s[0:1], v13, v14, vcc
	v_subrev_co_u32_e64 v13, s[0:1], s44, v5
	v_subbrev_co_u32_e64 v9, s[0:1], 0, v9, s[0:1]
	v_cmp_le_u32_e64 s[0:1], s45, v9
	v_cndmask_b32_e64 v14, 0, -1, s[0:1]
	v_cmp_le_u32_e64 s[0:1], s44, v13
	v_cndmask_b32_e64 v13, 0, -1, s[0:1]
	v_cmp_eq_u32_e64 s[0:1], s45, v9
	v_cndmask_b32_e64 v9, v14, v13, s[0:1]
	v_add_co_u32_e64 v13, s[0:1], 2, v11
	v_subb_co_u32_e32 v7, vcc, v7, v10, vcc
	v_addc_co_u32_e64 v14, s[0:1], 0, v12, s[0:1]
	v_cmp_le_u32_e32 vcc, s45, v7
	v_add_co_u32_e64 v15, s[0:1], 1, v11
	v_cndmask_b32_e64 v10, 0, -1, vcc
	v_cmp_le_u32_e32 vcc, s44, v5
	v_addc_co_u32_e64 v16, s[0:1], 0, v12, s[0:1]
	v_cndmask_b32_e64 v5, 0, -1, vcc
	v_cmp_eq_u32_e32 vcc, s45, v7
	v_cmp_ne_u32_e64 s[0:1], 0, v9
	v_cndmask_b32_e32 v5, v10, v5, vcc
	v_cmp_ne_u32_e32 vcc, 0, v5
	v_cndmask_b32_e64 v7, v15, v13, s[0:1]
	v_cndmask_b32_e64 v9, v16, v14, s[0:1]
	v_cndmask_b32_e32 v7, v11, v7, vcc
	v_cndmask_b32_e32 v5, v12, v9, vcc
	v_xor_b32_e32 v7, v7, v3
	v_xor_b32_e32 v5, v5, v3
	v_sub_co_u32_e32 v10, vcc, v7, v3
	v_subb_co_u32_e32 v11, vcc, v5, v3, vcc
.LBB41_15:                              ;   in Loop: Header=BB41_13 Depth=2
	s_andn2_saveexec_b64 s[0:1], s[40:41]
	s_cbranch_execz .LBB41_17
; %bb.16:                               ;   in Loop: Header=BB41_13 Depth=2
	v_cvt_f32_u32_e32 v3, s53
	s_sub_i32 s40, 0, s53
	v_mov_b32_e32 v11, v2
	v_rcp_iflag_f32_e32 v3, v3
	v_mul_f32_e32 v3, 0x4f7ffffe, v3
	v_cvt_u32_f32_e32 v3, v3
	v_mul_lo_u32 v5, s40, v3
	v_mul_hi_u32 v5, v3, v5
	v_add_u32_e32 v3, v3, v5
	v_mul_hi_u32 v3, v8, v3
	v_mul_lo_u32 v5, v3, s53
	v_add_u32_e32 v7, 1, v3
	v_sub_u32_e32 v5, v8, v5
	v_subrev_u32_e32 v9, s53, v5
	v_cmp_le_u32_e32 vcc, s53, v5
	v_cndmask_b32_e32 v5, v5, v9, vcc
	v_cndmask_b32_e32 v3, v3, v7, vcc
	v_add_u32_e32 v7, 1, v3
	v_cmp_le_u32_e32 vcc, s53, v5
	v_cndmask_b32_e32 v10, v3, v7, vcc
.LBB41_17:                              ;   in Loop: Header=BB41_13 Depth=2
	s_or_b64 exec, exec, s[0:1]
	s_add_u32 s0, s4, s36
	s_addc_u32 s1, s5, s37
	v_mul_lo_u32 v3, v10, s53
	s_load_dword s38, s[38:39], 0x6c
	s_add_i32 s20, s20, -1
	s_load_dword s36, s[0:1], 0x6c
	v_sub_u32_e32 v3, v8, v3
	s_waitcnt lgkmcnt(0)
	v_mad_u64_u32 v[6:7], s[0:1], s38, v3, v[6:7]
	v_mad_u64_u32 v[4:5], s[0:1], s36, v3, v[4:5]
	s_xor_b32 s0, s52, s35
	s_add_i32 s35, s35, 1
	s_cmp_lg_u32 s0, 2
	s_cbranch_scc0 .LBB41_19
; %bb.18:                               ;   in Loop: Header=BB41_13 Depth=2
	v_mov_b32_e32 v8, v10
	v_mov_b32_e32 v9, v11
	s_branch .LBB41_13
.LBB41_19:                              ;   in Loop: Header=BB41_3 Depth=1
	v_mov_b32_e32 v8, v10
	s_mov_b32 s0, s20
	v_mov_b32_e32 v9, v11
.LBB41_20:                              ;   in Loop: Header=BB41_3 Depth=1
	s_and_b64 vcc, exec, s[24:25]
	s_mov_b32 s20, s0
	s_cbranch_vccz .LBB41_39
.LBB41_21:                              ;   Parent Loop BB41_3 Depth=1
                                        ; =>  This Inner Loop Header: Depth=2
	s_lshl_b64 s[36:37], s[20:21], 2
	s_add_u32 s38, s46, s36
	s_addc_u32 s39, s47, s37
	s_load_dword s35, s[38:39], 0x8
                                        ; implicit-def: $vgpr10_vgpr11
	s_waitcnt lgkmcnt(0)
	s_ashr_i32 s0, s35, 31
	v_or_b32_e32 v3, s0, v9
	v_cmp_ne_u64_e32 vcc, 0, v[2:3]
	s_and_saveexec_b64 s[40:41], vcc
	s_xor_b64 s[40:41], exec, s[40:41]
	s_cbranch_execz .LBB41_23
; %bb.22:                               ;   in Loop: Header=BB41_21 Depth=2
	s_ashr_i32 s42, s0, 31
	s_add_u32 s44, s35, s42
	s_mov_b32 s43, s42
	s_addc_u32 s45, s0, s42
	s_xor_b64 s[44:45], s[44:45], s[42:43]
	v_cvt_f32_u32_e32 v3, s44
	v_cvt_f32_u32_e32 v5, s45
	s_sub_u32 s43, 0, s44
	s_subb_u32 s53, 0, s45
	v_mac_f32_e32 v3, 0x4f800000, v5
	v_rcp_f32_e32 v3, v3
	v_mul_f32_e32 v3, 0x5f7ffffc, v3
	v_mul_f32_e32 v5, 0x2f800000, v3
	v_trunc_f32_e32 v5, v5
	v_mac_f32_e32 v3, 0xcf800000, v5
	v_cvt_u32_f32_e32 v5, v5
	v_cvt_u32_f32_e32 v3, v3
	v_readfirstlane_b32 s54, v5
	v_readfirstlane_b32 s0, v3
	s_mul_i32 s1, s43, s54
	s_mul_hi_u32 s56, s43, s0
	s_mul_i32 s55, s53, s0
	s_add_i32 s1, s56, s1
	s_add_i32 s1, s1, s55
	s_mul_i32 s57, s43, s0
	s_mul_i32 s56, s0, s1
	s_mul_hi_u32 s58, s0, s57
	s_mul_hi_u32 s55, s0, s1
	s_add_u32 s56, s58, s56
	s_addc_u32 s55, 0, s55
	s_mul_hi_u32 s59, s54, s57
	s_mul_i32 s57, s54, s57
	s_add_u32 s56, s56, s57
	s_mul_hi_u32 s58, s54, s1
	s_addc_u32 s55, s55, s59
	s_addc_u32 s56, s58, 0
	s_mul_i32 s1, s54, s1
	s_add_u32 s1, s55, s1
	s_addc_u32 s55, 0, s56
	s_add_u32 s56, s0, s1
	s_cselect_b64 s[0:1], -1, 0
	s_cmp_lg_u64 s[0:1], 0
	s_addc_u32 s54, s54, s55
	s_mul_i32 s0, s43, s54
	s_mul_hi_u32 s1, s43, s56
	s_add_i32 s0, s1, s0
	s_mul_i32 s53, s53, s56
	s_add_i32 s0, s0, s53
	s_mul_i32 s43, s43, s56
	s_mul_hi_u32 s53, s54, s43
	s_mul_i32 s55, s54, s43
	s_mul_i32 s58, s56, s0
	s_mul_hi_u32 s43, s56, s43
	s_mul_hi_u32 s57, s56, s0
	s_add_u32 s43, s43, s58
	s_addc_u32 s57, 0, s57
	s_add_u32 s43, s43, s55
	s_mul_hi_u32 s1, s54, s0
	s_addc_u32 s43, s57, s53
	s_addc_u32 s1, s1, 0
	s_mul_i32 s0, s54, s0
	s_add_u32 s0, s43, s0
	s_addc_u32 s43, 0, s1
	s_add_u32 s53, s56, s0
	s_cselect_b64 s[0:1], -1, 0
	v_ashrrev_i32_e32 v3, 31, v9
	s_cmp_lg_u64 s[0:1], 0
	v_add_co_u32_e32 v5, vcc, v8, v3
	s_addc_u32 s43, s54, s43
	v_xor_b32_e32 v5, v5, v3
	v_addc_co_u32_e32 v7, vcc, v9, v3, vcc
	v_mad_u64_u32 v[9:10], s[0:1], v5, s43, 0
	v_mul_hi_u32 v11, v5, s53
	v_xor_b32_e32 v7, v7, v3
	v_xor_b32_e32 v3, s42, v3
	v_add_co_u32_e32 v13, vcc, v11, v9
	v_addc_co_u32_e32 v14, vcc, 0, v10, vcc
	v_mad_u64_u32 v[9:10], s[0:1], v7, s53, 0
	v_mad_u64_u32 v[11:12], s[0:1], v7, s43, 0
	v_add_co_u32_e32 v9, vcc, v13, v9
	v_addc_co_u32_e32 v9, vcc, v14, v10, vcc
	v_addc_co_u32_e32 v10, vcc, 0, v12, vcc
	v_add_co_u32_e32 v11, vcc, v9, v11
	v_addc_co_u32_e32 v12, vcc, 0, v10, vcc
	v_mul_lo_u32 v13, s45, v11
	v_mul_lo_u32 v14, s44, v12
	v_mad_u64_u32 v[9:10], s[0:1], s44, v11, 0
	v_add3_u32 v10, v10, v14, v13
	v_sub_u32_e32 v13, v7, v10
	v_mov_b32_e32 v14, s45
	v_sub_co_u32_e32 v5, vcc, v5, v9
	v_subb_co_u32_e64 v9, s[0:1], v13, v14, vcc
	v_subrev_co_u32_e64 v13, s[0:1], s44, v5
	v_subbrev_co_u32_e64 v9, s[0:1], 0, v9, s[0:1]
	v_cmp_le_u32_e64 s[0:1], s45, v9
	v_cndmask_b32_e64 v14, 0, -1, s[0:1]
	v_cmp_le_u32_e64 s[0:1], s44, v13
	v_cndmask_b32_e64 v13, 0, -1, s[0:1]
	v_cmp_eq_u32_e64 s[0:1], s45, v9
	v_cndmask_b32_e64 v9, v14, v13, s[0:1]
	v_add_co_u32_e64 v13, s[0:1], 2, v11
	v_subb_co_u32_e32 v7, vcc, v7, v10, vcc
	v_addc_co_u32_e64 v14, s[0:1], 0, v12, s[0:1]
	v_cmp_le_u32_e32 vcc, s45, v7
	v_add_co_u32_e64 v15, s[0:1], 1, v11
	v_cndmask_b32_e64 v10, 0, -1, vcc
	v_cmp_le_u32_e32 vcc, s44, v5
	v_addc_co_u32_e64 v16, s[0:1], 0, v12, s[0:1]
	v_cndmask_b32_e64 v5, 0, -1, vcc
	v_cmp_eq_u32_e32 vcc, s45, v7
	v_cmp_ne_u32_e64 s[0:1], 0, v9
	v_cndmask_b32_e32 v5, v10, v5, vcc
	v_cmp_ne_u32_e32 vcc, 0, v5
	v_cndmask_b32_e64 v7, v15, v13, s[0:1]
	v_cndmask_b32_e64 v9, v16, v14, s[0:1]
	v_cndmask_b32_e32 v7, v11, v7, vcc
	v_cndmask_b32_e32 v5, v12, v9, vcc
	v_xor_b32_e32 v7, v7, v3
	v_xor_b32_e32 v5, v5, v3
	v_sub_co_u32_e32 v10, vcc, v7, v3
	v_subb_co_u32_e32 v11, vcc, v5, v3, vcc
.LBB41_23:                              ;   in Loop: Header=BB41_21 Depth=2
	s_andn2_saveexec_b64 s[0:1], s[40:41]
	s_cbranch_execz .LBB41_25
; %bb.24:                               ;   in Loop: Header=BB41_21 Depth=2
	v_cvt_f32_u32_e32 v3, s35
	s_sub_i32 s40, 0, s35
	v_mov_b32_e32 v11, v2
	v_rcp_iflag_f32_e32 v3, v3
	v_mul_f32_e32 v3, 0x4f7ffffe, v3
	v_cvt_u32_f32_e32 v3, v3
	v_mul_lo_u32 v5, s40, v3
	v_mul_hi_u32 v5, v3, v5
	v_add_u32_e32 v3, v3, v5
	v_mul_hi_u32 v3, v8, v3
	v_mul_lo_u32 v5, v3, s35
	v_add_u32_e32 v7, 1, v3
	v_sub_u32_e32 v5, v8, v5
	v_subrev_u32_e32 v9, s35, v5
	v_cmp_le_u32_e32 vcc, s35, v5
	v_cndmask_b32_e32 v5, v5, v9, vcc
	v_cndmask_b32_e32 v3, v3, v7, vcc
	v_add_u32_e32 v7, 1, v3
	v_cmp_le_u32_e32 vcc, s35, v5
	v_cndmask_b32_e32 v10, v3, v7, vcc
.LBB41_25:                              ;   in Loop: Header=BB41_21 Depth=2
	s_or_b64 exec, exec, s[0:1]
	s_add_u32 s0, s4, s36
	s_addc_u32 s1, s5, s37
	s_add_i32 s36, s20, -1
	s_mov_b32 s37, s21
	s_lshl_b64 s[40:41], s[36:37], 2
	s_add_u32 s36, s46, s40
	s_addc_u32 s37, s47, s41
	s_load_dword s55, s[36:37], 0x8
	s_load_dword s54, s[38:39], 0x6c
	;; [unrolled: 1-line block ×3, first 2 shown]
                                        ; implicit-def: $vgpr12_vgpr13
	s_waitcnt lgkmcnt(0)
	s_ashr_i32 s0, s55, 31
	v_or_b32_e32 v3, s0, v11
	v_cmp_ne_u64_e32 vcc, 0, v[2:3]
	s_and_saveexec_b64 s[38:39], vcc
	s_xor_b64 s[38:39], exec, s[38:39]
	s_cbranch_execz .LBB41_27
; %bb.26:                               ;   in Loop: Header=BB41_21 Depth=2
	s_ashr_i32 s42, s0, 31
	s_add_u32 s44, s55, s42
	s_mov_b32 s43, s42
	s_addc_u32 s45, s0, s42
	s_xor_b64 s[44:45], s[44:45], s[42:43]
	v_cvt_f32_u32_e32 v3, s44
	v_cvt_f32_u32_e32 v5, s45
	s_sub_u32 s43, 0, s44
	s_subb_u32 s56, 0, s45
	v_mac_f32_e32 v3, 0x4f800000, v5
	v_rcp_f32_e32 v3, v3
	v_mul_f32_e32 v3, 0x5f7ffffc, v3
	v_mul_f32_e32 v5, 0x2f800000, v3
	v_trunc_f32_e32 v5, v5
	v_mac_f32_e32 v3, 0xcf800000, v5
	v_cvt_u32_f32_e32 v5, v5
	v_cvt_u32_f32_e32 v3, v3
	v_readfirstlane_b32 s57, v5
	v_readfirstlane_b32 s0, v3
	s_mul_i32 s1, s43, s57
	s_mul_hi_u32 s59, s43, s0
	s_mul_i32 s58, s56, s0
	s_add_i32 s1, s59, s1
	s_add_i32 s1, s1, s58
	s_mul_i32 s60, s43, s0
	s_mul_i32 s59, s0, s1
	s_mul_hi_u32 s61, s0, s60
	s_mul_hi_u32 s58, s0, s1
	s_add_u32 s59, s61, s59
	s_addc_u32 s58, 0, s58
	s_mul_hi_u32 s62, s57, s60
	s_mul_i32 s60, s57, s60
	s_add_u32 s59, s59, s60
	s_mul_hi_u32 s61, s57, s1
	s_addc_u32 s58, s58, s62
	s_addc_u32 s59, s61, 0
	s_mul_i32 s1, s57, s1
	s_add_u32 s1, s58, s1
	s_addc_u32 s58, 0, s59
	s_add_u32 s59, s0, s1
	s_cselect_b64 s[0:1], -1, 0
	s_cmp_lg_u64 s[0:1], 0
	s_addc_u32 s57, s57, s58
	s_mul_i32 s0, s43, s57
	s_mul_hi_u32 s1, s43, s59
	s_add_i32 s0, s1, s0
	s_mul_i32 s56, s56, s59
	s_add_i32 s0, s0, s56
	s_mul_i32 s43, s43, s59
	s_mul_hi_u32 s56, s57, s43
	s_mul_i32 s58, s57, s43
	s_mul_i32 s61, s59, s0
	s_mul_hi_u32 s43, s59, s43
	s_mul_hi_u32 s60, s59, s0
	s_add_u32 s43, s43, s61
	s_addc_u32 s60, 0, s60
	s_add_u32 s43, s43, s58
	s_mul_hi_u32 s1, s57, s0
	s_addc_u32 s43, s60, s56
	s_addc_u32 s1, s1, 0
	s_mul_i32 s0, s57, s0
	s_add_u32 s0, s43, s0
	s_addc_u32 s43, 0, s1
	s_add_u32 s56, s59, s0
	s_cselect_b64 s[0:1], -1, 0
	v_ashrrev_i32_e32 v3, 31, v11
	s_cmp_lg_u64 s[0:1], 0
	v_add_co_u32_e32 v5, vcc, v10, v3
	s_addc_u32 s43, s57, s43
	v_xor_b32_e32 v5, v5, v3
	v_addc_co_u32_e32 v7, vcc, v11, v3, vcc
	v_mad_u64_u32 v[11:12], s[0:1], v5, s43, 0
	v_mul_hi_u32 v9, v5, s56
	v_xor_b32_e32 v7, v7, v3
	v_mad_u64_u32 v[13:14], s[0:1], v7, s43, 0
	v_add_co_u32_e32 v9, vcc, v9, v11
	v_addc_co_u32_e32 v15, vcc, 0, v12, vcc
	v_mad_u64_u32 v[11:12], s[0:1], v7, s56, 0
	v_xor_b32_e32 v3, s42, v3
	v_add_co_u32_e32 v9, vcc, v9, v11
	v_addc_co_u32_e32 v9, vcc, v15, v12, vcc
	v_addc_co_u32_e32 v11, vcc, 0, v14, vcc
	v_add_co_u32_e32 v9, vcc, v9, v13
	v_addc_co_u32_e32 v13, vcc, 0, v11, vcc
	v_mul_lo_u32 v14, s45, v9
	v_mul_lo_u32 v15, s44, v13
	v_mad_u64_u32 v[11:12], s[0:1], s44, v9, 0
	v_add3_u32 v12, v12, v15, v14
	v_sub_u32_e32 v14, v7, v12
	v_mov_b32_e32 v15, s45
	v_sub_co_u32_e32 v5, vcc, v5, v11
	v_subb_co_u32_e64 v11, s[0:1], v14, v15, vcc
	v_subrev_co_u32_e64 v14, s[0:1], s44, v5
	v_subbrev_co_u32_e64 v11, s[0:1], 0, v11, s[0:1]
	v_cmp_le_u32_e64 s[0:1], s45, v11
	v_cndmask_b32_e64 v15, 0, -1, s[0:1]
	v_cmp_le_u32_e64 s[0:1], s44, v14
	v_cndmask_b32_e64 v14, 0, -1, s[0:1]
	v_cmp_eq_u32_e64 s[0:1], s45, v11
	v_cndmask_b32_e64 v11, v15, v14, s[0:1]
	v_add_co_u32_e64 v14, s[0:1], 2, v9
	v_subb_co_u32_e32 v7, vcc, v7, v12, vcc
	v_addc_co_u32_e64 v15, s[0:1], 0, v13, s[0:1]
	v_cmp_le_u32_e32 vcc, s45, v7
	v_add_co_u32_e64 v16, s[0:1], 1, v9
	v_cndmask_b32_e64 v12, 0, -1, vcc
	v_cmp_le_u32_e32 vcc, s44, v5
	v_addc_co_u32_e64 v17, s[0:1], 0, v13, s[0:1]
	v_cndmask_b32_e64 v5, 0, -1, vcc
	v_cmp_eq_u32_e32 vcc, s45, v7
	v_cmp_ne_u32_e64 s[0:1], 0, v11
	v_cndmask_b32_e32 v5, v12, v5, vcc
	v_cmp_ne_u32_e32 vcc, 0, v5
	v_cndmask_b32_e64 v7, v16, v14, s[0:1]
	v_cndmask_b32_e64 v11, v17, v15, s[0:1]
	v_cndmask_b32_e32 v7, v9, v7, vcc
	v_cndmask_b32_e32 v5, v13, v11, vcc
	v_xor_b32_e32 v7, v7, v3
	v_xor_b32_e32 v5, v5, v3
	v_sub_co_u32_e32 v12, vcc, v7, v3
	v_subb_co_u32_e32 v13, vcc, v5, v3, vcc
.LBB41_27:                              ;   in Loop: Header=BB41_21 Depth=2
	s_andn2_saveexec_b64 s[0:1], s[38:39]
	s_cbranch_execz .LBB41_29
; %bb.28:                               ;   in Loop: Header=BB41_21 Depth=2
	v_cvt_f32_u32_e32 v3, s55
	s_sub_i32 s38, 0, s55
	v_mov_b32_e32 v13, v2
	v_rcp_iflag_f32_e32 v3, v3
	v_mul_f32_e32 v3, 0x4f7ffffe, v3
	v_cvt_u32_f32_e32 v3, v3
	v_mul_lo_u32 v5, s38, v3
	v_mul_hi_u32 v5, v3, v5
	v_add_u32_e32 v3, v3, v5
	v_mul_hi_u32 v3, v10, v3
	v_mul_lo_u32 v5, v3, s55
	v_add_u32_e32 v7, 1, v3
	v_sub_u32_e32 v5, v10, v5
	v_subrev_u32_e32 v9, s55, v5
	v_cmp_le_u32_e32 vcc, s55, v5
	v_cndmask_b32_e32 v5, v5, v9, vcc
	v_cndmask_b32_e32 v3, v3, v7, vcc
	v_add_u32_e32 v7, 1, v3
	v_cmp_le_u32_e32 vcc, s55, v5
	v_cndmask_b32_e32 v12, v3, v7, vcc
.LBB41_29:                              ;   in Loop: Header=BB41_21 Depth=2
	s_or_b64 exec, exec, s[0:1]
	s_add_u32 s0, s4, s40
	s_addc_u32 s1, s5, s41
	s_add_i32 s38, s20, -2
	s_mov_b32 s39, s21
	s_lshl_b64 s[38:39], s[38:39], 2
	s_add_u32 s40, s46, s38
	s_addc_u32 s41, s47, s39
	s_load_dword s57, s[40:41], 0x8
	s_load_dword s58, s[36:37], 0x6c
	;; [unrolled: 1-line block ×3, first 2 shown]
                                        ; implicit-def: $vgpr14_vgpr15
	s_waitcnt lgkmcnt(0)
	s_ashr_i32 s0, s57, 31
	v_or_b32_e32 v3, s0, v13
	v_cmp_ne_u64_e32 vcc, 0, v[2:3]
	s_and_saveexec_b64 s[36:37], vcc
	s_xor_b64 s[36:37], exec, s[36:37]
	s_cbranch_execz .LBB41_31
; %bb.30:                               ;   in Loop: Header=BB41_21 Depth=2
	s_ashr_i32 s42, s0, 31
	s_add_u32 s44, s57, s42
	s_mov_b32 s43, s42
	s_addc_u32 s45, s0, s42
	s_xor_b64 s[44:45], s[44:45], s[42:43]
	v_cvt_f32_u32_e32 v3, s44
	v_cvt_f32_u32_e32 v5, s45
	s_sub_u32 s43, 0, s44
	s_subb_u32 s59, 0, s45
	v_mac_f32_e32 v3, 0x4f800000, v5
	v_rcp_f32_e32 v3, v3
	v_mul_f32_e32 v3, 0x5f7ffffc, v3
	v_mul_f32_e32 v5, 0x2f800000, v3
	v_trunc_f32_e32 v5, v5
	v_mac_f32_e32 v3, 0xcf800000, v5
	v_cvt_u32_f32_e32 v5, v5
	v_cvt_u32_f32_e32 v3, v3
	v_readfirstlane_b32 s60, v5
	v_readfirstlane_b32 s0, v3
	s_mul_i32 s1, s43, s60
	s_mul_hi_u32 s62, s43, s0
	s_mul_i32 s61, s59, s0
	s_add_i32 s1, s62, s1
	s_add_i32 s1, s1, s61
	s_mul_i32 s63, s43, s0
	s_mul_i32 s62, s0, s1
	s_mul_hi_u32 s64, s0, s63
	s_mul_hi_u32 s61, s0, s1
	s_add_u32 s62, s64, s62
	s_addc_u32 s61, 0, s61
	s_mul_hi_u32 s65, s60, s63
	s_mul_i32 s63, s60, s63
	s_add_u32 s62, s62, s63
	s_mul_hi_u32 s64, s60, s1
	s_addc_u32 s61, s61, s65
	s_addc_u32 s62, s64, 0
	s_mul_i32 s1, s60, s1
	s_add_u32 s1, s61, s1
	s_addc_u32 s61, 0, s62
	s_add_u32 s62, s0, s1
	s_cselect_b64 s[0:1], -1, 0
	s_cmp_lg_u64 s[0:1], 0
	s_addc_u32 s60, s60, s61
	s_mul_i32 s0, s43, s60
	s_mul_hi_u32 s1, s43, s62
	s_add_i32 s0, s1, s0
	s_mul_i32 s59, s59, s62
	s_add_i32 s0, s0, s59
	s_mul_i32 s43, s43, s62
	s_mul_hi_u32 s59, s60, s43
	s_mul_i32 s61, s60, s43
	s_mul_i32 s64, s62, s0
	s_mul_hi_u32 s43, s62, s43
	s_mul_hi_u32 s63, s62, s0
	s_add_u32 s43, s43, s64
	s_addc_u32 s63, 0, s63
	s_add_u32 s43, s43, s61
	s_mul_hi_u32 s1, s60, s0
	s_addc_u32 s43, s63, s59
	s_addc_u32 s1, s1, 0
	s_mul_i32 s0, s60, s0
	s_add_u32 s0, s43, s0
	s_addc_u32 s43, 0, s1
	s_add_u32 s59, s62, s0
	s_cselect_b64 s[0:1], -1, 0
	v_ashrrev_i32_e32 v3, 31, v13
	s_cmp_lg_u64 s[0:1], 0
	v_add_co_u32_e32 v5, vcc, v12, v3
	s_addc_u32 s43, s60, s43
	v_xor_b32_e32 v5, v5, v3
	v_addc_co_u32_e32 v7, vcc, v13, v3, vcc
	v_mad_u64_u32 v[13:14], s[0:1], v5, s43, 0
	v_mul_hi_u32 v9, v5, s59
	v_xor_b32_e32 v7, v7, v3
	v_mad_u64_u32 v[15:16], s[0:1], v7, s43, 0
	v_add_co_u32_e32 v9, vcc, v9, v13
	v_addc_co_u32_e32 v11, vcc, 0, v14, vcc
	v_mad_u64_u32 v[13:14], s[0:1], v7, s59, 0
	v_xor_b32_e32 v3, s42, v3
	v_add_co_u32_e32 v9, vcc, v9, v13
	v_addc_co_u32_e32 v9, vcc, v11, v14, vcc
	v_addc_co_u32_e32 v11, vcc, 0, v16, vcc
	v_add_co_u32_e32 v9, vcc, v9, v15
	v_addc_co_u32_e32 v11, vcc, 0, v11, vcc
	v_mul_lo_u32 v15, s45, v9
	v_mul_lo_u32 v16, s44, v11
	v_mad_u64_u32 v[13:14], s[0:1], s44, v9, 0
	v_add3_u32 v14, v14, v16, v15
	v_sub_u32_e32 v15, v7, v14
	v_mov_b32_e32 v16, s45
	v_sub_co_u32_e32 v5, vcc, v5, v13
	v_subb_co_u32_e64 v13, s[0:1], v15, v16, vcc
	v_subrev_co_u32_e64 v15, s[0:1], s44, v5
	v_subbrev_co_u32_e64 v13, s[0:1], 0, v13, s[0:1]
	v_cmp_le_u32_e64 s[0:1], s45, v13
	v_cndmask_b32_e64 v16, 0, -1, s[0:1]
	v_cmp_le_u32_e64 s[0:1], s44, v15
	v_cndmask_b32_e64 v15, 0, -1, s[0:1]
	v_cmp_eq_u32_e64 s[0:1], s45, v13
	v_cndmask_b32_e64 v13, v16, v15, s[0:1]
	v_add_co_u32_e64 v15, s[0:1], 2, v9
	v_subb_co_u32_e32 v7, vcc, v7, v14, vcc
	v_addc_co_u32_e64 v16, s[0:1], 0, v11, s[0:1]
	v_cmp_le_u32_e32 vcc, s45, v7
	v_add_co_u32_e64 v17, s[0:1], 1, v9
	v_cndmask_b32_e64 v14, 0, -1, vcc
	v_cmp_le_u32_e32 vcc, s44, v5
	v_addc_co_u32_e64 v20, s[0:1], 0, v11, s[0:1]
	v_cndmask_b32_e64 v5, 0, -1, vcc
	v_cmp_eq_u32_e32 vcc, s45, v7
	v_cmp_ne_u32_e64 s[0:1], 0, v13
	v_cndmask_b32_e32 v5, v14, v5, vcc
	v_cmp_ne_u32_e32 vcc, 0, v5
	v_cndmask_b32_e64 v7, v17, v15, s[0:1]
	v_cndmask_b32_e64 v13, v20, v16, s[0:1]
	v_cndmask_b32_e32 v7, v9, v7, vcc
	v_cndmask_b32_e32 v5, v11, v13, vcc
	v_xor_b32_e32 v7, v7, v3
	v_xor_b32_e32 v5, v5, v3
	v_sub_co_u32_e32 v14, vcc, v7, v3
	v_subb_co_u32_e32 v15, vcc, v5, v3, vcc
.LBB41_31:                              ;   in Loop: Header=BB41_21 Depth=2
	s_andn2_saveexec_b64 s[0:1], s[36:37]
	s_cbranch_execz .LBB41_33
; %bb.32:                               ;   in Loop: Header=BB41_21 Depth=2
	v_cvt_f32_u32_e32 v3, s57
	s_sub_i32 s36, 0, s57
	v_mov_b32_e32 v15, v2
	v_rcp_iflag_f32_e32 v3, v3
	v_mul_f32_e32 v3, 0x4f7ffffe, v3
	v_cvt_u32_f32_e32 v3, v3
	v_mul_lo_u32 v5, s36, v3
	v_mul_hi_u32 v5, v3, v5
	v_add_u32_e32 v3, v3, v5
	v_mul_hi_u32 v3, v12, v3
	v_mul_lo_u32 v5, v3, s57
	v_add_u32_e32 v7, 1, v3
	v_sub_u32_e32 v5, v12, v5
	v_subrev_u32_e32 v9, s57, v5
	v_cmp_le_u32_e32 vcc, s57, v5
	v_cndmask_b32_e32 v5, v5, v9, vcc
	v_cndmask_b32_e32 v3, v3, v7, vcc
	v_add_u32_e32 v7, 1, v3
	v_cmp_le_u32_e32 vcc, s57, v5
	v_cndmask_b32_e32 v14, v3, v7, vcc
.LBB41_33:                              ;   in Loop: Header=BB41_21 Depth=2
	s_or_b64 exec, exec, s[0:1]
	s_add_u32 s0, s4, s38
	s_addc_u32 s1, s5, s39
	s_add_i32 s36, s20, -3
	s_mov_b32 s37, s21
	s_lshl_b64 s[36:37], s[36:37], 2
	s_add_u32 s38, s46, s36
	s_addc_u32 s39, s47, s37
	s_load_dword s60, s[38:39], 0x8
	s_load_dword s61, s[40:41], 0x6c
	;; [unrolled: 1-line block ×3, first 2 shown]
                                        ; implicit-def: $vgpr16_vgpr17
	s_waitcnt lgkmcnt(0)
	s_ashr_i32 s0, s60, 31
	v_or_b32_e32 v3, s0, v15
	v_cmp_ne_u64_e32 vcc, 0, v[2:3]
	s_and_saveexec_b64 s[40:41], vcc
	s_xor_b64 s[40:41], exec, s[40:41]
	s_cbranch_execz .LBB41_35
; %bb.34:                               ;   in Loop: Header=BB41_21 Depth=2
	s_ashr_i32 s42, s0, 31
	s_add_u32 s44, s60, s42
	s_mov_b32 s43, s42
	s_addc_u32 s45, s0, s42
	s_xor_b64 s[44:45], s[44:45], s[42:43]
	v_cvt_f32_u32_e32 v3, s44
	v_cvt_f32_u32_e32 v5, s45
	s_sub_u32 s43, 0, s44
	s_subb_u32 s62, 0, s45
	v_mac_f32_e32 v3, 0x4f800000, v5
	v_rcp_f32_e32 v3, v3
	v_mul_f32_e32 v3, 0x5f7ffffc, v3
	v_mul_f32_e32 v5, 0x2f800000, v3
	v_trunc_f32_e32 v5, v5
	v_mac_f32_e32 v3, 0xcf800000, v5
	v_cvt_u32_f32_e32 v5, v5
	v_cvt_u32_f32_e32 v3, v3
	v_readfirstlane_b32 s63, v5
	v_readfirstlane_b32 s0, v3
	s_mul_i32 s1, s43, s63
	s_mul_hi_u32 s65, s43, s0
	s_mul_i32 s64, s62, s0
	s_add_i32 s1, s65, s1
	s_add_i32 s1, s1, s64
	s_mul_i32 s66, s43, s0
	s_mul_i32 s65, s0, s1
	s_mul_hi_u32 s67, s0, s66
	s_mul_hi_u32 s64, s0, s1
	s_add_u32 s65, s67, s65
	s_addc_u32 s64, 0, s64
	s_mul_hi_u32 s68, s63, s66
	s_mul_i32 s66, s63, s66
	s_add_u32 s65, s65, s66
	s_mul_hi_u32 s67, s63, s1
	s_addc_u32 s64, s64, s68
	s_addc_u32 s65, s67, 0
	s_mul_i32 s1, s63, s1
	s_add_u32 s1, s64, s1
	s_addc_u32 s64, 0, s65
	s_add_u32 s65, s0, s1
	s_cselect_b64 s[0:1], -1, 0
	s_cmp_lg_u64 s[0:1], 0
	s_addc_u32 s63, s63, s64
	s_mul_i32 s0, s43, s63
	s_mul_hi_u32 s1, s43, s65
	s_add_i32 s0, s1, s0
	s_mul_i32 s62, s62, s65
	s_add_i32 s0, s0, s62
	s_mul_i32 s43, s43, s65
	s_mul_hi_u32 s62, s63, s43
	s_mul_i32 s64, s63, s43
	s_mul_i32 s67, s65, s0
	s_mul_hi_u32 s43, s65, s43
	s_mul_hi_u32 s66, s65, s0
	s_add_u32 s43, s43, s67
	s_addc_u32 s66, 0, s66
	s_add_u32 s43, s43, s64
	s_mul_hi_u32 s1, s63, s0
	s_addc_u32 s43, s66, s62
	s_addc_u32 s1, s1, 0
	s_mul_i32 s0, s63, s0
	s_add_u32 s0, s43, s0
	s_addc_u32 s43, 0, s1
	s_add_u32 s62, s65, s0
	s_cselect_b64 s[0:1], -1, 0
	v_ashrrev_i32_e32 v3, 31, v15
	s_cmp_lg_u64 s[0:1], 0
	v_add_co_u32_e32 v5, vcc, v14, v3
	s_addc_u32 s43, s63, s43
	v_xor_b32_e32 v5, v5, v3
	v_addc_co_u32_e32 v7, vcc, v15, v3, vcc
	v_mad_u64_u32 v[15:16], s[0:1], v5, s43, 0
	v_mul_hi_u32 v9, v5, s62
	v_xor_b32_e32 v7, v7, v3
	v_mad_u64_u32 v[20:21], s[0:1], v7, s43, 0
	v_add_co_u32_e32 v9, vcc, v9, v15
	v_addc_co_u32_e32 v11, vcc, 0, v16, vcc
	v_mad_u64_u32 v[15:16], s[0:1], v7, s62, 0
	v_xor_b32_e32 v3, s42, v3
	v_add_co_u32_e32 v9, vcc, v9, v15
	v_addc_co_u32_e32 v9, vcc, v11, v16, vcc
	v_addc_co_u32_e32 v11, vcc, 0, v21, vcc
	v_add_co_u32_e32 v9, vcc, v9, v20
	v_addc_co_u32_e32 v11, vcc, 0, v11, vcc
	v_mul_lo_u32 v13, s45, v9
	v_mul_lo_u32 v17, s44, v11
	v_mad_u64_u32 v[15:16], s[0:1], s44, v9, 0
	v_add3_u32 v13, v16, v17, v13
	v_sub_u32_e32 v16, v7, v13
	v_mov_b32_e32 v17, s45
	v_sub_co_u32_e32 v5, vcc, v5, v15
	v_subb_co_u32_e64 v15, s[0:1], v16, v17, vcc
	v_subrev_co_u32_e64 v16, s[0:1], s44, v5
	v_subbrev_co_u32_e64 v15, s[0:1], 0, v15, s[0:1]
	v_cmp_le_u32_e64 s[0:1], s45, v15
	v_cndmask_b32_e64 v17, 0, -1, s[0:1]
	v_cmp_le_u32_e64 s[0:1], s44, v16
	v_cndmask_b32_e64 v16, 0, -1, s[0:1]
	v_cmp_eq_u32_e64 s[0:1], s45, v15
	v_cndmask_b32_e64 v15, v17, v16, s[0:1]
	v_add_co_u32_e64 v16, s[0:1], 2, v9
	v_subb_co_u32_e32 v7, vcc, v7, v13, vcc
	v_addc_co_u32_e64 v17, s[0:1], 0, v11, s[0:1]
	v_cmp_le_u32_e32 vcc, s45, v7
	v_add_co_u32_e64 v20, s[0:1], 1, v9
	v_cndmask_b32_e64 v13, 0, -1, vcc
	v_cmp_le_u32_e32 vcc, s44, v5
	v_addc_co_u32_e64 v21, s[0:1], 0, v11, s[0:1]
	v_cndmask_b32_e64 v5, 0, -1, vcc
	v_cmp_eq_u32_e32 vcc, s45, v7
	v_cmp_ne_u32_e64 s[0:1], 0, v15
	v_cndmask_b32_e32 v5, v13, v5, vcc
	v_cmp_ne_u32_e32 vcc, 0, v5
	v_cndmask_b32_e64 v7, v20, v16, s[0:1]
	v_cndmask_b32_e64 v15, v21, v17, s[0:1]
	v_cndmask_b32_e32 v7, v9, v7, vcc
	v_cndmask_b32_e32 v5, v11, v15, vcc
	v_xor_b32_e32 v7, v7, v3
	v_xor_b32_e32 v5, v5, v3
	v_sub_co_u32_e32 v16, vcc, v7, v3
	v_subb_co_u32_e32 v17, vcc, v5, v3, vcc
.LBB41_35:                              ;   in Loop: Header=BB41_21 Depth=2
	s_andn2_saveexec_b64 s[0:1], s[40:41]
	s_cbranch_execz .LBB41_37
; %bb.36:                               ;   in Loop: Header=BB41_21 Depth=2
	v_cvt_f32_u32_e32 v3, s60
	s_sub_i32 s40, 0, s60
	v_mov_b32_e32 v17, v2
	v_rcp_iflag_f32_e32 v3, v3
	v_mul_f32_e32 v3, 0x4f7ffffe, v3
	v_cvt_u32_f32_e32 v3, v3
	v_mul_lo_u32 v5, s40, v3
	v_mul_hi_u32 v5, v3, v5
	v_add_u32_e32 v3, v3, v5
	v_mul_hi_u32 v3, v14, v3
	v_mul_lo_u32 v5, v3, s60
	v_add_u32_e32 v7, 1, v3
	v_sub_u32_e32 v5, v14, v5
	v_subrev_u32_e32 v9, s60, v5
	v_cmp_le_u32_e32 vcc, s60, v5
	v_cndmask_b32_e32 v5, v5, v9, vcc
	v_cndmask_b32_e32 v3, v3, v7, vcc
	v_add_u32_e32 v7, 1, v3
	v_cmp_le_u32_e32 vcc, s60, v5
	v_cndmask_b32_e32 v16, v3, v7, vcc
.LBB41_37:                              ;   in Loop: Header=BB41_21 Depth=2
	s_or_b64 exec, exec, s[0:1]
	v_mul_lo_u32 v3, v10, s35
	v_mul_lo_u32 v5, v12, s55
	;; [unrolled: 1-line block ×3, first 2 shown]
	s_add_u32 s0, s4, s36
	v_sub_u32_e32 v3, v8, v3
	v_sub_u32_e32 v5, v10, v5
	v_mul_lo_u32 v7, s54, v3
	v_mul_lo_u32 v8, s58, v5
	s_addc_u32 s1, s5, s37
	s_load_dword s35, s[38:39], 0x6c
	v_mul_lo_u32 v3, s53, v3
	v_add3_u32 v6, v7, v6, v8
	v_sub_u32_e32 v7, v12, v9
	v_mul_lo_u32 v9, v16, s60
	s_load_dword s0, s[0:1], 0x6c
	v_mul_lo_u32 v5, s56, v5
	v_mul_lo_u32 v8, s61, v7
	v_sub_u32_e32 v9, v14, v9
	s_waitcnt lgkmcnt(0)
	v_mul_lo_u32 v10, s35, v9
	v_add3_u32 v3, v3, v4, v5
	v_mul_lo_u32 v4, s59, v7
	v_mul_lo_u32 v5, s0, v9
	s_add_i32 s20, s20, -4
	v_add3_u32 v6, v8, v6, v10
	s_cmp_eq_u32 s20, -1
	v_add3_u32 v4, v4, v3, v5
	s_cbranch_scc1 .LBB41_39
; %bb.38:                               ;   in Loop: Header=BB41_21 Depth=2
	v_mov_b32_e32 v8, v16
	v_mov_b32_e32 v9, v17
	s_branch .LBB41_21
.LBB41_39:                              ;   in Loop: Header=BB41_3 Depth=1
	v_sub_u32_e32 v8, v18, v19
	v_ashrrev_i32_e32 v9, 31, v8
	v_cmp_ge_i64_e32 vcc, s[8:9], v[8:9]
	v_mov_b32_e32 v11, 0
	v_mov_b32_e32 v3, 0
	;; [unrolled: 1-line block ×4, first 2 shown]
	s_and_saveexec_b64 s[0:1], vcc
	s_cbranch_execz .LBB41_49
; %bb.40:                               ;   in Loop: Header=BB41_3 Depth=1
	v_cmp_gt_i32_e32 vcc, s7, v18
	v_mov_b32_e32 v13, 0
	v_mov_b32_e32 v12, 0
	;; [unrolled: 1-line block ×4, first 2 shown]
	s_and_saveexec_b64 s[36:37], vcc
	s_cbranch_execz .LBB41_48
; %bb.41:                               ;   in Loop: Header=BB41_3 Depth=1
	v_ashrrev_i32_e32 v7, 31, v6
	v_lshlrev_b64 v[10:11], 1, v[6:7]
	v_mov_b32_e32 v3, s3
	v_add_co_u32_e32 v10, vcc, s2, v10
	v_addc_co_u32_e32 v11, vcc, v3, v11, vcc
	global_load_ushort v3, v[10:11], off
	v_add_u32_e32 v5, 1, v18
	v_cmp_gt_i32_e32 vcc, s7, v5
	v_mov_b32_e32 v7, 0
	v_mov_b32_e32 v12, 0
	;; [unrolled: 1-line block ×3, first 2 shown]
	s_and_saveexec_b64 s[38:39], vcc
	s_xor_b64 s[38:39], exec, s[38:39]
	s_cbranch_execz .LBB41_47
; %bb.42:                               ;   in Loop: Header=BB41_3 Depth=1
	s_lshl_b64 s[40:41], s[26:27], 1
	v_mov_b32_e32 v5, s41
	v_add_co_u32_e32 v10, vcc, s40, v10
	v_addc_co_u32_e32 v11, vcc, v11, v5, vcc
	global_load_ushort v7, v[10:11], off
	v_add_u32_e32 v5, 2, v18
	v_cmp_gt_i32_e32 vcc, s7, v5
	v_mov_b32_e32 v12, 0
	v_mov_b32_e32 v13, 0
	s_and_saveexec_b64 s[40:41], vcc
	s_xor_b64 s[40:41], exec, s[40:41]
	s_cbranch_execz .LBB41_46
; %bb.43:                               ;   in Loop: Header=BB41_3 Depth=1
	v_add_u32_e32 v5, s15, v6
	v_ashrrev_i32_e32 v6, 31, v5
	v_lshlrev_b64 v[10:11], 1, v[5:6]
	v_mov_b32_e32 v6, s3
	v_add_co_u32_e32 v10, vcc, s2, v10
	v_addc_co_u32_e32 v11, vcc, v6, v11, vcc
	global_load_ushort v12, v[10:11], off
	v_add_u32_e32 v6, 3, v18
	v_cmp_gt_i32_e32 vcc, s7, v6
	v_mov_b32_e32 v13, 0
	s_and_saveexec_b64 s[42:43], vcc
	s_xor_b64 s[42:43], exec, s[42:43]
	s_cbranch_execz .LBB41_45
; %bb.44:                               ;   in Loop: Header=BB41_3 Depth=1
	v_add_u32_e32 v5, s26, v5
	v_ashrrev_i32_e32 v6, 31, v5
	v_lshlrev_b64 v[5:6], 1, v[5:6]
	v_mov_b32_e32 v10, s3
	v_add_co_u32_e32 v5, vcc, s2, v5
	v_addc_co_u32_e32 v6, vcc, v10, v6, vcc
	global_load_ushort v13, v[5:6], off
.LBB41_45:                              ;   in Loop: Header=BB41_3 Depth=1
	s_or_b64 exec, exec, s[42:43]
.LBB41_46:                              ;   in Loop: Header=BB41_3 Depth=1
	s_or_b64 exec, exec, s[40:41]
.LBB41_47:                              ;   in Loop: Header=BB41_3 Depth=1
	s_or_b64 exec, exec, s[38:39]
.LBB41_48:                              ;   in Loop: Header=BB41_3 Depth=1
	s_or_b64 exec, exec, s[36:37]
	v_cmp_ge_i64_e32 vcc, s[8:9], v[8:9]
	v_add_u32_e32 v5, 1, v8
	v_ashrrev_i32_e32 v6, 31, v5
	s_waitcnt vmcnt(0)
	v_cndmask_b32_e32 v11, 0, v3, vcc
	v_cmp_ge_i64_e32 vcc, s[8:9], v[5:6]
	v_add_u32_e32 v5, 2, v8
	v_ashrrev_i32_e32 v6, 31, v5
	v_cndmask_b32_e32 v3, 0, v7, vcc
	v_cmp_ge_i64_e32 vcc, s[8:9], v[5:6]
	v_add_u32_e32 v5, 3, v8
	v_ashrrev_i32_e32 v6, 31, v5
	v_cndmask_b32_e32 v10, 0, v12, vcc
	v_cmp_ge_i64_e32 vcc, s[8:9], v[5:6]
	v_cndmask_b32_e32 v7, 0, v13, vcc
.LBB41_49:                              ;   in Loop: Header=BB41_3 Depth=1
	s_or_b64 exec, exec, s[0:1]
	v_cmp_gt_i32_e32 vcc, s7, v18
	s_and_saveexec_b64 s[0:1], vcc
	s_cbranch_execz .LBB41_2
; %bb.50:                               ;   in Loop: Header=BB41_3 Depth=1
	v_ashrrev_i32_e32 v5, 31, v4
	v_lshlrev_b64 v[5:6], 1, v[4:5]
	v_mov_b32_e32 v8, s19
	v_add_co_u32_e32 v5, vcc, s18, v5
	v_addc_co_u32_e32 v6, vcc, v8, v6, vcc
	v_add_u32_e32 v8, 1, v18
	v_cmp_gt_i32_e32 vcc, s7, v8
	global_store_short v[5:6], v11, off
	s_and_saveexec_b64 s[36:37], vcc
	s_xor_b64 s[36:37], exec, s[36:37]
	s_cbranch_execz .LBB41_2
; %bb.51:                               ;   in Loop: Header=BB41_3 Depth=1
	s_lshl_b64 s[36:37], s[28:29], 1
	v_mov_b32_e32 v8, s37
	v_add_co_u32_e32 v5, vcc, s36, v5
	v_addc_co_u32_e32 v6, vcc, v6, v8, vcc
	global_store_short v[5:6], v3, off
	v_add_u32_e32 v3, 2, v18
	v_cmp_gt_i32_e32 vcc, s7, v3
	s_and_saveexec_b64 s[36:37], vcc
	s_xor_b64 s[36:37], exec, s[36:37]
	s_cbranch_execz .LBB41_2
; %bb.52:                               ;   in Loop: Header=BB41_3 Depth=1
	v_add_u32_e32 v3, s17, v4
	v_ashrrev_i32_e32 v4, 31, v3
	v_lshlrev_b64 v[4:5], 1, v[3:4]
	v_mov_b32_e32 v6, s19
	v_add_co_u32_e32 v4, vcc, s18, v4
	v_addc_co_u32_e32 v5, vcc, v6, v5, vcc
	global_store_short v[4:5], v10, off
	v_add_u32_e32 v4, 3, v18
	v_cmp_gt_i32_e32 vcc, s7, v4
	s_and_saveexec_b64 s[36:37], vcc
	s_xor_b64 s[36:37], exec, s[36:37]
	s_cbranch_execz .LBB41_2
; %bb.53:                               ;   in Loop: Header=BB41_3 Depth=1
	v_add_u32_e32 v3, s28, v3
	v_ashrrev_i32_e32 v4, 31, v3
	v_lshlrev_b64 v[3:4], 1, v[3:4]
	v_mov_b32_e32 v5, s19
	v_add_co_u32_e32 v3, vcc, s18, v3
	v_addc_co_u32_e32 v4, vcc, v5, v4, vcc
	global_store_short v[3:4], v7, off
	s_branch .LBB41_2
.LBB41_54:
	s_endpgm
	.section	.rodata,"a",@progbits
	.p2align	6, 0x0
	.amdhsa_kernel _ZN2at6native16triu_tril_kernelIN3c104HalfEiLb0ELi4ELb0EEEvNS_4cuda6detail10TensorInfoIT_T0_EENS6_IKS7_S8_EEllS8_
		.amdhsa_group_segment_fixed_size 0
		.amdhsa_private_segment_fixed_size 0
		.amdhsa_kernarg_size 712
		.amdhsa_user_sgpr_count 6
		.amdhsa_user_sgpr_private_segment_buffer 1
		.amdhsa_user_sgpr_dispatch_ptr 0
		.amdhsa_user_sgpr_queue_ptr 0
		.amdhsa_user_sgpr_kernarg_segment_ptr 1
		.amdhsa_user_sgpr_dispatch_id 0
		.amdhsa_user_sgpr_flat_scratch_init 0
		.amdhsa_user_sgpr_private_segment_size 0
		.amdhsa_uses_dynamic_stack 0
		.amdhsa_system_sgpr_private_segment_wavefront_offset 0
		.amdhsa_system_sgpr_workgroup_id_x 1
		.amdhsa_system_sgpr_workgroup_id_y 0
		.amdhsa_system_sgpr_workgroup_id_z 0
		.amdhsa_system_sgpr_workgroup_info 0
		.amdhsa_system_vgpr_workitem_id 0
		.amdhsa_next_free_vgpr 22
		.amdhsa_next_free_sgpr 69
		.amdhsa_reserve_vcc 1
		.amdhsa_reserve_flat_scratch 0
		.amdhsa_float_round_mode_32 0
		.amdhsa_float_round_mode_16_64 0
		.amdhsa_float_denorm_mode_32 3
		.amdhsa_float_denorm_mode_16_64 3
		.amdhsa_dx10_clamp 1
		.amdhsa_ieee_mode 1
		.amdhsa_fp16_overflow 0
		.amdhsa_exception_fp_ieee_invalid_op 0
		.amdhsa_exception_fp_denorm_src 0
		.amdhsa_exception_fp_ieee_div_zero 0
		.amdhsa_exception_fp_ieee_overflow 0
		.amdhsa_exception_fp_ieee_underflow 0
		.amdhsa_exception_fp_ieee_inexact 0
		.amdhsa_exception_int_div_zero 0
	.end_amdhsa_kernel
	.section	.text._ZN2at6native16triu_tril_kernelIN3c104HalfEiLb0ELi4ELb0EEEvNS_4cuda6detail10TensorInfoIT_T0_EENS6_IKS7_S8_EEllS8_,"axG",@progbits,_ZN2at6native16triu_tril_kernelIN3c104HalfEiLb0ELi4ELb0EEEvNS_4cuda6detail10TensorInfoIT_T0_EENS6_IKS7_S8_EEllS8_,comdat
.Lfunc_end41:
	.size	_ZN2at6native16triu_tril_kernelIN3c104HalfEiLb0ELi4ELb0EEEvNS_4cuda6detail10TensorInfoIT_T0_EENS6_IKS7_S8_EEllS8_, .Lfunc_end41-_ZN2at6native16triu_tril_kernelIN3c104HalfEiLb0ELi4ELb0EEEvNS_4cuda6detail10TensorInfoIT_T0_EENS6_IKS7_S8_EEllS8_
                                        ; -- End function
	.set _ZN2at6native16triu_tril_kernelIN3c104HalfEiLb0ELi4ELb0EEEvNS_4cuda6detail10TensorInfoIT_T0_EENS6_IKS7_S8_EEllS8_.num_vgpr, 22
	.set _ZN2at6native16triu_tril_kernelIN3c104HalfEiLb0ELi4ELb0EEEvNS_4cuda6detail10TensorInfoIT_T0_EENS6_IKS7_S8_EEllS8_.num_agpr, 0
	.set _ZN2at6native16triu_tril_kernelIN3c104HalfEiLb0ELi4ELb0EEEvNS_4cuda6detail10TensorInfoIT_T0_EENS6_IKS7_S8_EEllS8_.numbered_sgpr, 69
	.set _ZN2at6native16triu_tril_kernelIN3c104HalfEiLb0ELi4ELb0EEEvNS_4cuda6detail10TensorInfoIT_T0_EENS6_IKS7_S8_EEllS8_.num_named_barrier, 0
	.set _ZN2at6native16triu_tril_kernelIN3c104HalfEiLb0ELi4ELb0EEEvNS_4cuda6detail10TensorInfoIT_T0_EENS6_IKS7_S8_EEllS8_.private_seg_size, 0
	.set _ZN2at6native16triu_tril_kernelIN3c104HalfEiLb0ELi4ELb0EEEvNS_4cuda6detail10TensorInfoIT_T0_EENS6_IKS7_S8_EEllS8_.uses_vcc, 1
	.set _ZN2at6native16triu_tril_kernelIN3c104HalfEiLb0ELi4ELb0EEEvNS_4cuda6detail10TensorInfoIT_T0_EENS6_IKS7_S8_EEllS8_.uses_flat_scratch, 0
	.set _ZN2at6native16triu_tril_kernelIN3c104HalfEiLb0ELi4ELb0EEEvNS_4cuda6detail10TensorInfoIT_T0_EENS6_IKS7_S8_EEllS8_.has_dyn_sized_stack, 0
	.set _ZN2at6native16triu_tril_kernelIN3c104HalfEiLb0ELi4ELb0EEEvNS_4cuda6detail10TensorInfoIT_T0_EENS6_IKS7_S8_EEllS8_.has_recursion, 0
	.set _ZN2at6native16triu_tril_kernelIN3c104HalfEiLb0ELi4ELb0EEEvNS_4cuda6detail10TensorInfoIT_T0_EENS6_IKS7_S8_EEllS8_.has_indirect_call, 0
	.section	.AMDGPU.csdata,"",@progbits
; Kernel info:
; codeLenInByte = 6648
; TotalNumSgprs: 73
; NumVgprs: 22
; ScratchSize: 0
; MemoryBound: 0
; FloatMode: 240
; IeeeMode: 1
; LDSByteSize: 0 bytes/workgroup (compile time only)
; SGPRBlocks: 9
; VGPRBlocks: 5
; NumSGPRsForWavesPerEU: 73
; NumVGPRsForWavesPerEU: 22
; Occupancy: 10
; WaveLimiterHint : 1
; COMPUTE_PGM_RSRC2:SCRATCH_EN: 0
; COMPUTE_PGM_RSRC2:USER_SGPR: 6
; COMPUTE_PGM_RSRC2:TRAP_HANDLER: 0
; COMPUTE_PGM_RSRC2:TGID_X_EN: 1
; COMPUTE_PGM_RSRC2:TGID_Y_EN: 0
; COMPUTE_PGM_RSRC2:TGID_Z_EN: 0
; COMPUTE_PGM_RSRC2:TIDIG_COMP_CNT: 0
	.section	.text._ZN2at6native16triu_tril_kernelIN3c104HalfElLb0ELi4ELb1EEEvNS_4cuda6detail10TensorInfoIT_T0_EENS6_IKS7_S8_EEllS8_,"axG",@progbits,_ZN2at6native16triu_tril_kernelIN3c104HalfElLb0ELi4ELb1EEEvNS_4cuda6detail10TensorInfoIT_T0_EENS6_IKS7_S8_EEllS8_,comdat
	.protected	_ZN2at6native16triu_tril_kernelIN3c104HalfElLb0ELi4ELb1EEEvNS_4cuda6detail10TensorInfoIT_T0_EENS6_IKS7_S8_EEllS8_ ; -- Begin function _ZN2at6native16triu_tril_kernelIN3c104HalfElLb0ELi4ELb1EEEvNS_4cuda6detail10TensorInfoIT_T0_EENS6_IKS7_S8_EEllS8_
	.globl	_ZN2at6native16triu_tril_kernelIN3c104HalfElLb0ELi4ELb1EEEvNS_4cuda6detail10TensorInfoIT_T0_EENS6_IKS7_S8_EEllS8_
	.p2align	8
	.type	_ZN2at6native16triu_tril_kernelIN3c104HalfElLb0ELi4ELb1EEEvNS_4cuda6detail10TensorInfoIT_T0_EENS6_IKS7_S8_EEllS8_,@function
_ZN2at6native16triu_tril_kernelIN3c104HalfElLb0ELi4ELb1EEEvNS_4cuda6detail10TensorInfoIT_T0_EENS6_IKS7_S8_EEllS8_: ; @_ZN2at6native16triu_tril_kernelIN3c104HalfElLb0ELi4ELb1EEEvNS_4cuda6detail10TensorInfoIT_T0_EENS6_IKS7_S8_EEllS8_
; %bb.0:
	s_load_dword s2, s[4:5], 0x364
	s_load_dwordx4 s[8:11], s[4:5], 0x340
	s_add_u32 s0, s4, 0x358
	v_mov_b32_e32 v2, 0
	s_addc_u32 s1, s5, 0
	s_waitcnt lgkmcnt(0)
	s_and_b32 s2, s2, 0xffff
	v_mov_b32_e32 v1, v2
	v_mov_b32_e32 v3, s6
	v_mad_u64_u32 v[0:1], s[6:7], s2, v3, v[0:1]
	v_lshlrev_b64 v[0:1], 2, v[0:1]
	v_cmp_gt_i64_e32 vcc, s[10:11], v[0:1]
	s_and_saveexec_b64 s[6:7], vcc
	s_cbranch_execz .LBB42_49
; %bb.1:
	s_load_dword s1, s[0:1], 0x0
	s_add_u32 s34, s4, 0x1a0
	s_load_dword s0, s[4:5], 0x338
	s_addc_u32 s35, s5, 0
	s_load_dwordx2 s[6:7], s[4:5], 0x350
	s_load_dwordx2 s[12:13], s[4:5], 0x0
	s_waitcnt lgkmcnt(0)
	s_mul_i32 s24, s1, s2
	s_mov_b32 s25, 0
	s_add_i32 s2, s0, -2
	s_ashr_i32 s3, s2, 31
	s_ashr_i32 s1, s0, 31
	s_lshl_b64 s[16:17], s[2:3], 3
	s_add_u32 s16, s34, s16
	s_addc_u32 s17, s35, s17
	s_lshl_b64 s[22:23], s[0:1], 3
	s_add_u32 s18, s4, s22
	s_addc_u32 s19, s5, s23
	s_add_i32 s20, s0, -3
	s_ashr_i32 s21, s20, 31
	s_add_u32 s22, s34, s22
	v_cmp_gt_i64_e64 s[14:15], s[0:1], 2
	s_addc_u32 s23, s35, s23
	s_lshl_b32 s33, s24, 2
	s_and_b32 s24, s2, 3
	s_and_b32 s0, s20, 3
	s_cmp_lg_u32 s0, 3
	s_cselect_b64 s[26:27], -1, 0
	s_cmp_gt_u32 s20, 2
	s_cselect_b64 s[28:29], -1, 0
	s_lshl_b64 s[0:1], s[20:21], 3
	s_add_u32 s2, s4, s0
	s_addc_u32 s3, s5, s1
	s_add_u32 s30, s2, 0xd0
	s_addc_u32 s31, s3, 0
	;; [unrolled: 2-line block ×3, first 2 shown]
	s_add_u32 s34, s0, 8
	s_load_dwordx2 s[16:17], s[16:17], 0x8
	s_addc_u32 s35, s1, 0
	s_add_u32 s64, s4, 0xb8
	s_addc_u32 s65, s5, 0
	s_add_u32 s66, s4, 0x190
	s_addc_u32 s67, s5, 0
	s_mov_b64 s[4:5], 0
	s_branch .LBB42_3
.LBB42_2:                               ;   in Loop: Header=BB42_3 Depth=1
	s_or_b64 exec, exec, s[36:37]
	v_add_co_u32_e32 v0, vcc, s33, v0
	v_addc_co_u32_e32 v1, vcc, 0, v1, vcc
	v_cmp_le_i64_e32 vcc, s[10:11], v[0:1]
	s_or_b64 s[4:5], vcc, s[4:5]
	s_andn2_b64 exec, exec, s[4:5]
	s_cbranch_execz .LBB42_49
.LBB42_3:                               ; =>This Loop Header: Depth=1
                                        ;     Child Loop BB42_17 Depth 2
                                        ;     Child Loop BB42_22 Depth 2
	v_or_b32_e32 v3, s7, v1
	v_cmp_ne_u64_e32 vcc, 0, v[2:3]
                                        ; implicit-def: $vgpr6_vgpr7
	s_and_saveexec_b64 s[0:1], vcc
	s_xor_b64 s[2:3], exec, s[0:1]
	s_cbranch_execz .LBB42_5
; %bb.4:                                ;   in Loop: Header=BB42_3 Depth=1
	s_ashr_i32 s36, s7, 31
	s_add_u32 s0, s6, s36
	s_mov_b32 s37, s36
	s_addc_u32 s1, s7, s36
	s_xor_b64 s[38:39], s[0:1], s[36:37]
	v_cvt_f32_u32_e32 v3, s38
	v_cvt_f32_u32_e32 v4, s39
	s_sub_u32 s37, 0, s38
	s_subb_u32 s40, 0, s39
	v_ashrrev_i32_e32 v7, 31, v1
	v_mac_f32_e32 v3, 0x4f800000, v4
	v_rcp_f32_e32 v3, v3
	v_mul_f32_e32 v3, 0x5f7ffffc, v3
	v_mul_f32_e32 v4, 0x2f800000, v3
	v_trunc_f32_e32 v4, v4
	v_mac_f32_e32 v3, 0xcf800000, v4
	v_cvt_u32_f32_e32 v4, v4
	v_cvt_u32_f32_e32 v3, v3
	v_readfirstlane_b32 s41, v4
	v_readfirstlane_b32 s0, v3
	s_mul_i32 s1, s37, s41
	s_mul_hi_u32 s43, s37, s0
	s_mul_i32 s42, s40, s0
	s_add_i32 s1, s43, s1
	s_add_i32 s1, s1, s42
	s_mul_i32 s44, s37, s0
	s_mul_i32 s43, s0, s1
	s_mul_hi_u32 s45, s0, s44
	s_mul_hi_u32 s42, s0, s1
	s_add_u32 s43, s45, s43
	s_addc_u32 s42, 0, s42
	s_mul_hi_u32 s46, s41, s44
	s_mul_i32 s44, s41, s44
	s_add_u32 s43, s43, s44
	s_mul_hi_u32 s45, s41, s1
	s_addc_u32 s42, s42, s46
	s_addc_u32 s43, s45, 0
	s_mul_i32 s1, s41, s1
	s_add_u32 s1, s42, s1
	s_addc_u32 s42, 0, s43
	s_add_u32 s43, s0, s1
	s_cselect_b64 s[0:1], -1, 0
	s_cmp_lg_u64 s[0:1], 0
	s_addc_u32 s41, s41, s42
	s_mul_i32 s0, s37, s41
	s_mul_hi_u32 s1, s37, s43
	s_add_i32 s0, s1, s0
	s_mul_i32 s40, s40, s43
	s_add_i32 s0, s0, s40
	s_mul_i32 s37, s37, s43
	s_mul_hi_u32 s40, s41, s37
	s_mul_i32 s42, s41, s37
	s_mul_i32 s45, s43, s0
	s_mul_hi_u32 s37, s43, s37
	s_mul_hi_u32 s44, s43, s0
	s_add_u32 s37, s37, s45
	s_addc_u32 s44, 0, s44
	s_add_u32 s37, s37, s42
	s_mul_hi_u32 s1, s41, s0
	s_addc_u32 s37, s44, s40
	s_addc_u32 s1, s1, 0
	s_mul_i32 s0, s41, s0
	s_add_u32 s0, s37, s0
	s_addc_u32 s37, 0, s1
	s_add_u32 s40, s43, s0
	s_cselect_b64 s[0:1], -1, 0
	s_cmp_lg_u64 s[0:1], 0
	v_add_co_u32_e32 v3, vcc, v0, v7
	s_addc_u32 s37, s41, s37
	v_xor_b32_e32 v8, v3, v7
	v_mad_u64_u32 v[3:4], s[0:1], v8, s37, 0
	v_mul_hi_u32 v6, v8, s40
	v_addc_co_u32_e32 v5, vcc, v1, v7, vcc
	v_xor_b32_e32 v9, v5, v7
	v_add_co_u32_e32 v10, vcc, v6, v3
	v_addc_co_u32_e32 v11, vcc, 0, v4, vcc
	v_mad_u64_u32 v[3:4], s[0:1], v9, s40, 0
	v_mad_u64_u32 v[5:6], s[0:1], v9, s37, 0
	v_add_co_u32_e32 v3, vcc, v10, v3
	v_addc_co_u32_e32 v3, vcc, v11, v4, vcc
	v_addc_co_u32_e32 v4, vcc, 0, v6, vcc
	v_add_co_u32_e32 v5, vcc, v3, v5
	v_addc_co_u32_e32 v6, vcc, 0, v4, vcc
	v_mul_lo_u32 v10, s39, v5
	v_mul_lo_u32 v11, s38, v6
	v_mad_u64_u32 v[3:4], s[0:1], s38, v5, 0
	v_add3_u32 v4, v4, v11, v10
	v_sub_u32_e32 v10, v9, v4
	v_mov_b32_e32 v11, s39
	v_sub_co_u32_e32 v3, vcc, v8, v3
	v_subb_co_u32_e64 v8, s[0:1], v10, v11, vcc
	v_subrev_co_u32_e64 v10, s[0:1], s38, v3
	v_subbrev_co_u32_e64 v8, s[0:1], 0, v8, s[0:1]
	v_cmp_le_u32_e64 s[0:1], s39, v8
	v_cndmask_b32_e64 v11, 0, -1, s[0:1]
	v_cmp_le_u32_e64 s[0:1], s38, v10
	v_cndmask_b32_e64 v10, 0, -1, s[0:1]
	v_cmp_eq_u32_e64 s[0:1], s39, v8
	v_cndmask_b32_e64 v8, v11, v10, s[0:1]
	v_add_co_u32_e64 v10, s[0:1], 2, v5
	v_subb_co_u32_e32 v4, vcc, v9, v4, vcc
	v_addc_co_u32_e64 v11, s[0:1], 0, v6, s[0:1]
	v_cmp_le_u32_e32 vcc, s39, v4
	v_add_co_u32_e64 v12, s[0:1], 1, v5
	v_cndmask_b32_e64 v9, 0, -1, vcc
	v_cmp_le_u32_e32 vcc, s38, v3
	v_addc_co_u32_e64 v13, s[0:1], 0, v6, s[0:1]
	v_cndmask_b32_e64 v3, 0, -1, vcc
	v_cmp_eq_u32_e32 vcc, s39, v4
	v_cmp_ne_u32_e64 s[0:1], 0, v8
	v_cndmask_b32_e32 v3, v9, v3, vcc
	v_cmp_ne_u32_e32 vcc, 0, v3
	v_cndmask_b32_e64 v4, v12, v10, s[0:1]
	v_cndmask_b32_e64 v8, v13, v11, s[0:1]
	v_cndmask_b32_e32 v4, v5, v4, vcc
	v_xor_b32_e32 v5, s36, v7
	v_cndmask_b32_e32 v3, v6, v8, vcc
	v_xor_b32_e32 v4, v4, v5
	v_xor_b32_e32 v3, v3, v5
	v_sub_co_u32_e32 v6, vcc, v4, v5
	v_subb_co_u32_e32 v7, vcc, v3, v5, vcc
.LBB42_5:                               ;   in Loop: Header=BB42_3 Depth=1
	s_andn2_saveexec_b64 s[0:1], s[2:3]
	s_cbranch_execz .LBB42_7
; %bb.6:                                ;   in Loop: Header=BB42_3 Depth=1
	v_cvt_f32_u32_e32 v3, s6
	s_sub_i32 s2, 0, s6
	v_mov_b32_e32 v7, v2
	v_rcp_iflag_f32_e32 v3, v3
	v_mul_f32_e32 v3, 0x4f7ffffe, v3
	v_cvt_u32_f32_e32 v3, v3
	v_mul_lo_u32 v4, s2, v3
	v_mul_hi_u32 v4, v3, v4
	v_add_u32_e32 v3, v3, v4
	v_mul_hi_u32 v3, v0, v3
	v_mul_lo_u32 v4, v3, s6
	v_add_u32_e32 v5, 1, v3
	v_sub_u32_e32 v4, v0, v4
	v_subrev_u32_e32 v6, s6, v4
	v_cmp_le_u32_e32 vcc, s6, v4
	v_cndmask_b32_e32 v4, v4, v6, vcc
	v_cndmask_b32_e32 v3, v3, v5, vcc
	v_add_u32_e32 v5, 1, v3
	v_cmp_le_u32_e32 vcc, s6, v4
	v_cndmask_b32_e32 v6, v3, v5, vcc
.LBB42_7:                               ;   in Loop: Header=BB42_3 Depth=1
	s_or_b64 exec, exec, s[0:1]
	s_waitcnt lgkmcnt(0)
	v_or_b32_e32 v3, s17, v7
	v_cmp_ne_u64_e32 vcc, 0, v[2:3]
                                        ; implicit-def: $vgpr10_vgpr11
	s_and_saveexec_b64 s[0:1], vcc
	s_xor_b64 s[2:3], exec, s[0:1]
	s_cbranch_execz .LBB42_9
; %bb.8:                                ;   in Loop: Header=BB42_3 Depth=1
	s_ashr_i32 s36, s17, 31
	s_add_u32 s0, s16, s36
	s_mov_b32 s37, s36
	s_addc_u32 s1, s17, s36
	s_xor_b64 s[38:39], s[0:1], s[36:37]
	v_cvt_f32_u32_e32 v3, s38
	v_cvt_f32_u32_e32 v4, s39
	s_sub_u32 s37, 0, s38
	s_subb_u32 s40, 0, s39
	v_ashrrev_i32_e32 v5, 31, v7
	v_mac_f32_e32 v3, 0x4f800000, v4
	v_rcp_f32_e32 v3, v3
	v_mul_f32_e32 v3, 0x5f7ffffc, v3
	v_mul_f32_e32 v4, 0x2f800000, v3
	v_trunc_f32_e32 v4, v4
	v_mac_f32_e32 v3, 0xcf800000, v4
	v_cvt_u32_f32_e32 v4, v4
	v_cvt_u32_f32_e32 v3, v3
	v_readfirstlane_b32 s41, v4
	v_readfirstlane_b32 s0, v3
	s_mul_i32 s1, s37, s41
	s_mul_hi_u32 s43, s37, s0
	s_mul_i32 s42, s40, s0
	s_add_i32 s1, s43, s1
	s_add_i32 s1, s1, s42
	s_mul_i32 s44, s37, s0
	s_mul_i32 s43, s0, s1
	s_mul_hi_u32 s45, s0, s44
	s_mul_hi_u32 s42, s0, s1
	s_add_u32 s43, s45, s43
	s_addc_u32 s42, 0, s42
	s_mul_hi_u32 s46, s41, s44
	s_mul_i32 s44, s41, s44
	s_add_u32 s43, s43, s44
	s_mul_hi_u32 s45, s41, s1
	s_addc_u32 s42, s42, s46
	s_addc_u32 s43, s45, 0
	s_mul_i32 s1, s41, s1
	s_add_u32 s1, s42, s1
	s_addc_u32 s42, 0, s43
	s_add_u32 s43, s0, s1
	s_cselect_b64 s[0:1], -1, 0
	s_cmp_lg_u64 s[0:1], 0
	s_addc_u32 s41, s41, s42
	s_mul_i32 s0, s37, s41
	s_mul_hi_u32 s1, s37, s43
	s_add_i32 s0, s1, s0
	s_mul_i32 s40, s40, s43
	s_add_i32 s0, s0, s40
	s_mul_i32 s37, s37, s43
	s_mul_hi_u32 s40, s41, s37
	s_mul_i32 s42, s41, s37
	s_mul_i32 s45, s43, s0
	s_mul_hi_u32 s37, s43, s37
	s_mul_hi_u32 s44, s43, s0
	s_add_u32 s37, s37, s45
	s_addc_u32 s44, 0, s44
	s_add_u32 s37, s37, s42
	s_mul_hi_u32 s1, s41, s0
	s_addc_u32 s37, s44, s40
	s_addc_u32 s1, s1, 0
	s_mul_i32 s0, s41, s0
	s_add_u32 s0, s37, s0
	s_addc_u32 s37, 0, s1
	s_add_u32 s40, s43, s0
	s_cselect_b64 s[0:1], -1, 0
	s_cmp_lg_u64 s[0:1], 0
	v_add_co_u32_e32 v3, vcc, v6, v5
	s_addc_u32 s37, s41, s37
	v_xor_b32_e32 v10, v3, v5
	v_mad_u64_u32 v[3:4], s[0:1], v10, s37, 0
	v_mul_hi_u32 v9, v10, s40
	v_addc_co_u32_e32 v8, vcc, v7, v5, vcc
	v_xor_b32_e32 v11, v8, v5
	v_add_co_u32_e32 v12, vcc, v9, v3
	v_addc_co_u32_e32 v13, vcc, 0, v4, vcc
	v_mad_u64_u32 v[3:4], s[0:1], v11, s40, 0
	v_mad_u64_u32 v[8:9], s[0:1], v11, s37, 0
	v_add_co_u32_e32 v3, vcc, v12, v3
	v_addc_co_u32_e32 v3, vcc, v13, v4, vcc
	v_addc_co_u32_e32 v4, vcc, 0, v9, vcc
	v_add_co_u32_e32 v8, vcc, v3, v8
	v_addc_co_u32_e32 v9, vcc, 0, v4, vcc
	v_mul_lo_u32 v12, s39, v8
	v_mul_lo_u32 v13, s38, v9
	v_mad_u64_u32 v[3:4], s[0:1], s38, v8, 0
	v_xor_b32_e32 v5, s36, v5
	v_add3_u32 v4, v4, v13, v12
	v_sub_u32_e32 v12, v11, v4
	v_mov_b32_e32 v13, s39
	v_sub_co_u32_e32 v3, vcc, v10, v3
	v_subb_co_u32_e64 v10, s[0:1], v12, v13, vcc
	v_subrev_co_u32_e64 v12, s[0:1], s38, v3
	v_subbrev_co_u32_e64 v10, s[0:1], 0, v10, s[0:1]
	v_cmp_le_u32_e64 s[0:1], s39, v10
	v_cndmask_b32_e64 v13, 0, -1, s[0:1]
	v_cmp_le_u32_e64 s[0:1], s38, v12
	v_cndmask_b32_e64 v12, 0, -1, s[0:1]
	v_cmp_eq_u32_e64 s[0:1], s39, v10
	v_cndmask_b32_e64 v10, v13, v12, s[0:1]
	v_add_co_u32_e64 v12, s[0:1], 2, v8
	v_subb_co_u32_e32 v4, vcc, v11, v4, vcc
	v_addc_co_u32_e64 v13, s[0:1], 0, v9, s[0:1]
	v_cmp_le_u32_e32 vcc, s39, v4
	v_add_co_u32_e64 v14, s[0:1], 1, v8
	v_cndmask_b32_e64 v11, 0, -1, vcc
	v_cmp_le_u32_e32 vcc, s38, v3
	v_addc_co_u32_e64 v15, s[0:1], 0, v9, s[0:1]
	v_cndmask_b32_e64 v3, 0, -1, vcc
	v_cmp_eq_u32_e32 vcc, s39, v4
	v_cmp_ne_u32_e64 s[0:1], 0, v10
	v_cndmask_b32_e32 v3, v11, v3, vcc
	v_cmp_ne_u32_e32 vcc, 0, v3
	v_cndmask_b32_e64 v4, v14, v12, s[0:1]
	v_cndmask_b32_e64 v10, v15, v13, s[0:1]
	v_cndmask_b32_e32 v4, v8, v4, vcc
	v_cndmask_b32_e32 v3, v9, v10, vcc
	v_xor_b32_e32 v4, v4, v5
	v_xor_b32_e32 v3, v3, v5
	v_sub_co_u32_e32 v10, vcc, v4, v5
	v_subb_co_u32_e32 v11, vcc, v3, v5, vcc
.LBB42_9:                               ;   in Loop: Header=BB42_3 Depth=1
	s_andn2_saveexec_b64 s[0:1], s[2:3]
	s_cbranch_execz .LBB42_11
; %bb.10:                               ;   in Loop: Header=BB42_3 Depth=1
	v_cvt_f32_u32_e32 v3, s16
	s_sub_i32 s2, 0, s16
	v_mov_b32_e32 v11, v2
	v_rcp_iflag_f32_e32 v3, v3
	v_mul_f32_e32 v3, 0x4f7ffffe, v3
	v_cvt_u32_f32_e32 v3, v3
	v_mul_lo_u32 v4, s2, v3
	v_mul_hi_u32 v4, v3, v4
	v_add_u32_e32 v3, v3, v4
	v_mul_hi_u32 v3, v6, v3
	v_mul_lo_u32 v4, v3, s16
	v_add_u32_e32 v5, 1, v3
	v_sub_u32_e32 v4, v6, v4
	v_subrev_u32_e32 v8, s16, v4
	v_cmp_le_u32_e32 vcc, s16, v4
	v_cndmask_b32_e32 v4, v4, v8, vcc
	v_cndmask_b32_e32 v3, v3, v5, vcc
	v_add_u32_e32 v5, 1, v3
	v_cmp_le_u32_e32 vcc, s16, v4
	v_cndmask_b32_e32 v10, v3, v5, vcc
.LBB42_11:                              ;   in Loop: Header=BB42_3 Depth=1
	s_or_b64 exec, exec, s[0:1]
	v_mul_lo_u32 v5, v7, s6
	v_mul_lo_u32 v8, v6, s7
	v_mad_u64_u32 v[3:4], s[0:1], v6, s6, 0
	v_mul_lo_u32 v12, v11, s16
	v_mul_lo_u32 v13, v10, s17
	v_add3_u32 v5, v4, v8, v5
	v_mad_u64_u32 v[8:9], s[0:1], v10, s16, 0
	v_sub_co_u32_e32 v4, vcc, v0, v3
	v_subb_co_u32_e32 v5, vcc, v1, v5, vcc
	v_add3_u32 v3, v9, v13, v12
	v_sub_co_u32_e32 v20, vcc, v6, v8
	v_subb_co_u32_e32 v21, vcc, v7, v3, vcc
	v_sub_co_u32_e32 v6, vcc, v4, v20
	v_subb_co_u32_e32 v7, vcc, v5, v21, vcc
	v_add_co_u32_e32 v8, vcc, 4, v6
	v_addc_co_u32_e32 v9, vcc, 0, v7, vcc
	v_cmp_lt_i64_e32 vcc, s[8:9], v[8:9]
	s_and_saveexec_b64 s[36:37], vcc
	s_cbranch_execz .LBB42_2
; %bb.12:                               ;   in Loop: Header=BB42_3 Depth=1
	s_load_dwordx4 s[0:3], s[18:19], 0xc0
	s_andn2_b64 vcc, exec, s[14:15]
	s_waitcnt lgkmcnt(0)
	v_mul_lo_u32 v3, s3, v4
	v_mul_lo_u32 v12, s2, v5
	v_mad_u64_u32 v[8:9], s[38:39], s2, v4, 0
	v_mul_lo_u32 v13, s0, v21
	v_add3_u32 v9, v9, v12, v3
	v_mad_u64_u32 v[8:9], s[38:39], s0, v20, v[8:9]
	v_mul_lo_u32 v3, s1, v20
	v_add3_u32 v9, v3, v9, v13
	s_cbranch_vccnz .LBB42_38
; %bb.13:                               ;   in Loop: Header=BB42_3 Depth=1
	s_andn2_b64 vcc, exec, s[26:27]
	s_mov_b64 s[38:39], s[24:25]
	s_mov_b64 s[40:41], s[34:35]
	;; [unrolled: 1-line block ×4, first 2 shown]
	s_cbranch_vccz .LBB42_17
.LBB42_14:                              ;   in Loop: Header=BB42_3 Depth=1
	s_andn2_b64 vcc, exec, s[28:29]
	s_cbranch_vccnz .LBB42_38
; %bb.15:                               ;   in Loop: Header=BB42_3 Depth=1
	s_lshl_b64 s[0:1], s[42:43], 3
	s_add_u32 s38, s64, s0
	s_addc_u32 s39, s65, s1
	s_add_u32 s40, s66, s0
	s_addc_u32 s41, s67, s1
	;; [unrolled: 2-line block ×3, first 2 shown]
	s_branch .LBB42_22
.LBB42_16:                              ;   in Loop: Header=BB42_17 Depth=2
	s_or_b64 exec, exec, s[0:1]
	v_mul_lo_u32 v3, v13, s46
	v_mul_lo_u32 v16, v12, s47
	v_mad_u64_u32 v[14:15], s[0:1], v12, s46, 0
	s_load_dwordx2 s[0:1], s[44:45], 0x0
	s_add_u32 s42, s42, -1
	v_add3_u32 v3, v15, v16, v3
	v_sub_co_u32_e32 v10, vcc, v10, v14
	s_addc_u32 s43, s43, -1
	v_subb_co_u32_e32 v3, vcc, v11, v3, vcc
	s_add_u32 s44, s44, -8
	s_waitcnt lgkmcnt(0)
	v_mul_lo_u32 v3, s0, v3
	v_mul_lo_u32 v11, s1, v10
	v_mad_u64_u32 v[8:9], s[0:1], s0, v10, v[8:9]
	s_addc_u32 s45, s45, -1
	s_add_u32 s40, s40, -8
	s_addc_u32 s41, s41, -1
	s_add_u32 s38, s38, -1
	s_addc_u32 s39, s39, -1
	v_add3_u32 v9, v11, v9, v3
	v_mov_b32_e32 v10, v12
	s_cmp_lg_u64 s[38:39], 0
	v_mov_b32_e32 v11, v13
	s_cbranch_scc0 .LBB42_14
.LBB42_17:                              ;   Parent Loop BB42_3 Depth=1
                                        ; =>  This Inner Loop Header: Depth=2
	s_load_dwordx2 s[46:47], s[40:41], 0x0
                                        ; implicit-def: $vgpr12_vgpr13
	s_waitcnt lgkmcnt(0)
	v_or_b32_e32 v3, s47, v11
	v_cmp_ne_u64_e32 vcc, 0, v[2:3]
	s_and_saveexec_b64 s[0:1], vcc
	s_xor_b64 s[48:49], exec, s[0:1]
	s_cbranch_execz .LBB42_19
; %bb.18:                               ;   in Loop: Header=BB42_17 Depth=2
	s_ashr_i32 s50, s47, 31
	s_add_u32 s0, s46, s50
	s_mov_b32 s51, s50
	s_addc_u32 s1, s47, s50
	s_xor_b64 s[52:53], s[0:1], s[50:51]
	v_cvt_f32_u32_e32 v3, s52
	v_cvt_f32_u32_e32 v12, s53
	s_sub_u32 s51, 0, s52
	s_subb_u32 s54, 0, s53
	v_mac_f32_e32 v3, 0x4f800000, v12
	v_rcp_f32_e32 v3, v3
	v_mul_f32_e32 v3, 0x5f7ffffc, v3
	v_mul_f32_e32 v12, 0x2f800000, v3
	v_trunc_f32_e32 v12, v12
	v_mac_f32_e32 v3, 0xcf800000, v12
	v_cvt_u32_f32_e32 v12, v12
	v_cvt_u32_f32_e32 v3, v3
	v_readfirstlane_b32 s55, v12
	v_readfirstlane_b32 s0, v3
	s_mul_i32 s1, s51, s55
	s_mul_hi_u32 s57, s51, s0
	s_mul_i32 s56, s54, s0
	s_add_i32 s1, s57, s1
	s_add_i32 s1, s1, s56
	s_mul_i32 s58, s51, s0
	s_mul_i32 s57, s0, s1
	s_mul_hi_u32 s59, s0, s58
	s_mul_hi_u32 s56, s0, s1
	s_add_u32 s57, s59, s57
	s_addc_u32 s56, 0, s56
	s_mul_hi_u32 s60, s55, s58
	s_mul_i32 s58, s55, s58
	s_add_u32 s57, s57, s58
	s_mul_hi_u32 s59, s55, s1
	s_addc_u32 s56, s56, s60
	s_addc_u32 s57, s59, 0
	s_mul_i32 s1, s55, s1
	s_add_u32 s1, s56, s1
	s_addc_u32 s56, 0, s57
	s_add_u32 s57, s0, s1
	s_cselect_b64 s[0:1], -1, 0
	s_cmp_lg_u64 s[0:1], 0
	s_addc_u32 s55, s55, s56
	s_mul_i32 s0, s51, s55
	s_mul_hi_u32 s1, s51, s57
	s_add_i32 s0, s1, s0
	s_mul_i32 s54, s54, s57
	s_add_i32 s0, s0, s54
	s_mul_i32 s51, s51, s57
	s_mul_hi_u32 s54, s55, s51
	s_mul_i32 s56, s55, s51
	s_mul_i32 s59, s57, s0
	s_mul_hi_u32 s51, s57, s51
	s_mul_hi_u32 s58, s57, s0
	s_add_u32 s51, s51, s59
	s_addc_u32 s58, 0, s58
	s_add_u32 s51, s51, s56
	s_mul_hi_u32 s1, s55, s0
	s_addc_u32 s51, s58, s54
	s_addc_u32 s1, s1, 0
	s_mul_i32 s0, s55, s0
	s_add_u32 s0, s51, s0
	s_addc_u32 s51, 0, s1
	s_add_u32 s54, s57, s0
	s_cselect_b64 s[0:1], -1, 0
	v_ashrrev_i32_e32 v3, 31, v11
	s_cmp_lg_u64 s[0:1], 0
	v_add_co_u32_e32 v12, vcc, v10, v3
	s_addc_u32 s51, s55, s51
	v_xor_b32_e32 v16, v12, v3
	v_mad_u64_u32 v[12:13], s[0:1], v16, s51, 0
	v_mul_hi_u32 v15, v16, s54
	v_addc_co_u32_e32 v14, vcc, v11, v3, vcc
	v_xor_b32_e32 v17, v14, v3
	v_add_co_u32_e32 v18, vcc, v15, v12
	v_addc_co_u32_e32 v19, vcc, 0, v13, vcc
	v_mad_u64_u32 v[12:13], s[0:1], v17, s54, 0
	v_mad_u64_u32 v[14:15], s[0:1], v17, s51, 0
	v_add_co_u32_e32 v12, vcc, v18, v12
	v_addc_co_u32_e32 v12, vcc, v19, v13, vcc
	v_addc_co_u32_e32 v13, vcc, 0, v15, vcc
	v_add_co_u32_e32 v14, vcc, v12, v14
	v_addc_co_u32_e32 v15, vcc, 0, v13, vcc
	v_mul_lo_u32 v18, s53, v14
	v_mul_lo_u32 v19, s52, v15
	v_mad_u64_u32 v[12:13], s[0:1], s52, v14, 0
	v_xor_b32_e32 v3, s50, v3
	v_add3_u32 v13, v13, v19, v18
	v_sub_u32_e32 v18, v17, v13
	v_mov_b32_e32 v19, s53
	v_sub_co_u32_e32 v12, vcc, v16, v12
	v_subb_co_u32_e64 v16, s[0:1], v18, v19, vcc
	v_subrev_co_u32_e64 v18, s[0:1], s52, v12
	v_subbrev_co_u32_e64 v16, s[0:1], 0, v16, s[0:1]
	v_cmp_le_u32_e64 s[0:1], s53, v16
	v_cndmask_b32_e64 v19, 0, -1, s[0:1]
	v_cmp_le_u32_e64 s[0:1], s52, v18
	v_cndmask_b32_e64 v18, 0, -1, s[0:1]
	v_cmp_eq_u32_e64 s[0:1], s53, v16
	v_cndmask_b32_e64 v16, v19, v18, s[0:1]
	v_add_co_u32_e64 v18, s[0:1], 2, v14
	v_subb_co_u32_e32 v13, vcc, v17, v13, vcc
	v_addc_co_u32_e64 v19, s[0:1], 0, v15, s[0:1]
	v_cmp_le_u32_e32 vcc, s53, v13
	v_add_co_u32_e64 v22, s[0:1], 1, v14
	v_cndmask_b32_e64 v17, 0, -1, vcc
	v_cmp_le_u32_e32 vcc, s52, v12
	v_addc_co_u32_e64 v23, s[0:1], 0, v15, s[0:1]
	v_cndmask_b32_e64 v12, 0, -1, vcc
	v_cmp_eq_u32_e32 vcc, s53, v13
	v_cmp_ne_u32_e64 s[0:1], 0, v16
	v_cndmask_b32_e32 v12, v17, v12, vcc
	v_cndmask_b32_e64 v16, v23, v19, s[0:1]
	v_cmp_ne_u32_e32 vcc, 0, v12
	v_cndmask_b32_e64 v13, v22, v18, s[0:1]
	v_cndmask_b32_e32 v12, v15, v16, vcc
	v_cndmask_b32_e32 v13, v14, v13, vcc
	v_xor_b32_e32 v14, v12, v3
	v_xor_b32_e32 v12, v13, v3
	v_sub_co_u32_e32 v12, vcc, v12, v3
	v_subb_co_u32_e32 v13, vcc, v14, v3, vcc
.LBB42_19:                              ;   in Loop: Header=BB42_17 Depth=2
	s_andn2_saveexec_b64 s[0:1], s[48:49]
	s_cbranch_execz .LBB42_16
; %bb.20:                               ;   in Loop: Header=BB42_17 Depth=2
	v_cvt_f32_u32_e32 v3, s46
	s_sub_i32 s48, 0, s46
	v_rcp_iflag_f32_e32 v3, v3
	v_mul_f32_e32 v3, 0x4f7ffffe, v3
	v_cvt_u32_f32_e32 v3, v3
	v_mul_lo_u32 v12, s48, v3
	v_mul_hi_u32 v12, v3, v12
	v_add_u32_e32 v3, v3, v12
	v_mul_hi_u32 v3, v10, v3
	v_mul_lo_u32 v12, v3, s46
	v_add_u32_e32 v13, 1, v3
	v_sub_u32_e32 v12, v10, v12
	v_subrev_u32_e32 v14, s46, v12
	v_cmp_le_u32_e32 vcc, s46, v12
	v_cndmask_b32_e32 v12, v12, v14, vcc
	v_cndmask_b32_e32 v3, v3, v13, vcc
	v_add_u32_e32 v13, 1, v3
	v_cmp_le_u32_e32 vcc, s46, v12
	v_cndmask_b32_e32 v12, v3, v13, vcc
	v_mov_b32_e32 v13, v2
	s_branch .LBB42_16
.LBB42_21:                              ;   in Loop: Header=BB42_22 Depth=2
	s_or_b64 exec, exec, s[0:1]
	v_mul_lo_u32 v3, v13, s44
	v_mul_lo_u32 v24, v12, s45
	v_mad_u64_u32 v[22:23], s[0:1], v12, s44, 0
	v_add3_u32 v3, v23, v24, v3
	v_sub_co_u32_e32 v10, vcc, v10, v22
	v_subb_co_u32_e32 v3, vcc, v11, v3, vcc
	v_mul_lo_u32 v3, s48, v3
	v_mul_lo_u32 v22, s49, v10
	v_mad_u64_u32 v[8:9], s[0:1], s48, v10, v[8:9]
	v_mul_lo_u32 v23, v15, s46
	v_mul_lo_u32 v24, v14, s47
	v_mad_u64_u32 v[10:11], s[0:1], v14, s46, 0
	v_add3_u32 v9, v22, v9, v3
	v_mul_lo_u32 v22, v16, s51
	v_add3_u32 v3, v11, v24, v23
	v_sub_co_u32_e32 v10, vcc, v12, v10
	v_subb_co_u32_e32 v3, vcc, v13, v3, vcc
	v_mad_u64_u32 v[8:9], s[0:1], s52, v10, v[8:9]
	v_mul_lo_u32 v3, s52, v3
	v_mul_lo_u32 v12, s53, v10
	;; [unrolled: 1-line block ×3, first 2 shown]
	v_mad_u64_u32 v[10:11], s[0:1], v16, s50, 0
	v_add3_u32 v9, v12, v9, v3
	v_add3_u32 v3, v11, v22, v13
	v_sub_co_u32_e32 v10, vcc, v14, v10
	v_subb_co_u32_e32 v3, vcc, v15, v3, vcc
	v_mad_u64_u32 v[8:9], s[0:1], s56, v10, v[8:9]
	v_mul_lo_u32 v3, s56, v3
	v_mul_lo_u32 v12, s57, v10
	;; [unrolled: 1-line block ×4, first 2 shown]
	v_mad_u64_u32 v[10:11], s[0:1], v18, s54, 0
	s_load_dwordx2 s[0:1], s[38:39], 0x0
	v_add3_u32 v9, v12, v9, v3
	v_add3_u32 v3, v11, v14, v13
	v_sub_co_u32_e32 v10, vcc, v16, v10
	v_subb_co_u32_e32 v3, vcc, v17, v3, vcc
	s_add_u32 s38, s38, 0xffffffe0
	s_waitcnt lgkmcnt(0)
	v_mad_u64_u32 v[8:9], s[44:45], s0, v10, v[8:9]
	v_mul_lo_u32 v3, s0, v3
	v_mul_lo_u32 v10, s1, v10
	s_addc_u32 s39, s39, -1
	s_add_u32 s40, s40, 0xffffffe0
	s_addc_u32 s41, s41, -1
	s_add_u32 s42, s42, -4
	v_add3_u32 v9, v10, v9, v3
	s_addc_u32 s43, s43, -1
	v_mov_b32_e32 v10, v18
	s_cmp_eq_u64 s[42:43], 0
	v_mov_b32_e32 v11, v19
	s_cbranch_scc1 .LBB42_38
.LBB42_22:                              ;   Parent Loop BB42_3 Depth=1
                                        ; =>  This Inner Loop Header: Depth=2
	s_load_dwordx2 s[44:45], s[40:41], 0x18
                                        ; implicit-def: $vgpr12_vgpr13
	s_waitcnt lgkmcnt(0)
	v_or_b32_e32 v3, s45, v11
	v_cmp_ne_u64_e32 vcc, 0, v[2:3]
	s_and_saveexec_b64 s[0:1], vcc
	s_xor_b64 s[46:47], exec, s[0:1]
	s_cbranch_execz .LBB42_24
; %bb.23:                               ;   in Loop: Header=BB42_22 Depth=2
	s_ashr_i32 s48, s45, 31
	s_add_u32 s0, s44, s48
	s_mov_b32 s49, s48
	s_addc_u32 s1, s45, s48
	s_xor_b64 s[50:51], s[0:1], s[48:49]
	v_cvt_f32_u32_e32 v3, s50
	v_cvt_f32_u32_e32 v12, s51
	s_sub_u32 s49, 0, s50
	s_subb_u32 s52, 0, s51
	v_mac_f32_e32 v3, 0x4f800000, v12
	v_rcp_f32_e32 v3, v3
	v_mul_f32_e32 v3, 0x5f7ffffc, v3
	v_mul_f32_e32 v12, 0x2f800000, v3
	v_trunc_f32_e32 v12, v12
	v_mac_f32_e32 v3, 0xcf800000, v12
	v_cvt_u32_f32_e32 v12, v12
	v_cvt_u32_f32_e32 v3, v3
	v_readfirstlane_b32 s53, v12
	v_readfirstlane_b32 s0, v3
	s_mul_i32 s1, s49, s53
	s_mul_hi_u32 s55, s49, s0
	s_mul_i32 s54, s52, s0
	s_add_i32 s1, s55, s1
	s_add_i32 s1, s1, s54
	s_mul_i32 s56, s49, s0
	s_mul_i32 s55, s0, s1
	s_mul_hi_u32 s57, s0, s56
	s_mul_hi_u32 s54, s0, s1
	s_add_u32 s55, s57, s55
	s_addc_u32 s54, 0, s54
	s_mul_hi_u32 s58, s53, s56
	s_mul_i32 s56, s53, s56
	s_add_u32 s55, s55, s56
	s_mul_hi_u32 s57, s53, s1
	s_addc_u32 s54, s54, s58
	s_addc_u32 s55, s57, 0
	s_mul_i32 s1, s53, s1
	s_add_u32 s1, s54, s1
	s_addc_u32 s54, 0, s55
	s_add_u32 s55, s0, s1
	s_cselect_b64 s[0:1], -1, 0
	s_cmp_lg_u64 s[0:1], 0
	s_addc_u32 s53, s53, s54
	s_mul_i32 s0, s49, s53
	s_mul_hi_u32 s1, s49, s55
	s_add_i32 s0, s1, s0
	s_mul_i32 s52, s52, s55
	s_add_i32 s0, s0, s52
	s_mul_i32 s49, s49, s55
	s_mul_hi_u32 s52, s53, s49
	s_mul_i32 s54, s53, s49
	s_mul_i32 s57, s55, s0
	s_mul_hi_u32 s49, s55, s49
	s_mul_hi_u32 s56, s55, s0
	s_add_u32 s49, s49, s57
	s_addc_u32 s56, 0, s56
	s_add_u32 s49, s49, s54
	s_mul_hi_u32 s1, s53, s0
	s_addc_u32 s49, s56, s52
	s_addc_u32 s1, s1, 0
	s_mul_i32 s0, s53, s0
	s_add_u32 s0, s49, s0
	s_addc_u32 s49, 0, s1
	s_add_u32 s52, s55, s0
	s_cselect_b64 s[0:1], -1, 0
	v_ashrrev_i32_e32 v3, 31, v11
	s_cmp_lg_u64 s[0:1], 0
	v_add_co_u32_e32 v12, vcc, v10, v3
	s_addc_u32 s49, s53, s49
	v_xor_b32_e32 v16, v12, v3
	v_mad_u64_u32 v[12:13], s[0:1], v16, s49, 0
	v_mul_hi_u32 v15, v16, s52
	v_addc_co_u32_e32 v14, vcc, v11, v3, vcc
	v_xor_b32_e32 v17, v14, v3
	v_add_co_u32_e32 v18, vcc, v15, v12
	v_addc_co_u32_e32 v19, vcc, 0, v13, vcc
	v_mad_u64_u32 v[12:13], s[0:1], v17, s52, 0
	v_mad_u64_u32 v[14:15], s[0:1], v17, s49, 0
	v_add_co_u32_e32 v12, vcc, v18, v12
	v_addc_co_u32_e32 v12, vcc, v19, v13, vcc
	v_addc_co_u32_e32 v13, vcc, 0, v15, vcc
	v_add_co_u32_e32 v14, vcc, v12, v14
	v_addc_co_u32_e32 v15, vcc, 0, v13, vcc
	v_mul_lo_u32 v18, s51, v14
	v_mul_lo_u32 v19, s50, v15
	v_mad_u64_u32 v[12:13], s[0:1], s50, v14, 0
	v_xor_b32_e32 v3, s48, v3
	v_add3_u32 v13, v13, v19, v18
	v_sub_u32_e32 v18, v17, v13
	v_mov_b32_e32 v19, s51
	v_sub_co_u32_e32 v12, vcc, v16, v12
	v_subb_co_u32_e64 v16, s[0:1], v18, v19, vcc
	v_subrev_co_u32_e64 v18, s[0:1], s50, v12
	v_subbrev_co_u32_e64 v16, s[0:1], 0, v16, s[0:1]
	v_cmp_le_u32_e64 s[0:1], s51, v16
	v_cndmask_b32_e64 v19, 0, -1, s[0:1]
	v_cmp_le_u32_e64 s[0:1], s50, v18
	v_cndmask_b32_e64 v18, 0, -1, s[0:1]
	v_cmp_eq_u32_e64 s[0:1], s51, v16
	v_cndmask_b32_e64 v16, v19, v18, s[0:1]
	v_add_co_u32_e64 v18, s[0:1], 2, v14
	v_subb_co_u32_e32 v13, vcc, v17, v13, vcc
	v_addc_co_u32_e64 v19, s[0:1], 0, v15, s[0:1]
	v_cmp_le_u32_e32 vcc, s51, v13
	v_add_co_u32_e64 v22, s[0:1], 1, v14
	v_cndmask_b32_e64 v17, 0, -1, vcc
	v_cmp_le_u32_e32 vcc, s50, v12
	v_addc_co_u32_e64 v23, s[0:1], 0, v15, s[0:1]
	v_cndmask_b32_e64 v12, 0, -1, vcc
	v_cmp_eq_u32_e32 vcc, s51, v13
	v_cmp_ne_u32_e64 s[0:1], 0, v16
	v_cndmask_b32_e32 v12, v17, v12, vcc
	v_cndmask_b32_e64 v16, v23, v19, s[0:1]
	v_cmp_ne_u32_e32 vcc, 0, v12
	v_cndmask_b32_e64 v13, v22, v18, s[0:1]
	v_cndmask_b32_e32 v12, v15, v16, vcc
	v_cndmask_b32_e32 v13, v14, v13, vcc
	v_xor_b32_e32 v14, v12, v3
	v_xor_b32_e32 v12, v13, v3
	v_sub_co_u32_e32 v12, vcc, v12, v3
	v_subb_co_u32_e32 v13, vcc, v14, v3, vcc
.LBB42_24:                              ;   in Loop: Header=BB42_22 Depth=2
	s_andn2_saveexec_b64 s[0:1], s[46:47]
	s_cbranch_execz .LBB42_26
; %bb.25:                               ;   in Loop: Header=BB42_22 Depth=2
	v_cvt_f32_u32_e32 v3, s44
	s_sub_i32 s46, 0, s44
	v_rcp_iflag_f32_e32 v3, v3
	v_mul_f32_e32 v3, 0x4f7ffffe, v3
	v_cvt_u32_f32_e32 v3, v3
	v_mul_lo_u32 v12, s46, v3
	v_mul_hi_u32 v12, v3, v12
	v_add_u32_e32 v3, v3, v12
	v_mul_hi_u32 v3, v10, v3
	v_mul_lo_u32 v12, v3, s44
	v_add_u32_e32 v13, 1, v3
	v_sub_u32_e32 v12, v10, v12
	v_subrev_u32_e32 v14, s44, v12
	v_cmp_le_u32_e32 vcc, s44, v12
	v_cndmask_b32_e32 v12, v12, v14, vcc
	v_cndmask_b32_e32 v3, v3, v13, vcc
	v_add_u32_e32 v13, 1, v3
	v_cmp_le_u32_e32 vcc, s44, v12
	v_cndmask_b32_e32 v12, v3, v13, vcc
	v_mov_b32_e32 v13, v2
.LBB42_26:                              ;   in Loop: Header=BB42_22 Depth=2
	s_or_b64 exec, exec, s[0:1]
	s_load_dwordx2 s[46:47], s[40:41], 0x10
	s_load_dwordx2 s[48:49], s[38:39], 0x18
                                        ; implicit-def: $vgpr14_vgpr15
	s_waitcnt lgkmcnt(0)
	v_or_b32_e32 v3, s47, v13
	v_cmp_ne_u64_e32 vcc, 0, v[2:3]
	s_and_saveexec_b64 s[0:1], vcc
	s_xor_b64 s[50:51], exec, s[0:1]
	s_cbranch_execz .LBB42_28
; %bb.27:                               ;   in Loop: Header=BB42_22 Depth=2
	s_ashr_i32 s52, s47, 31
	s_add_u32 s0, s46, s52
	s_mov_b32 s53, s52
	s_addc_u32 s1, s47, s52
	s_xor_b64 s[54:55], s[0:1], s[52:53]
	v_cvt_f32_u32_e32 v3, s54
	v_cvt_f32_u32_e32 v14, s55
	s_sub_u32 s53, 0, s54
	s_subb_u32 s56, 0, s55
	v_mac_f32_e32 v3, 0x4f800000, v14
	v_rcp_f32_e32 v3, v3
	v_mul_f32_e32 v3, 0x5f7ffffc, v3
	v_mul_f32_e32 v14, 0x2f800000, v3
	v_trunc_f32_e32 v14, v14
	v_mac_f32_e32 v3, 0xcf800000, v14
	v_cvt_u32_f32_e32 v14, v14
	v_cvt_u32_f32_e32 v3, v3
	v_readfirstlane_b32 s57, v14
	v_readfirstlane_b32 s0, v3
	s_mul_i32 s1, s53, s57
	s_mul_hi_u32 s59, s53, s0
	s_mul_i32 s58, s56, s0
	s_add_i32 s1, s59, s1
	s_add_i32 s1, s1, s58
	s_mul_i32 s60, s53, s0
	s_mul_i32 s59, s0, s1
	s_mul_hi_u32 s61, s0, s60
	s_mul_hi_u32 s58, s0, s1
	s_add_u32 s59, s61, s59
	s_addc_u32 s58, 0, s58
	s_mul_hi_u32 s62, s57, s60
	s_mul_i32 s60, s57, s60
	s_add_u32 s59, s59, s60
	s_mul_hi_u32 s61, s57, s1
	s_addc_u32 s58, s58, s62
	s_addc_u32 s59, s61, 0
	s_mul_i32 s1, s57, s1
	s_add_u32 s1, s58, s1
	s_addc_u32 s58, 0, s59
	s_add_u32 s59, s0, s1
	s_cselect_b64 s[0:1], -1, 0
	s_cmp_lg_u64 s[0:1], 0
	s_addc_u32 s57, s57, s58
	s_mul_i32 s0, s53, s57
	s_mul_hi_u32 s1, s53, s59
	s_add_i32 s0, s1, s0
	s_mul_i32 s56, s56, s59
	s_add_i32 s0, s0, s56
	s_mul_i32 s53, s53, s59
	s_mul_hi_u32 s56, s57, s53
	s_mul_i32 s58, s57, s53
	s_mul_i32 s61, s59, s0
	s_mul_hi_u32 s53, s59, s53
	s_mul_hi_u32 s60, s59, s0
	s_add_u32 s53, s53, s61
	s_addc_u32 s60, 0, s60
	s_add_u32 s53, s53, s58
	s_mul_hi_u32 s1, s57, s0
	s_addc_u32 s53, s60, s56
	s_addc_u32 s1, s1, 0
	s_mul_i32 s0, s57, s0
	s_add_u32 s0, s53, s0
	s_addc_u32 s53, 0, s1
	s_add_u32 s56, s59, s0
	s_cselect_b64 s[0:1], -1, 0
	v_ashrrev_i32_e32 v3, 31, v13
	s_cmp_lg_u64 s[0:1], 0
	v_add_co_u32_e32 v14, vcc, v12, v3
	s_addc_u32 s53, s57, s53
	v_xor_b32_e32 v18, v14, v3
	v_mad_u64_u32 v[14:15], s[0:1], v18, s53, 0
	v_mul_hi_u32 v17, v18, s56
	v_addc_co_u32_e32 v16, vcc, v13, v3, vcc
	v_xor_b32_e32 v19, v16, v3
	v_add_co_u32_e32 v22, vcc, v17, v14
	v_addc_co_u32_e32 v23, vcc, 0, v15, vcc
	v_mad_u64_u32 v[14:15], s[0:1], v19, s56, 0
	v_mad_u64_u32 v[16:17], s[0:1], v19, s53, 0
	v_add_co_u32_e32 v14, vcc, v22, v14
	v_addc_co_u32_e32 v14, vcc, v23, v15, vcc
	v_addc_co_u32_e32 v15, vcc, 0, v17, vcc
	v_add_co_u32_e32 v16, vcc, v14, v16
	v_addc_co_u32_e32 v17, vcc, 0, v15, vcc
	v_mul_lo_u32 v22, s55, v16
	v_mul_lo_u32 v23, s54, v17
	v_mad_u64_u32 v[14:15], s[0:1], s54, v16, 0
	v_xor_b32_e32 v3, s52, v3
	v_add3_u32 v15, v15, v23, v22
	v_sub_u32_e32 v22, v19, v15
	v_mov_b32_e32 v23, s55
	v_sub_co_u32_e32 v14, vcc, v18, v14
	v_subb_co_u32_e64 v18, s[0:1], v22, v23, vcc
	v_subrev_co_u32_e64 v22, s[0:1], s54, v14
	v_subbrev_co_u32_e64 v18, s[0:1], 0, v18, s[0:1]
	v_cmp_le_u32_e64 s[0:1], s55, v18
	v_cndmask_b32_e64 v23, 0, -1, s[0:1]
	v_cmp_le_u32_e64 s[0:1], s54, v22
	v_cndmask_b32_e64 v22, 0, -1, s[0:1]
	v_cmp_eq_u32_e64 s[0:1], s55, v18
	v_cndmask_b32_e64 v18, v23, v22, s[0:1]
	v_add_co_u32_e64 v22, s[0:1], 2, v16
	v_subb_co_u32_e32 v15, vcc, v19, v15, vcc
	v_addc_co_u32_e64 v23, s[0:1], 0, v17, s[0:1]
	v_cmp_le_u32_e32 vcc, s55, v15
	v_add_co_u32_e64 v24, s[0:1], 1, v16
	v_cndmask_b32_e64 v19, 0, -1, vcc
	v_cmp_le_u32_e32 vcc, s54, v14
	v_addc_co_u32_e64 v25, s[0:1], 0, v17, s[0:1]
	v_cndmask_b32_e64 v14, 0, -1, vcc
	v_cmp_eq_u32_e32 vcc, s55, v15
	v_cmp_ne_u32_e64 s[0:1], 0, v18
	v_cndmask_b32_e32 v14, v19, v14, vcc
	v_cndmask_b32_e64 v18, v25, v23, s[0:1]
	v_cmp_ne_u32_e32 vcc, 0, v14
	v_cndmask_b32_e64 v15, v24, v22, s[0:1]
	v_cndmask_b32_e32 v14, v17, v18, vcc
	v_cndmask_b32_e32 v15, v16, v15, vcc
	v_xor_b32_e32 v16, v14, v3
	v_xor_b32_e32 v14, v15, v3
	v_sub_co_u32_e32 v14, vcc, v14, v3
	v_subb_co_u32_e32 v15, vcc, v16, v3, vcc
.LBB42_28:                              ;   in Loop: Header=BB42_22 Depth=2
	s_andn2_saveexec_b64 s[0:1], s[50:51]
	s_cbranch_execz .LBB42_30
; %bb.29:                               ;   in Loop: Header=BB42_22 Depth=2
	v_cvt_f32_u32_e32 v3, s46
	s_sub_i32 s50, 0, s46
	v_rcp_iflag_f32_e32 v3, v3
	v_mul_f32_e32 v3, 0x4f7ffffe, v3
	v_cvt_u32_f32_e32 v3, v3
	v_mul_lo_u32 v14, s50, v3
	v_mul_hi_u32 v14, v3, v14
	v_add_u32_e32 v3, v3, v14
	v_mul_hi_u32 v3, v12, v3
	v_mul_lo_u32 v14, v3, s46
	v_add_u32_e32 v15, 1, v3
	v_sub_u32_e32 v14, v12, v14
	v_subrev_u32_e32 v16, s46, v14
	v_cmp_le_u32_e32 vcc, s46, v14
	v_cndmask_b32_e32 v14, v14, v16, vcc
	v_cndmask_b32_e32 v3, v3, v15, vcc
	v_add_u32_e32 v15, 1, v3
	v_cmp_le_u32_e32 vcc, s46, v14
	v_cndmask_b32_e32 v14, v3, v15, vcc
	v_mov_b32_e32 v15, v2
.LBB42_30:                              ;   in Loop: Header=BB42_22 Depth=2
	s_or_b64 exec, exec, s[0:1]
	s_load_dwordx2 s[50:51], s[40:41], 0x8
	s_load_dwordx2 s[52:53], s[38:39], 0x10
                                        ; implicit-def: $vgpr16_vgpr17
	s_waitcnt lgkmcnt(0)
	v_or_b32_e32 v3, s51, v15
	v_cmp_ne_u64_e32 vcc, 0, v[2:3]
	s_and_saveexec_b64 s[0:1], vcc
	s_xor_b64 s[54:55], exec, s[0:1]
	s_cbranch_execz .LBB42_32
; %bb.31:                               ;   in Loop: Header=BB42_22 Depth=2
	s_ashr_i32 s56, s51, 31
	s_add_u32 s0, s50, s56
	s_mov_b32 s57, s56
	s_addc_u32 s1, s51, s56
	s_xor_b64 s[58:59], s[0:1], s[56:57]
	v_cvt_f32_u32_e32 v3, s58
	v_cvt_f32_u32_e32 v16, s59
	s_sub_u32 s57, 0, s58
	s_subb_u32 s60, 0, s59
	v_mac_f32_e32 v3, 0x4f800000, v16
	v_rcp_f32_e32 v3, v3
	v_mul_f32_e32 v3, 0x5f7ffffc, v3
	v_mul_f32_e32 v16, 0x2f800000, v3
	v_trunc_f32_e32 v16, v16
	v_mac_f32_e32 v3, 0xcf800000, v16
	v_cvt_u32_f32_e32 v16, v16
	v_cvt_u32_f32_e32 v3, v3
	v_readfirstlane_b32 s61, v16
	v_readfirstlane_b32 s0, v3
	s_mul_i32 s1, s57, s61
	s_mul_hi_u32 s63, s57, s0
	s_mul_i32 s62, s60, s0
	s_add_i32 s1, s63, s1
	s_add_i32 s1, s1, s62
	s_mul_i32 s68, s57, s0
	s_mul_i32 s63, s0, s1
	s_mul_hi_u32 s69, s0, s68
	s_mul_hi_u32 s62, s0, s1
	s_add_u32 s63, s69, s63
	s_addc_u32 s62, 0, s62
	s_mul_hi_u32 s70, s61, s68
	s_mul_i32 s68, s61, s68
	s_add_u32 s63, s63, s68
	s_mul_hi_u32 s69, s61, s1
	s_addc_u32 s62, s62, s70
	s_addc_u32 s63, s69, 0
	s_mul_i32 s1, s61, s1
	s_add_u32 s1, s62, s1
	s_addc_u32 s62, 0, s63
	s_add_u32 s63, s0, s1
	s_cselect_b64 s[0:1], -1, 0
	s_cmp_lg_u64 s[0:1], 0
	s_addc_u32 s61, s61, s62
	s_mul_i32 s0, s57, s61
	s_mul_hi_u32 s1, s57, s63
	s_add_i32 s0, s1, s0
	s_mul_i32 s60, s60, s63
	s_add_i32 s0, s0, s60
	s_mul_i32 s57, s57, s63
	s_mul_hi_u32 s60, s61, s57
	s_mul_i32 s62, s61, s57
	s_mul_i32 s69, s63, s0
	s_mul_hi_u32 s57, s63, s57
	s_mul_hi_u32 s68, s63, s0
	s_add_u32 s57, s57, s69
	s_addc_u32 s68, 0, s68
	s_add_u32 s57, s57, s62
	s_mul_hi_u32 s1, s61, s0
	s_addc_u32 s57, s68, s60
	s_addc_u32 s1, s1, 0
	s_mul_i32 s0, s61, s0
	s_add_u32 s0, s57, s0
	s_addc_u32 s57, 0, s1
	s_add_u32 s60, s63, s0
	s_cselect_b64 s[0:1], -1, 0
	v_ashrrev_i32_e32 v3, 31, v15
	s_cmp_lg_u64 s[0:1], 0
	v_add_co_u32_e32 v16, vcc, v14, v3
	s_addc_u32 s57, s61, s57
	v_xor_b32_e32 v22, v16, v3
	v_mad_u64_u32 v[16:17], s[0:1], v22, s57, 0
	v_mul_hi_u32 v19, v22, s60
	v_addc_co_u32_e32 v18, vcc, v15, v3, vcc
	v_xor_b32_e32 v23, v18, v3
	v_add_co_u32_e32 v24, vcc, v19, v16
	v_addc_co_u32_e32 v25, vcc, 0, v17, vcc
	v_mad_u64_u32 v[16:17], s[0:1], v23, s60, 0
	v_mad_u64_u32 v[18:19], s[0:1], v23, s57, 0
	v_add_co_u32_e32 v16, vcc, v24, v16
	v_addc_co_u32_e32 v16, vcc, v25, v17, vcc
	v_addc_co_u32_e32 v17, vcc, 0, v19, vcc
	v_add_co_u32_e32 v18, vcc, v16, v18
	v_addc_co_u32_e32 v19, vcc, 0, v17, vcc
	v_mul_lo_u32 v24, s59, v18
	v_mul_lo_u32 v25, s58, v19
	v_mad_u64_u32 v[16:17], s[0:1], s58, v18, 0
	v_xor_b32_e32 v3, s56, v3
	v_add3_u32 v17, v17, v25, v24
	v_sub_u32_e32 v24, v23, v17
	v_mov_b32_e32 v25, s59
	v_sub_co_u32_e32 v16, vcc, v22, v16
	v_subb_co_u32_e64 v22, s[0:1], v24, v25, vcc
	v_subrev_co_u32_e64 v24, s[0:1], s58, v16
	v_subbrev_co_u32_e64 v22, s[0:1], 0, v22, s[0:1]
	v_cmp_le_u32_e64 s[0:1], s59, v22
	v_cndmask_b32_e64 v25, 0, -1, s[0:1]
	v_cmp_le_u32_e64 s[0:1], s58, v24
	v_cndmask_b32_e64 v24, 0, -1, s[0:1]
	v_cmp_eq_u32_e64 s[0:1], s59, v22
	v_cndmask_b32_e64 v22, v25, v24, s[0:1]
	v_add_co_u32_e64 v24, s[0:1], 2, v18
	v_subb_co_u32_e32 v17, vcc, v23, v17, vcc
	v_addc_co_u32_e64 v25, s[0:1], 0, v19, s[0:1]
	v_cmp_le_u32_e32 vcc, s59, v17
	v_add_co_u32_e64 v26, s[0:1], 1, v18
	v_cndmask_b32_e64 v23, 0, -1, vcc
	v_cmp_le_u32_e32 vcc, s58, v16
	v_addc_co_u32_e64 v27, s[0:1], 0, v19, s[0:1]
	v_cndmask_b32_e64 v16, 0, -1, vcc
	v_cmp_eq_u32_e32 vcc, s59, v17
	v_cmp_ne_u32_e64 s[0:1], 0, v22
	v_cndmask_b32_e32 v16, v23, v16, vcc
	v_cndmask_b32_e64 v22, v27, v25, s[0:1]
	v_cmp_ne_u32_e32 vcc, 0, v16
	v_cndmask_b32_e64 v17, v26, v24, s[0:1]
	v_cndmask_b32_e32 v16, v19, v22, vcc
	v_cndmask_b32_e32 v17, v18, v17, vcc
	v_xor_b32_e32 v18, v16, v3
	v_xor_b32_e32 v16, v17, v3
	v_sub_co_u32_e32 v16, vcc, v16, v3
	v_subb_co_u32_e32 v17, vcc, v18, v3, vcc
.LBB42_32:                              ;   in Loop: Header=BB42_22 Depth=2
	s_andn2_saveexec_b64 s[0:1], s[54:55]
	s_cbranch_execz .LBB42_34
; %bb.33:                               ;   in Loop: Header=BB42_22 Depth=2
	v_cvt_f32_u32_e32 v3, s50
	s_sub_i32 s54, 0, s50
	v_rcp_iflag_f32_e32 v3, v3
	v_mul_f32_e32 v3, 0x4f7ffffe, v3
	v_cvt_u32_f32_e32 v3, v3
	v_mul_lo_u32 v16, s54, v3
	v_mul_hi_u32 v16, v3, v16
	v_add_u32_e32 v3, v3, v16
	v_mul_hi_u32 v3, v14, v3
	v_mul_lo_u32 v16, v3, s50
	v_add_u32_e32 v17, 1, v3
	v_sub_u32_e32 v16, v14, v16
	v_subrev_u32_e32 v18, s50, v16
	v_cmp_le_u32_e32 vcc, s50, v16
	v_cndmask_b32_e32 v16, v16, v18, vcc
	v_cndmask_b32_e32 v3, v3, v17, vcc
	v_add_u32_e32 v17, 1, v3
	v_cmp_le_u32_e32 vcc, s50, v16
	v_cndmask_b32_e32 v16, v3, v17, vcc
	v_mov_b32_e32 v17, v2
.LBB42_34:                              ;   in Loop: Header=BB42_22 Depth=2
	s_or_b64 exec, exec, s[0:1]
	s_load_dwordx2 s[54:55], s[40:41], 0x0
	s_load_dwordx2 s[56:57], s[38:39], 0x8
                                        ; implicit-def: $vgpr18_vgpr19
	s_waitcnt lgkmcnt(0)
	v_or_b32_e32 v3, s55, v17
	v_cmp_ne_u64_e32 vcc, 0, v[2:3]
	s_and_saveexec_b64 s[0:1], vcc
	s_xor_b64 s[58:59], exec, s[0:1]
	s_cbranch_execz .LBB42_36
; %bb.35:                               ;   in Loop: Header=BB42_22 Depth=2
	s_ashr_i32 s60, s55, 31
	s_add_u32 s0, s54, s60
	s_mov_b32 s61, s60
	s_addc_u32 s1, s55, s60
	s_xor_b64 s[62:63], s[0:1], s[60:61]
	v_cvt_f32_u32_e32 v3, s62
	v_cvt_f32_u32_e32 v18, s63
	s_sub_u32 s61, 0, s62
	s_subb_u32 s68, 0, s63
	v_mac_f32_e32 v3, 0x4f800000, v18
	v_rcp_f32_e32 v3, v3
	v_mul_f32_e32 v3, 0x5f7ffffc, v3
	v_mul_f32_e32 v18, 0x2f800000, v3
	v_trunc_f32_e32 v18, v18
	v_mac_f32_e32 v3, 0xcf800000, v18
	v_cvt_u32_f32_e32 v18, v18
	v_cvt_u32_f32_e32 v3, v3
	v_readfirstlane_b32 s69, v18
	v_readfirstlane_b32 s0, v3
	s_mul_i32 s1, s61, s69
	s_mul_hi_u32 s71, s61, s0
	s_mul_i32 s70, s68, s0
	s_add_i32 s1, s71, s1
	s_add_i32 s1, s1, s70
	s_mul_i32 s72, s61, s0
	s_mul_i32 s71, s0, s1
	s_mul_hi_u32 s73, s0, s72
	s_mul_hi_u32 s70, s0, s1
	s_add_u32 s71, s73, s71
	s_addc_u32 s70, 0, s70
	s_mul_hi_u32 s74, s69, s72
	s_mul_i32 s72, s69, s72
	s_add_u32 s71, s71, s72
	s_mul_hi_u32 s73, s69, s1
	s_addc_u32 s70, s70, s74
	s_addc_u32 s71, s73, 0
	s_mul_i32 s1, s69, s1
	s_add_u32 s1, s70, s1
	s_addc_u32 s70, 0, s71
	s_add_u32 s71, s0, s1
	s_cselect_b64 s[0:1], -1, 0
	s_cmp_lg_u64 s[0:1], 0
	s_addc_u32 s69, s69, s70
	s_mul_i32 s0, s61, s69
	s_mul_hi_u32 s1, s61, s71
	s_add_i32 s0, s1, s0
	s_mul_i32 s68, s68, s71
	s_add_i32 s0, s0, s68
	s_mul_i32 s61, s61, s71
	s_mul_hi_u32 s68, s69, s61
	s_mul_i32 s70, s69, s61
	s_mul_i32 s73, s71, s0
	s_mul_hi_u32 s61, s71, s61
	s_mul_hi_u32 s72, s71, s0
	s_add_u32 s61, s61, s73
	s_addc_u32 s72, 0, s72
	s_add_u32 s61, s61, s70
	s_mul_hi_u32 s1, s69, s0
	s_addc_u32 s61, s72, s68
	s_addc_u32 s1, s1, 0
	s_mul_i32 s0, s69, s0
	s_add_u32 s0, s61, s0
	s_addc_u32 s61, 0, s1
	s_add_u32 s68, s71, s0
	s_cselect_b64 s[0:1], -1, 0
	v_ashrrev_i32_e32 v3, 31, v17
	s_cmp_lg_u64 s[0:1], 0
	v_add_co_u32_e32 v18, vcc, v16, v3
	s_addc_u32 s61, s69, s61
	v_xor_b32_e32 v24, v18, v3
	v_mad_u64_u32 v[18:19], s[0:1], v24, s61, 0
	v_mul_hi_u32 v23, v24, s68
	v_addc_co_u32_e32 v22, vcc, v17, v3, vcc
	v_xor_b32_e32 v25, v22, v3
	v_add_co_u32_e32 v26, vcc, v23, v18
	v_addc_co_u32_e32 v27, vcc, 0, v19, vcc
	v_mad_u64_u32 v[18:19], s[0:1], v25, s68, 0
	v_mad_u64_u32 v[22:23], s[0:1], v25, s61, 0
	v_add_co_u32_e32 v18, vcc, v26, v18
	v_addc_co_u32_e32 v18, vcc, v27, v19, vcc
	v_addc_co_u32_e32 v19, vcc, 0, v23, vcc
	v_add_co_u32_e32 v22, vcc, v18, v22
	v_addc_co_u32_e32 v23, vcc, 0, v19, vcc
	v_mul_lo_u32 v26, s63, v22
	v_mul_lo_u32 v27, s62, v23
	v_mad_u64_u32 v[18:19], s[0:1], s62, v22, 0
	v_xor_b32_e32 v3, s60, v3
	v_add3_u32 v19, v19, v27, v26
	v_sub_u32_e32 v26, v25, v19
	v_mov_b32_e32 v27, s63
	v_sub_co_u32_e32 v18, vcc, v24, v18
	v_subb_co_u32_e64 v24, s[0:1], v26, v27, vcc
	v_subrev_co_u32_e64 v26, s[0:1], s62, v18
	v_subbrev_co_u32_e64 v24, s[0:1], 0, v24, s[0:1]
	v_cmp_le_u32_e64 s[0:1], s63, v24
	v_cndmask_b32_e64 v27, 0, -1, s[0:1]
	v_cmp_le_u32_e64 s[0:1], s62, v26
	v_cndmask_b32_e64 v26, 0, -1, s[0:1]
	v_cmp_eq_u32_e64 s[0:1], s63, v24
	v_cndmask_b32_e64 v24, v27, v26, s[0:1]
	v_add_co_u32_e64 v26, s[0:1], 2, v22
	v_subb_co_u32_e32 v19, vcc, v25, v19, vcc
	v_addc_co_u32_e64 v27, s[0:1], 0, v23, s[0:1]
	v_cmp_le_u32_e32 vcc, s63, v19
	v_add_co_u32_e64 v28, s[0:1], 1, v22
	v_cndmask_b32_e64 v25, 0, -1, vcc
	v_cmp_le_u32_e32 vcc, s62, v18
	v_addc_co_u32_e64 v29, s[0:1], 0, v23, s[0:1]
	v_cndmask_b32_e64 v18, 0, -1, vcc
	v_cmp_eq_u32_e32 vcc, s63, v19
	v_cmp_ne_u32_e64 s[0:1], 0, v24
	v_cndmask_b32_e32 v18, v25, v18, vcc
	v_cndmask_b32_e64 v24, v29, v27, s[0:1]
	v_cmp_ne_u32_e32 vcc, 0, v18
	v_cndmask_b32_e64 v19, v28, v26, s[0:1]
	v_cndmask_b32_e32 v18, v23, v24, vcc
	v_cndmask_b32_e32 v19, v22, v19, vcc
	v_xor_b32_e32 v22, v18, v3
	v_xor_b32_e32 v18, v19, v3
	v_sub_co_u32_e32 v18, vcc, v18, v3
	v_subb_co_u32_e32 v19, vcc, v22, v3, vcc
.LBB42_36:                              ;   in Loop: Header=BB42_22 Depth=2
	s_andn2_saveexec_b64 s[0:1], s[58:59]
	s_cbranch_execz .LBB42_21
; %bb.37:                               ;   in Loop: Header=BB42_22 Depth=2
	v_cvt_f32_u32_e32 v3, s54
	s_sub_i32 s58, 0, s54
	v_rcp_iflag_f32_e32 v3, v3
	v_mul_f32_e32 v3, 0x4f7ffffe, v3
	v_cvt_u32_f32_e32 v3, v3
	v_mul_lo_u32 v18, s58, v3
	v_mul_hi_u32 v18, v3, v18
	v_add_u32_e32 v3, v3, v18
	v_mul_hi_u32 v3, v16, v3
	v_mul_lo_u32 v18, v3, s54
	v_add_u32_e32 v19, 1, v3
	v_sub_u32_e32 v18, v16, v18
	v_subrev_u32_e32 v22, s54, v18
	v_cmp_le_u32_e32 vcc, s54, v18
	v_cndmask_b32_e32 v18, v18, v22, vcc
	v_cndmask_b32_e32 v3, v3, v19, vcc
	v_add_u32_e32 v19, 1, v3
	v_cmp_le_u32_e32 vcc, s54, v18
	v_cndmask_b32_e32 v18, v3, v19, vcc
	v_mov_b32_e32 v19, v2
	s_branch .LBB42_21
.LBB42_38:                              ;   in Loop: Header=BB42_3 Depth=1
	s_load_dwordx2 s[38:39], s[22:23], 0x0
	s_waitcnt lgkmcnt(0)
	v_cmp_gt_i64_e32 vcc, s[38:39], v[4:5]
	s_and_b64 exec, exec, vcc
	s_cbranch_execz .LBB42_2
; %bb.39:                               ;   in Loop: Header=BB42_3 Depth=1
	v_lshlrev_b64 v[8:9], 1, v[8:9]
	v_mov_b32_e32 v3, s13
	v_cmp_lt_i64_e32 vcc, s[8:9], v[6:7]
	v_add_co_u32_e64 v6, s[0:1], s12, v8
	v_addc_co_u32_e64 v7, s[0:1], v3, v9, s[0:1]
	s_and_saveexec_b64 s[0:1], vcc
	s_cbranch_execz .LBB42_41
; %bb.40:                               ;   in Loop: Header=BB42_3 Depth=1
	global_store_short v[6:7], v2, off
.LBB42_41:                              ;   in Loop: Header=BB42_3 Depth=1
	s_or_b64 exec, exec, s[0:1]
	v_add_co_u32_e32 v8, vcc, 1, v4
	v_addc_co_u32_e32 v9, vcc, 0, v5, vcc
	v_cmp_gt_i64_e32 vcc, s[38:39], v[8:9]
	s_and_b64 exec, exec, vcc
	s_cbranch_execz .LBB42_2
; %bb.42:                               ;   in Loop: Header=BB42_3 Depth=1
	v_sub_co_u32_e32 v8, vcc, v8, v20
	v_subb_co_u32_e32 v9, vcc, v9, v21, vcc
	v_cmp_lt_i64_e32 vcc, s[8:9], v[8:9]
	s_and_saveexec_b64 s[0:1], vcc
	s_cbranch_execz .LBB42_44
; %bb.43:                               ;   in Loop: Header=BB42_3 Depth=1
	s_lshl_b64 s[40:41], s[2:3], 1
	v_mov_b32_e32 v3, s41
	v_add_co_u32_e32 v8, vcc, s40, v6
	v_addc_co_u32_e32 v9, vcc, v7, v3, vcc
	global_store_short v[8:9], v2, off
.LBB42_44:                              ;   in Loop: Header=BB42_3 Depth=1
	s_or_b64 exec, exec, s[0:1]
	v_add_co_u32_e32 v8, vcc, 2, v4
	v_addc_co_u32_e32 v9, vcc, 0, v5, vcc
	v_cmp_gt_i64_e32 vcc, s[38:39], v[8:9]
	s_and_b64 exec, exec, vcc
	s_cbranch_execz .LBB42_2
; %bb.45:                               ;   in Loop: Header=BB42_3 Depth=1
	v_sub_co_u32_e32 v8, vcc, v8, v20
	v_subb_co_u32_e32 v9, vcc, v9, v21, vcc
	v_cmp_lt_i64_e32 vcc, s[8:9], v[8:9]
	s_and_saveexec_b64 s[0:1], vcc
	s_cbranch_execz .LBB42_47
; %bb.46:                               ;   in Loop: Header=BB42_3 Depth=1
	s_lshl_b64 s[40:41], s[2:3], 2
	v_mov_b32_e32 v3, s41
	v_add_co_u32_e32 v8, vcc, s40, v6
	v_addc_co_u32_e32 v9, vcc, v7, v3, vcc
	global_store_short v[8:9], v2, off
.LBB42_47:                              ;   in Loop: Header=BB42_3 Depth=1
	s_or_b64 exec, exec, s[0:1]
	v_add_co_u32_e32 v3, vcc, 3, v4
	v_addc_co_u32_e32 v4, vcc, 0, v5, vcc
	v_cmp_gt_i64_e32 vcc, s[38:39], v[3:4]
	v_sub_co_u32_e64 v3, s[0:1], v3, v20
	v_subb_co_u32_e64 v4, s[0:1], v4, v21, s[0:1]
	v_cmp_lt_i64_e64 s[0:1], s[8:9], v[3:4]
	s_and_b64 s[0:1], vcc, s[0:1]
	s_and_b64 exec, exec, s[0:1]
	s_cbranch_execz .LBB42_2
; %bb.48:                               ;   in Loop: Header=BB42_3 Depth=1
	v_mad_u64_u32 v[3:4], s[0:1], s2, 6, v[6:7]
	v_mad_u64_u32 v[4:5], s[0:1], s3, 6, v[4:5]
	global_store_short v[3:4], v2, off
	s_branch .LBB42_2
.LBB42_49:
	s_endpgm
	.section	.rodata,"a",@progbits
	.p2align	6, 0x0
	.amdhsa_kernel _ZN2at6native16triu_tril_kernelIN3c104HalfElLb0ELi4ELb1EEEvNS_4cuda6detail10TensorInfoIT_T0_EENS6_IKS7_S8_EEllS8_
		.amdhsa_group_segment_fixed_size 0
		.amdhsa_private_segment_fixed_size 0
		.amdhsa_kernarg_size 1112
		.amdhsa_user_sgpr_count 6
		.amdhsa_user_sgpr_private_segment_buffer 1
		.amdhsa_user_sgpr_dispatch_ptr 0
		.amdhsa_user_sgpr_queue_ptr 0
		.amdhsa_user_sgpr_kernarg_segment_ptr 1
		.amdhsa_user_sgpr_dispatch_id 0
		.amdhsa_user_sgpr_flat_scratch_init 0
		.amdhsa_user_sgpr_private_segment_size 0
		.amdhsa_uses_dynamic_stack 0
		.amdhsa_system_sgpr_private_segment_wavefront_offset 0
		.amdhsa_system_sgpr_workgroup_id_x 1
		.amdhsa_system_sgpr_workgroup_id_y 0
		.amdhsa_system_sgpr_workgroup_id_z 0
		.amdhsa_system_sgpr_workgroup_info 0
		.amdhsa_system_vgpr_workitem_id 0
		.amdhsa_next_free_vgpr 30
		.amdhsa_next_free_sgpr 75
		.amdhsa_reserve_vcc 1
		.amdhsa_reserve_flat_scratch 0
		.amdhsa_float_round_mode_32 0
		.amdhsa_float_round_mode_16_64 0
		.amdhsa_float_denorm_mode_32 3
		.amdhsa_float_denorm_mode_16_64 3
		.amdhsa_dx10_clamp 1
		.amdhsa_ieee_mode 1
		.amdhsa_fp16_overflow 0
		.amdhsa_exception_fp_ieee_invalid_op 0
		.amdhsa_exception_fp_denorm_src 0
		.amdhsa_exception_fp_ieee_div_zero 0
		.amdhsa_exception_fp_ieee_overflow 0
		.amdhsa_exception_fp_ieee_underflow 0
		.amdhsa_exception_fp_ieee_inexact 0
		.amdhsa_exception_int_div_zero 0
	.end_amdhsa_kernel
	.section	.text._ZN2at6native16triu_tril_kernelIN3c104HalfElLb0ELi4ELb1EEEvNS_4cuda6detail10TensorInfoIT_T0_EENS6_IKS7_S8_EEllS8_,"axG",@progbits,_ZN2at6native16triu_tril_kernelIN3c104HalfElLb0ELi4ELb1EEEvNS_4cuda6detail10TensorInfoIT_T0_EENS6_IKS7_S8_EEllS8_,comdat
.Lfunc_end42:
	.size	_ZN2at6native16triu_tril_kernelIN3c104HalfElLb0ELi4ELb1EEEvNS_4cuda6detail10TensorInfoIT_T0_EENS6_IKS7_S8_EEllS8_, .Lfunc_end42-_ZN2at6native16triu_tril_kernelIN3c104HalfElLb0ELi4ELb1EEEvNS_4cuda6detail10TensorInfoIT_T0_EENS6_IKS7_S8_EEllS8_
                                        ; -- End function
	.set _ZN2at6native16triu_tril_kernelIN3c104HalfElLb0ELi4ELb1EEEvNS_4cuda6detail10TensorInfoIT_T0_EENS6_IKS7_S8_EEllS8_.num_vgpr, 30
	.set _ZN2at6native16triu_tril_kernelIN3c104HalfElLb0ELi4ELb1EEEvNS_4cuda6detail10TensorInfoIT_T0_EENS6_IKS7_S8_EEllS8_.num_agpr, 0
	.set _ZN2at6native16triu_tril_kernelIN3c104HalfElLb0ELi4ELb1EEEvNS_4cuda6detail10TensorInfoIT_T0_EENS6_IKS7_S8_EEllS8_.numbered_sgpr, 75
	.set _ZN2at6native16triu_tril_kernelIN3c104HalfElLb0ELi4ELb1EEEvNS_4cuda6detail10TensorInfoIT_T0_EENS6_IKS7_S8_EEllS8_.num_named_barrier, 0
	.set _ZN2at6native16triu_tril_kernelIN3c104HalfElLb0ELi4ELb1EEEvNS_4cuda6detail10TensorInfoIT_T0_EENS6_IKS7_S8_EEllS8_.private_seg_size, 0
	.set _ZN2at6native16triu_tril_kernelIN3c104HalfElLb0ELi4ELb1EEEvNS_4cuda6detail10TensorInfoIT_T0_EENS6_IKS7_S8_EEllS8_.uses_vcc, 1
	.set _ZN2at6native16triu_tril_kernelIN3c104HalfElLb0ELi4ELb1EEEvNS_4cuda6detail10TensorInfoIT_T0_EENS6_IKS7_S8_EEllS8_.uses_flat_scratch, 0
	.set _ZN2at6native16triu_tril_kernelIN3c104HalfElLb0ELi4ELb1EEEvNS_4cuda6detail10TensorInfoIT_T0_EENS6_IKS7_S8_EEllS8_.has_dyn_sized_stack, 0
	.set _ZN2at6native16triu_tril_kernelIN3c104HalfElLb0ELi4ELb1EEEvNS_4cuda6detail10TensorInfoIT_T0_EENS6_IKS7_S8_EEllS8_.has_recursion, 0
	.set _ZN2at6native16triu_tril_kernelIN3c104HalfElLb0ELi4ELb1EEEvNS_4cuda6detail10TensorInfoIT_T0_EENS6_IKS7_S8_EEllS8_.has_indirect_call, 0
	.section	.AMDGPU.csdata,"",@progbits
; Kernel info:
; codeLenInByte = 6608
; TotalNumSgprs: 79
; NumVgprs: 30
; ScratchSize: 0
; MemoryBound: 0
; FloatMode: 240
; IeeeMode: 1
; LDSByteSize: 0 bytes/workgroup (compile time only)
; SGPRBlocks: 9
; VGPRBlocks: 7
; NumSGPRsForWavesPerEU: 79
; NumVGPRsForWavesPerEU: 30
; Occupancy: 8
; WaveLimiterHint : 0
; COMPUTE_PGM_RSRC2:SCRATCH_EN: 0
; COMPUTE_PGM_RSRC2:USER_SGPR: 6
; COMPUTE_PGM_RSRC2:TRAP_HANDLER: 0
; COMPUTE_PGM_RSRC2:TGID_X_EN: 1
; COMPUTE_PGM_RSRC2:TGID_Y_EN: 0
; COMPUTE_PGM_RSRC2:TGID_Z_EN: 0
; COMPUTE_PGM_RSRC2:TIDIG_COMP_CNT: 0
	.section	.text._ZN2at6native16triu_tril_kernelIN3c104HalfElLb0ELi4ELb0EEEvNS_4cuda6detail10TensorInfoIT_T0_EENS6_IKS7_S8_EEllS8_,"axG",@progbits,_ZN2at6native16triu_tril_kernelIN3c104HalfElLb0ELi4ELb0EEEvNS_4cuda6detail10TensorInfoIT_T0_EENS6_IKS7_S8_EEllS8_,comdat
	.protected	_ZN2at6native16triu_tril_kernelIN3c104HalfElLb0ELi4ELb0EEEvNS_4cuda6detail10TensorInfoIT_T0_EENS6_IKS7_S8_EEllS8_ ; -- Begin function _ZN2at6native16triu_tril_kernelIN3c104HalfElLb0ELi4ELb0EEEvNS_4cuda6detail10TensorInfoIT_T0_EENS6_IKS7_S8_EEllS8_
	.globl	_ZN2at6native16triu_tril_kernelIN3c104HalfElLb0ELi4ELb0EEEvNS_4cuda6detail10TensorInfoIT_T0_EENS6_IKS7_S8_EEllS8_
	.p2align	8
	.type	_ZN2at6native16triu_tril_kernelIN3c104HalfElLb0ELi4ELb0EEEvNS_4cuda6detail10TensorInfoIT_T0_EENS6_IKS7_S8_EEllS8_,@function
_ZN2at6native16triu_tril_kernelIN3c104HalfElLb0ELi4ELb0EEEvNS_4cuda6detail10TensorInfoIT_T0_EENS6_IKS7_S8_EEllS8_: ; @_ZN2at6native16triu_tril_kernelIN3c104HalfElLb0ELi4ELb0EEEvNS_4cuda6detail10TensorInfoIT_T0_EENS6_IKS7_S8_EEllS8_
; %bb.0:
	s_load_dword s2, s[4:5], 0x364
	s_load_dwordx4 s[8:11], s[4:5], 0x340
	s_add_u32 s0, s4, 0x358
	v_mov_b32_e32 v2, 0
	s_addc_u32 s1, s5, 0
	s_waitcnt lgkmcnt(0)
	s_and_b32 s7, s2, 0xffff
	v_mov_b32_e32 v1, v2
	v_mov_b32_e32 v3, s6
	v_mad_u64_u32 v[0:1], s[2:3], s7, v3, v[0:1]
	v_lshlrev_b64 v[0:1], 2, v[0:1]
	v_cmp_gt_i64_e32 vcc, s[10:11], v[0:1]
	s_and_saveexec_b64 s[2:3], vcc
	s_cbranch_execz .LBB43_44
; %bb.1:
	s_load_dword s6, s[0:1], 0x0
	s_load_dword s24, s[4:5], 0x338
	s_add_u32 s33, s4, 0x1a0
	s_addc_u32 s66, s5, 0
	s_load_dwordx2 s[2:3], s[4:5], 0x1a0
	s_waitcnt lgkmcnt(0)
	s_mul_i32 s30, s6, s7
	s_ashr_i32 s25, s24, 31
	s_lshl_b64 s[0:1], s[24:25], 3
	s_add_u32 s20, s33, s0
	s_addc_u32 s21, s66, s1
	s_add_u32 s22, s20, -8
	s_addc_u32 s23, s21, -1
	s_add_u32 s0, s4, s0
	s_load_dwordx4 s[12:15], s[22:23], 0x0
	s_load_dwordx4 s[16:19], s[20:21], 0xc0
	s_addc_u32 s1, s5, s1
	s_load_dwordx4 s[20:23], s[0:1], 0xc0
	v_cmp_gt_i64_e64 s[6:7], s[24:25], 2
	s_add_i32 s24, s24, -3
	s_waitcnt lgkmcnt(0)
	s_mul_i32 s0, s19, 6
	s_mul_hi_u32 s1, s18, 6
	s_add_i32 s68, s1, s0
	s_mul_i32 s0, s23, 6
	s_mul_hi_u32 s1, s22, 6
	s_ashr_i32 s25, s24, 31
	s_lshl_b32 s67, s30, 2
	s_lshl_b64 s[30:31], s[18:19], 2
	s_lshl_b64 s[34:35], s[22:23], 2
	s_add_i32 s70, s1, s0
	s_bitcmp0_b32 s24, 0
	s_cselect_b64 s[36:37], -1, 0
	s_lshl_b64 s[0:1], s[24:25], 3
	s_add_u32 s38, s33, s0
	s_addc_u32 s39, s66, s1
	s_add_u32 s40, s4, s0
	s_addc_u32 s41, s5, s1
	s_load_dwordx2 s[26:27], s[4:5], 0x350
	s_load_dwordx2 s[28:29], s[4:5], 0x0
	s_add_u32 s42, s24, -1
	s_addc_u32 s43, s25, -1
	s_cmp_lg_u32 s24, 0
	s_cselect_b64 s[44:45], -1, 0
	s_add_u32 s72, s4, 0xc8
	s_mul_i32 s69, s18, 6
	s_mul_i32 s71, s22, 6
	s_addc_u32 s73, s5, 0
	s_mov_b64 s[4:5], 0
	s_branch .LBB43_3
.LBB43_2:                               ;   in Loop: Header=BB43_3 Depth=1
	s_or_b64 exec, exec, s[0:1]
	v_add_co_u32_e32 v0, vcc, s67, v0
	v_addc_co_u32_e32 v1, vcc, 0, v1, vcc
	v_cmp_le_i64_e32 vcc, s[10:11], v[0:1]
	s_or_b64 s[4:5], vcc, s[4:5]
	s_andn2_b64 exec, exec, s[4:5]
	s_cbranch_execz .LBB43_44
.LBB43_3:                               ; =>This Loop Header: Depth=1
                                        ;     Child Loop BB43_21 Depth 2
	s_waitcnt lgkmcnt(0)
	v_or_b32_e32 v3, s27, v1
	v_cmp_ne_u64_e32 vcc, 0, v[2:3]
                                        ; implicit-def: $vgpr6_vgpr7
	s_and_saveexec_b64 s[0:1], vcc
	s_xor_b64 s[46:47], exec, s[0:1]
	s_cbranch_execz .LBB43_5
; %bb.4:                                ;   in Loop: Header=BB43_3 Depth=1
	s_ashr_i32 s48, s27, 31
	s_add_u32 s0, s26, s48
	s_mov_b32 s49, s48
	s_addc_u32 s1, s27, s48
	s_xor_b64 s[50:51], s[0:1], s[48:49]
	v_cvt_f32_u32_e32 v3, s50
	v_cvt_f32_u32_e32 v4, s51
	s_sub_u32 s49, 0, s50
	s_subb_u32 s52, 0, s51
	v_ashrrev_i32_e32 v7, 31, v1
	v_mac_f32_e32 v3, 0x4f800000, v4
	v_rcp_f32_e32 v3, v3
	v_mul_f32_e32 v3, 0x5f7ffffc, v3
	v_mul_f32_e32 v4, 0x2f800000, v3
	v_trunc_f32_e32 v4, v4
	v_mac_f32_e32 v3, 0xcf800000, v4
	v_cvt_u32_f32_e32 v4, v4
	v_cvt_u32_f32_e32 v3, v3
	v_readfirstlane_b32 s53, v4
	v_readfirstlane_b32 s0, v3
	s_mul_i32 s1, s49, s53
	s_mul_hi_u32 s55, s49, s0
	s_mul_i32 s54, s52, s0
	s_add_i32 s1, s55, s1
	s_add_i32 s1, s1, s54
	s_mul_i32 s56, s49, s0
	s_mul_i32 s55, s0, s1
	s_mul_hi_u32 s57, s0, s56
	s_mul_hi_u32 s54, s0, s1
	s_add_u32 s55, s57, s55
	s_addc_u32 s54, 0, s54
	s_mul_hi_u32 s58, s53, s56
	s_mul_i32 s56, s53, s56
	s_add_u32 s55, s55, s56
	s_mul_hi_u32 s57, s53, s1
	s_addc_u32 s54, s54, s58
	s_addc_u32 s55, s57, 0
	s_mul_i32 s1, s53, s1
	s_add_u32 s1, s54, s1
	s_addc_u32 s54, 0, s55
	s_add_u32 s55, s0, s1
	s_cselect_b64 s[0:1], -1, 0
	s_cmp_lg_u64 s[0:1], 0
	s_addc_u32 s53, s53, s54
	s_mul_i32 s0, s49, s53
	s_mul_hi_u32 s1, s49, s55
	s_add_i32 s0, s1, s0
	s_mul_i32 s52, s52, s55
	s_add_i32 s0, s0, s52
	s_mul_i32 s49, s49, s55
	s_mul_hi_u32 s52, s53, s49
	s_mul_i32 s54, s53, s49
	s_mul_i32 s57, s55, s0
	s_mul_hi_u32 s49, s55, s49
	s_mul_hi_u32 s56, s55, s0
	s_add_u32 s49, s49, s57
	s_addc_u32 s56, 0, s56
	s_add_u32 s49, s49, s54
	s_mul_hi_u32 s1, s53, s0
	s_addc_u32 s49, s56, s52
	s_addc_u32 s1, s1, 0
	s_mul_i32 s0, s53, s0
	s_add_u32 s0, s49, s0
	s_addc_u32 s49, 0, s1
	s_add_u32 s52, s55, s0
	s_cselect_b64 s[0:1], -1, 0
	s_cmp_lg_u64 s[0:1], 0
	v_add_co_u32_e32 v3, vcc, v0, v7
	s_addc_u32 s49, s53, s49
	v_xor_b32_e32 v8, v3, v7
	v_mad_u64_u32 v[3:4], s[0:1], v8, s49, 0
	v_mul_hi_u32 v6, v8, s52
	v_addc_co_u32_e32 v5, vcc, v1, v7, vcc
	v_xor_b32_e32 v9, v5, v7
	v_add_co_u32_e32 v10, vcc, v6, v3
	v_addc_co_u32_e32 v11, vcc, 0, v4, vcc
	v_mad_u64_u32 v[3:4], s[0:1], v9, s52, 0
	v_mad_u64_u32 v[5:6], s[0:1], v9, s49, 0
	v_add_co_u32_e32 v3, vcc, v10, v3
	v_addc_co_u32_e32 v3, vcc, v11, v4, vcc
	v_addc_co_u32_e32 v4, vcc, 0, v6, vcc
	v_add_co_u32_e32 v5, vcc, v3, v5
	v_addc_co_u32_e32 v6, vcc, 0, v4, vcc
	v_mul_lo_u32 v10, s51, v5
	v_mul_lo_u32 v11, s50, v6
	v_mad_u64_u32 v[3:4], s[0:1], s50, v5, 0
	v_add3_u32 v4, v4, v11, v10
	v_sub_u32_e32 v10, v9, v4
	v_mov_b32_e32 v11, s51
	v_sub_co_u32_e32 v3, vcc, v8, v3
	v_subb_co_u32_e64 v8, s[0:1], v10, v11, vcc
	v_subrev_co_u32_e64 v10, s[0:1], s50, v3
	v_subbrev_co_u32_e64 v8, s[0:1], 0, v8, s[0:1]
	v_cmp_le_u32_e64 s[0:1], s51, v8
	v_cndmask_b32_e64 v11, 0, -1, s[0:1]
	v_cmp_le_u32_e64 s[0:1], s50, v10
	v_cndmask_b32_e64 v10, 0, -1, s[0:1]
	v_cmp_eq_u32_e64 s[0:1], s51, v8
	v_cndmask_b32_e64 v8, v11, v10, s[0:1]
	v_add_co_u32_e64 v10, s[0:1], 2, v5
	v_subb_co_u32_e32 v4, vcc, v9, v4, vcc
	v_addc_co_u32_e64 v11, s[0:1], 0, v6, s[0:1]
	v_cmp_le_u32_e32 vcc, s51, v4
	v_add_co_u32_e64 v12, s[0:1], 1, v5
	v_cndmask_b32_e64 v9, 0, -1, vcc
	v_cmp_le_u32_e32 vcc, s50, v3
	v_addc_co_u32_e64 v13, s[0:1], 0, v6, s[0:1]
	v_cndmask_b32_e64 v3, 0, -1, vcc
	v_cmp_eq_u32_e32 vcc, s51, v4
	v_cmp_ne_u32_e64 s[0:1], 0, v8
	v_cndmask_b32_e32 v3, v9, v3, vcc
	v_cmp_ne_u32_e32 vcc, 0, v3
	v_cndmask_b32_e64 v4, v12, v10, s[0:1]
	v_cndmask_b32_e64 v8, v13, v11, s[0:1]
	v_cndmask_b32_e32 v4, v5, v4, vcc
	v_xor_b32_e32 v5, s48, v7
	v_cndmask_b32_e32 v3, v6, v8, vcc
	v_xor_b32_e32 v4, v4, v5
	v_xor_b32_e32 v3, v3, v5
	v_sub_co_u32_e32 v6, vcc, v4, v5
	v_subb_co_u32_e32 v7, vcc, v3, v5, vcc
.LBB43_5:                               ;   in Loop: Header=BB43_3 Depth=1
	s_andn2_saveexec_b64 s[0:1], s[46:47]
	s_cbranch_execz .LBB43_7
; %bb.6:                                ;   in Loop: Header=BB43_3 Depth=1
	v_cvt_f32_u32_e32 v3, s26
	s_sub_i32 s46, 0, s26
	v_mov_b32_e32 v7, v2
	v_rcp_iflag_f32_e32 v3, v3
	v_mul_f32_e32 v3, 0x4f7ffffe, v3
	v_cvt_u32_f32_e32 v3, v3
	v_mul_lo_u32 v4, s46, v3
	v_mul_hi_u32 v4, v3, v4
	v_add_u32_e32 v3, v3, v4
	v_mul_hi_u32 v3, v0, v3
	v_mul_lo_u32 v4, v3, s26
	v_add_u32_e32 v5, 1, v3
	v_sub_u32_e32 v4, v0, v4
	v_subrev_u32_e32 v6, s26, v4
	v_cmp_le_u32_e32 vcc, s26, v4
	v_cndmask_b32_e32 v4, v4, v6, vcc
	v_cndmask_b32_e32 v3, v3, v5, vcc
	v_add_u32_e32 v5, 1, v3
	v_cmp_le_u32_e32 vcc, s26, v4
	v_cndmask_b32_e32 v6, v3, v5, vcc
.LBB43_7:                               ;   in Loop: Header=BB43_3 Depth=1
	s_or_b64 exec, exec, s[0:1]
	v_or_b32_e32 v3, s13, v7
	v_cmp_ne_u64_e32 vcc, 0, v[2:3]
                                        ; implicit-def: $vgpr10_vgpr11
	s_and_saveexec_b64 s[0:1], vcc
	s_xor_b64 s[46:47], exec, s[0:1]
	s_cbranch_execz .LBB43_9
; %bb.8:                                ;   in Loop: Header=BB43_3 Depth=1
	s_ashr_i32 s48, s13, 31
	s_add_u32 s0, s12, s48
	s_mov_b32 s49, s48
	s_addc_u32 s1, s13, s48
	s_xor_b64 s[50:51], s[0:1], s[48:49]
	v_cvt_f32_u32_e32 v3, s50
	v_cvt_f32_u32_e32 v4, s51
	s_sub_u32 s49, 0, s50
	s_subb_u32 s52, 0, s51
	v_ashrrev_i32_e32 v5, 31, v7
	v_mac_f32_e32 v3, 0x4f800000, v4
	v_rcp_f32_e32 v3, v3
	v_mul_f32_e32 v3, 0x5f7ffffc, v3
	v_mul_f32_e32 v4, 0x2f800000, v3
	v_trunc_f32_e32 v4, v4
	v_mac_f32_e32 v3, 0xcf800000, v4
	v_cvt_u32_f32_e32 v4, v4
	v_cvt_u32_f32_e32 v3, v3
	v_readfirstlane_b32 s53, v4
	v_readfirstlane_b32 s0, v3
	s_mul_i32 s1, s49, s53
	s_mul_hi_u32 s55, s49, s0
	s_mul_i32 s54, s52, s0
	s_add_i32 s1, s55, s1
	s_add_i32 s1, s1, s54
	s_mul_i32 s56, s49, s0
	s_mul_i32 s55, s0, s1
	s_mul_hi_u32 s57, s0, s56
	s_mul_hi_u32 s54, s0, s1
	s_add_u32 s55, s57, s55
	s_addc_u32 s54, 0, s54
	s_mul_hi_u32 s58, s53, s56
	s_mul_i32 s56, s53, s56
	s_add_u32 s55, s55, s56
	s_mul_hi_u32 s57, s53, s1
	s_addc_u32 s54, s54, s58
	s_addc_u32 s55, s57, 0
	s_mul_i32 s1, s53, s1
	s_add_u32 s1, s54, s1
	s_addc_u32 s54, 0, s55
	s_add_u32 s55, s0, s1
	s_cselect_b64 s[0:1], -1, 0
	s_cmp_lg_u64 s[0:1], 0
	s_addc_u32 s53, s53, s54
	s_mul_i32 s0, s49, s53
	s_mul_hi_u32 s1, s49, s55
	s_add_i32 s0, s1, s0
	s_mul_i32 s52, s52, s55
	s_add_i32 s0, s0, s52
	s_mul_i32 s49, s49, s55
	s_mul_hi_u32 s52, s53, s49
	s_mul_i32 s54, s53, s49
	s_mul_i32 s57, s55, s0
	s_mul_hi_u32 s49, s55, s49
	s_mul_hi_u32 s56, s55, s0
	s_add_u32 s49, s49, s57
	s_addc_u32 s56, 0, s56
	s_add_u32 s49, s49, s54
	s_mul_hi_u32 s1, s53, s0
	s_addc_u32 s49, s56, s52
	s_addc_u32 s1, s1, 0
	s_mul_i32 s0, s53, s0
	s_add_u32 s0, s49, s0
	s_addc_u32 s49, 0, s1
	s_add_u32 s52, s55, s0
	s_cselect_b64 s[0:1], -1, 0
	s_cmp_lg_u64 s[0:1], 0
	v_add_co_u32_e32 v3, vcc, v6, v5
	s_addc_u32 s49, s53, s49
	v_xor_b32_e32 v10, v3, v5
	v_mad_u64_u32 v[3:4], s[0:1], v10, s49, 0
	v_mul_hi_u32 v9, v10, s52
	v_addc_co_u32_e32 v8, vcc, v7, v5, vcc
	v_xor_b32_e32 v11, v8, v5
	v_add_co_u32_e32 v12, vcc, v9, v3
	v_addc_co_u32_e32 v13, vcc, 0, v4, vcc
	v_mad_u64_u32 v[3:4], s[0:1], v11, s52, 0
	v_mad_u64_u32 v[8:9], s[0:1], v11, s49, 0
	v_add_co_u32_e32 v3, vcc, v12, v3
	v_addc_co_u32_e32 v3, vcc, v13, v4, vcc
	v_addc_co_u32_e32 v4, vcc, 0, v9, vcc
	v_add_co_u32_e32 v8, vcc, v3, v8
	v_addc_co_u32_e32 v9, vcc, 0, v4, vcc
	v_mul_lo_u32 v12, s51, v8
	v_mul_lo_u32 v13, s50, v9
	v_mad_u64_u32 v[3:4], s[0:1], s50, v8, 0
	v_xor_b32_e32 v5, s48, v5
	v_add3_u32 v4, v4, v13, v12
	v_sub_u32_e32 v12, v11, v4
	v_mov_b32_e32 v13, s51
	v_sub_co_u32_e32 v3, vcc, v10, v3
	v_subb_co_u32_e64 v10, s[0:1], v12, v13, vcc
	v_subrev_co_u32_e64 v12, s[0:1], s50, v3
	v_subbrev_co_u32_e64 v10, s[0:1], 0, v10, s[0:1]
	v_cmp_le_u32_e64 s[0:1], s51, v10
	v_cndmask_b32_e64 v13, 0, -1, s[0:1]
	v_cmp_le_u32_e64 s[0:1], s50, v12
	v_cndmask_b32_e64 v12, 0, -1, s[0:1]
	v_cmp_eq_u32_e64 s[0:1], s51, v10
	v_cndmask_b32_e64 v10, v13, v12, s[0:1]
	v_add_co_u32_e64 v12, s[0:1], 2, v8
	v_subb_co_u32_e32 v4, vcc, v11, v4, vcc
	v_addc_co_u32_e64 v13, s[0:1], 0, v9, s[0:1]
	v_cmp_le_u32_e32 vcc, s51, v4
	v_add_co_u32_e64 v14, s[0:1], 1, v8
	v_cndmask_b32_e64 v11, 0, -1, vcc
	v_cmp_le_u32_e32 vcc, s50, v3
	v_addc_co_u32_e64 v15, s[0:1], 0, v9, s[0:1]
	v_cndmask_b32_e64 v3, 0, -1, vcc
	v_cmp_eq_u32_e32 vcc, s51, v4
	v_cmp_ne_u32_e64 s[0:1], 0, v10
	v_cndmask_b32_e32 v3, v11, v3, vcc
	v_cmp_ne_u32_e32 vcc, 0, v3
	v_cndmask_b32_e64 v4, v14, v12, s[0:1]
	v_cndmask_b32_e64 v10, v15, v13, s[0:1]
	v_cndmask_b32_e32 v4, v8, v4, vcc
	v_cndmask_b32_e32 v3, v9, v10, vcc
	v_xor_b32_e32 v4, v4, v5
	v_xor_b32_e32 v3, v3, v5
	v_sub_co_u32_e32 v10, vcc, v4, v5
	v_subb_co_u32_e32 v11, vcc, v3, v5, vcc
.LBB43_9:                               ;   in Loop: Header=BB43_3 Depth=1
	s_andn2_saveexec_b64 s[0:1], s[46:47]
	s_cbranch_execz .LBB43_11
; %bb.10:                               ;   in Loop: Header=BB43_3 Depth=1
	v_cvt_f32_u32_e32 v3, s12
	s_sub_i32 s46, 0, s12
	v_mov_b32_e32 v11, v2
	v_rcp_iflag_f32_e32 v3, v3
	v_mul_f32_e32 v3, 0x4f7ffffe, v3
	v_cvt_u32_f32_e32 v3, v3
	v_mul_lo_u32 v4, s46, v3
	v_mul_hi_u32 v4, v3, v4
	v_add_u32_e32 v3, v3, v4
	v_mul_hi_u32 v3, v6, v3
	v_mul_lo_u32 v4, v3, s12
	v_add_u32_e32 v5, 1, v3
	v_sub_u32_e32 v4, v6, v4
	v_subrev_u32_e32 v8, s12, v4
	v_cmp_le_u32_e32 vcc, s12, v4
	v_cndmask_b32_e32 v4, v4, v8, vcc
	v_cndmask_b32_e32 v3, v3, v5, vcc
	v_add_u32_e32 v5, 1, v3
	v_cmp_le_u32_e32 vcc, s12, v4
	v_cndmask_b32_e32 v10, v3, v5, vcc
.LBB43_11:                              ;   in Loop: Header=BB43_3 Depth=1
	s_or_b64 exec, exec, s[0:1]
	v_mul_lo_u32 v5, v7, s26
	v_mul_lo_u32 v8, v6, s27
	v_mad_u64_u32 v[3:4], s[0:1], v6, s26, 0
	v_mul_lo_u32 v12, v11, s12
	v_mul_lo_u32 v13, v10, s13
	v_add3_u32 v5, v4, v8, v5
	v_mad_u64_u32 v[8:9], s[0:1], v10, s12, 0
	v_sub_co_u32_e32 v4, vcc, v0, v3
	v_subb_co_u32_e32 v5, vcc, v1, v5, vcc
	v_add3_u32 v3, v9, v13, v12
	v_mul_lo_u32 v9, s19, v4
	v_mul_lo_u32 v14, s18, v5
	v_mad_u64_u32 v[12:13], s[0:1], s18, v4, 0
	v_sub_co_u32_e32 v16, vcc, v6, v8
	v_subb_co_u32_e32 v17, vcc, v7, v3, vcc
	v_add3_u32 v13, v13, v14, v9
	v_mul_lo_u32 v3, s23, v4
	v_mul_lo_u32 v14, s22, v5
	v_mad_u64_u32 v[6:7], s[0:1], s22, v4, 0
	v_mad_u64_u32 v[8:9], s[0:1], s16, v16, v[12:13]
	v_mul_lo_u32 v12, s16, v17
	v_mul_lo_u32 v13, s17, v16
	v_add3_u32 v7, v7, v14, v3
	v_mad_u64_u32 v[6:7], s[0:1], s20, v16, v[6:7]
	v_add3_u32 v9, v13, v9, v12
	v_mul_lo_u32 v3, s20, v17
	v_mul_lo_u32 v12, s21, v16
	s_andn2_b64 vcc, exec, s[6:7]
	v_add3_u32 v7, v12, v7, v3
	s_cbranch_vccnz .LBB43_29
; %bb.12:                               ;   in Loop: Header=BB43_3 Depth=1
	s_andn2_b64 vcc, exec, s[36:37]
	s_cbranch_vccnz .LBB43_18
; %bb.13:                               ;   in Loop: Header=BB43_3 Depth=1
	s_load_dwordx2 s[46:47], s[38:39], 0x8
                                        ; implicit-def: $vgpr12_vgpr13
	s_waitcnt lgkmcnt(0)
	v_or_b32_e32 v3, s47, v11
	v_cmp_ne_u64_e32 vcc, 0, v[2:3]
	s_and_saveexec_b64 s[0:1], vcc
	s_xor_b64 s[48:49], exec, s[0:1]
	s_cbranch_execz .LBB43_15
; %bb.14:                               ;   in Loop: Header=BB43_3 Depth=1
	s_ashr_i32 s50, s47, 31
	s_add_u32 s0, s46, s50
	s_mov_b32 s51, s50
	s_addc_u32 s1, s47, s50
	s_xor_b64 s[52:53], s[0:1], s[50:51]
	v_cvt_f32_u32_e32 v3, s52
	v_cvt_f32_u32_e32 v12, s53
	s_sub_u32 s51, 0, s52
	s_subb_u32 s54, 0, s53
	v_mac_f32_e32 v3, 0x4f800000, v12
	v_rcp_f32_e32 v3, v3
	v_mul_f32_e32 v3, 0x5f7ffffc, v3
	v_mul_f32_e32 v12, 0x2f800000, v3
	v_trunc_f32_e32 v12, v12
	v_mac_f32_e32 v3, 0xcf800000, v12
	v_cvt_u32_f32_e32 v12, v12
	v_cvt_u32_f32_e32 v3, v3
	v_readfirstlane_b32 s55, v12
	v_readfirstlane_b32 s0, v3
	s_mul_i32 s1, s51, s55
	s_mul_hi_u32 s57, s51, s0
	s_mul_i32 s56, s54, s0
	s_add_i32 s1, s57, s1
	s_add_i32 s1, s1, s56
	s_mul_i32 s58, s51, s0
	s_mul_i32 s57, s0, s1
	s_mul_hi_u32 s59, s0, s58
	s_mul_hi_u32 s56, s0, s1
	s_add_u32 s57, s59, s57
	s_addc_u32 s56, 0, s56
	s_mul_hi_u32 s60, s55, s58
	s_mul_i32 s58, s55, s58
	s_add_u32 s57, s57, s58
	s_mul_hi_u32 s59, s55, s1
	s_addc_u32 s56, s56, s60
	s_addc_u32 s57, s59, 0
	s_mul_i32 s1, s55, s1
	s_add_u32 s1, s56, s1
	s_addc_u32 s56, 0, s57
	s_add_u32 s57, s0, s1
	s_cselect_b64 s[0:1], -1, 0
	s_cmp_lg_u64 s[0:1], 0
	s_addc_u32 s55, s55, s56
	s_mul_i32 s0, s51, s55
	s_mul_hi_u32 s1, s51, s57
	s_add_i32 s0, s1, s0
	s_mul_i32 s54, s54, s57
	s_add_i32 s0, s0, s54
	s_mul_i32 s51, s51, s57
	s_mul_hi_u32 s54, s55, s51
	s_mul_i32 s56, s55, s51
	s_mul_i32 s59, s57, s0
	s_mul_hi_u32 s51, s57, s51
	s_mul_hi_u32 s58, s57, s0
	s_add_u32 s51, s51, s59
	s_addc_u32 s58, 0, s58
	s_add_u32 s51, s51, s56
	s_mul_hi_u32 s1, s55, s0
	s_addc_u32 s51, s58, s54
	s_addc_u32 s1, s1, 0
	s_mul_i32 s0, s55, s0
	s_add_u32 s0, s51, s0
	s_addc_u32 s51, 0, s1
	s_add_u32 s54, s57, s0
	s_cselect_b64 s[0:1], -1, 0
	v_ashrrev_i32_e32 v3, 31, v11
	s_cmp_lg_u64 s[0:1], 0
	v_add_co_u32_e32 v12, vcc, v10, v3
	s_addc_u32 s51, s55, s51
	v_xor_b32_e32 v18, v12, v3
	v_mad_u64_u32 v[12:13], s[0:1], v18, s51, 0
	v_mul_hi_u32 v15, v18, s54
	v_addc_co_u32_e32 v14, vcc, v11, v3, vcc
	v_xor_b32_e32 v19, v14, v3
	v_add_co_u32_e32 v20, vcc, v15, v12
	v_addc_co_u32_e32 v21, vcc, 0, v13, vcc
	v_mad_u64_u32 v[12:13], s[0:1], v19, s54, 0
	v_mad_u64_u32 v[14:15], s[0:1], v19, s51, 0
	v_add_co_u32_e32 v12, vcc, v20, v12
	v_addc_co_u32_e32 v12, vcc, v21, v13, vcc
	v_addc_co_u32_e32 v13, vcc, 0, v15, vcc
	v_add_co_u32_e32 v14, vcc, v12, v14
	v_addc_co_u32_e32 v15, vcc, 0, v13, vcc
	v_mul_lo_u32 v20, s53, v14
	v_mul_lo_u32 v21, s52, v15
	v_mad_u64_u32 v[12:13], s[0:1], s52, v14, 0
	v_xor_b32_e32 v3, s50, v3
	v_add3_u32 v13, v13, v21, v20
	v_sub_u32_e32 v20, v19, v13
	v_mov_b32_e32 v21, s53
	v_sub_co_u32_e32 v12, vcc, v18, v12
	v_subb_co_u32_e64 v18, s[0:1], v20, v21, vcc
	v_subrev_co_u32_e64 v20, s[0:1], s52, v12
	v_subbrev_co_u32_e64 v18, s[0:1], 0, v18, s[0:1]
	v_cmp_le_u32_e64 s[0:1], s53, v18
	v_cndmask_b32_e64 v21, 0, -1, s[0:1]
	v_cmp_le_u32_e64 s[0:1], s52, v20
	v_cndmask_b32_e64 v20, 0, -1, s[0:1]
	v_cmp_eq_u32_e64 s[0:1], s53, v18
	v_cndmask_b32_e64 v18, v21, v20, s[0:1]
	v_add_co_u32_e64 v20, s[0:1], 2, v14
	v_subb_co_u32_e32 v13, vcc, v19, v13, vcc
	v_addc_co_u32_e64 v21, s[0:1], 0, v15, s[0:1]
	v_cmp_le_u32_e32 vcc, s53, v13
	v_add_co_u32_e64 v22, s[0:1], 1, v14
	v_cndmask_b32_e64 v19, 0, -1, vcc
	v_cmp_le_u32_e32 vcc, s52, v12
	v_addc_co_u32_e64 v23, s[0:1], 0, v15, s[0:1]
	v_cndmask_b32_e64 v12, 0, -1, vcc
	v_cmp_eq_u32_e32 vcc, s53, v13
	v_cmp_ne_u32_e64 s[0:1], 0, v18
	v_cndmask_b32_e32 v12, v19, v12, vcc
	v_cndmask_b32_e64 v18, v23, v21, s[0:1]
	v_cmp_ne_u32_e32 vcc, 0, v12
	v_cndmask_b32_e64 v13, v22, v20, s[0:1]
	v_cndmask_b32_e32 v12, v15, v18, vcc
	v_cndmask_b32_e32 v13, v14, v13, vcc
	v_xor_b32_e32 v14, v12, v3
	v_xor_b32_e32 v12, v13, v3
	v_sub_co_u32_e32 v12, vcc, v12, v3
	v_subb_co_u32_e32 v13, vcc, v14, v3, vcc
.LBB43_15:                              ;   in Loop: Header=BB43_3 Depth=1
	s_andn2_saveexec_b64 s[0:1], s[48:49]
	s_cbranch_execz .LBB43_17
; %bb.16:                               ;   in Loop: Header=BB43_3 Depth=1
	v_cvt_f32_u32_e32 v3, s46
	s_sub_i32 s48, 0, s46
	v_rcp_iflag_f32_e32 v3, v3
	v_mul_f32_e32 v3, 0x4f7ffffe, v3
	v_cvt_u32_f32_e32 v3, v3
	v_mul_lo_u32 v12, s48, v3
	v_mul_hi_u32 v12, v3, v12
	v_add_u32_e32 v3, v3, v12
	v_mul_hi_u32 v3, v10, v3
	v_mul_lo_u32 v12, v3, s46
	v_add_u32_e32 v13, 1, v3
	v_sub_u32_e32 v12, v10, v12
	v_subrev_u32_e32 v14, s46, v12
	v_cmp_le_u32_e32 vcc, s46, v12
	v_cndmask_b32_e32 v12, v12, v14, vcc
	v_cndmask_b32_e32 v3, v3, v13, vcc
	v_add_u32_e32 v13, 1, v3
	v_cmp_le_u32_e32 vcc, s46, v12
	v_cndmask_b32_e32 v12, v3, v13, vcc
	v_mov_b32_e32 v13, v2
.LBB43_17:                              ;   in Loop: Header=BB43_3 Depth=1
	s_or_b64 exec, exec, s[0:1]
	v_mul_lo_u32 v3, v13, s46
	v_mul_lo_u32 v18, v12, s47
	v_mad_u64_u32 v[14:15], s[0:1], v12, s46, 0
	s_load_dwordx2 s[0:1], s[38:39], 0xd0
	s_load_dwordx2 s[46:47], s[40:41], 0xd0
	v_add3_u32 v3, v15, v18, v3
	v_sub_co_u32_e32 v10, vcc, v10, v14
	v_subb_co_u32_e32 v3, vcc, v11, v3, vcc
	s_waitcnt lgkmcnt(0)
	v_mul_lo_u32 v11, s0, v3
	v_mul_lo_u32 v14, s1, v10
	v_mad_u64_u32 v[8:9], s[0:1], s0, v10, v[8:9]
	v_mul_lo_u32 v3, s46, v3
	v_mul_lo_u32 v15, s47, v10
	v_mad_u64_u32 v[6:7], s[0:1], s46, v10, v[6:7]
	v_add3_u32 v9, v14, v9, v11
	v_mov_b32_e32 v10, v12
	v_add3_u32 v7, v15, v7, v3
	v_mov_b32_e32 v11, v13
	s_mov_b64 s[0:1], s[42:43]
	s_andn2_b64 vcc, exec, s[44:45]
	s_cbranch_vccz .LBB43_19
	s_branch .LBB43_29
.LBB43_18:                              ;   in Loop: Header=BB43_3 Depth=1
	s_mov_b64 s[0:1], s[24:25]
	s_andn2_b64 vcc, exec, s[44:45]
	s_cbranch_vccnz .LBB43_29
.LBB43_19:                              ;   in Loop: Header=BB43_3 Depth=1
	s_lshl_b64 s[48:49], s[0:1], 3
	s_add_u32 s46, s72, s48
	s_addc_u32 s47, s73, s49
	s_add_u32 s48, s33, s48
	s_addc_u32 s49, s66, s49
	;; [unrolled: 2-line block ×3, first 2 shown]
	s_branch .LBB43_21
.LBB43_20:                              ;   in Loop: Header=BB43_21 Depth=2
	s_or_b64 exec, exec, s[0:1]
	v_mul_lo_u32 v3, v13, s52
	v_mul_lo_u32 v20, v12, s53
	v_mad_u64_u32 v[18:19], s[0:1], v12, s52, 0
	v_mul_lo_u32 v21, v15, s54
	v_mul_lo_u32 v22, v14, s55
	v_add3_u32 v3, v19, v20, v3
	v_sub_co_u32_e32 v10, vcc, v10, v18
	v_subb_co_u32_e32 v3, vcc, v11, v3, vcc
	v_mul_lo_u32 v18, s58, v3
	v_mul_lo_u32 v19, s59, v10
	v_mad_u64_u32 v[8:9], s[0:1], s58, v10, v[8:9]
	v_mul_lo_u32 v3, s56, v3
	v_mul_lo_u32 v20, s57, v10
	v_mad_u64_u32 v[6:7], s[0:1], s56, v10, v[6:7]
	v_mad_u64_u32 v[10:11], s[0:1], v14, s54, 0
	s_load_dwordx2 s[0:1], s[48:49], 0xc8
	s_load_dwordx2 s[52:53], s[46:47], 0x0
	v_add3_u32 v7, v20, v7, v3
	v_add3_u32 v3, v11, v22, v21
	v_sub_co_u32_e32 v10, vcc, v12, v10
	v_add3_u32 v9, v19, v9, v18
	v_subb_co_u32_e32 v3, vcc, v13, v3, vcc
	s_add_u32 s46, s46, -16
	s_waitcnt lgkmcnt(0)
	v_mad_u64_u32 v[8:9], s[54:55], s0, v10, v[8:9]
	v_mul_lo_u32 v11, s0, v3
	v_mul_lo_u32 v12, s1, v10
	v_mad_u64_u32 v[6:7], s[0:1], s52, v10, v[6:7]
	v_mul_lo_u32 v3, s52, v3
	v_mul_lo_u32 v10, s53, v10
	s_addc_u32 s47, s47, -1
	s_add_u32 s48, s48, -16
	s_addc_u32 s49, s49, -1
	s_add_u32 s50, s50, -2
	v_add3_u32 v9, v12, v9, v11
	v_add3_u32 v7, v10, v7, v3
	s_addc_u32 s51, s51, -1
	v_mov_b32_e32 v10, v14
	s_cmp_eq_u64 s[50:51], 0
	v_mov_b32_e32 v11, v15
	s_cbranch_scc1 .LBB43_29
.LBB43_21:                              ;   Parent Loop BB43_3 Depth=1
                                        ; =>  This Inner Loop Header: Depth=2
	s_load_dwordx2 s[52:53], s[48:49], 0x8
                                        ; implicit-def: $vgpr12_vgpr13
	s_waitcnt lgkmcnt(0)
	v_or_b32_e32 v3, s53, v11
	v_cmp_ne_u64_e32 vcc, 0, v[2:3]
	s_and_saveexec_b64 s[0:1], vcc
	s_xor_b64 s[54:55], exec, s[0:1]
	s_cbranch_execz .LBB43_23
; %bb.22:                               ;   in Loop: Header=BB43_21 Depth=2
	s_ashr_i32 s56, s53, 31
	s_add_u32 s0, s52, s56
	s_mov_b32 s57, s56
	s_addc_u32 s1, s53, s56
	s_xor_b64 s[58:59], s[0:1], s[56:57]
	v_cvt_f32_u32_e32 v3, s58
	v_cvt_f32_u32_e32 v12, s59
	s_sub_u32 s57, 0, s58
	s_subb_u32 s60, 0, s59
	v_mac_f32_e32 v3, 0x4f800000, v12
	v_rcp_f32_e32 v3, v3
	v_mul_f32_e32 v3, 0x5f7ffffc, v3
	v_mul_f32_e32 v12, 0x2f800000, v3
	v_trunc_f32_e32 v12, v12
	v_mac_f32_e32 v3, 0xcf800000, v12
	v_cvt_u32_f32_e32 v12, v12
	v_cvt_u32_f32_e32 v3, v3
	v_readfirstlane_b32 s61, v12
	v_readfirstlane_b32 s0, v3
	s_mul_i32 s1, s57, s61
	s_mul_hi_u32 s63, s57, s0
	s_mul_i32 s62, s60, s0
	s_add_i32 s1, s63, s1
	s_add_i32 s1, s1, s62
	s_mul_i32 s64, s57, s0
	s_mul_i32 s63, s0, s1
	s_mul_hi_u32 s65, s0, s64
	s_mul_hi_u32 s62, s0, s1
	s_add_u32 s63, s65, s63
	s_addc_u32 s62, 0, s62
	s_mul_hi_u32 s74, s61, s64
	s_mul_i32 s64, s61, s64
	s_add_u32 s63, s63, s64
	s_mul_hi_u32 s65, s61, s1
	s_addc_u32 s62, s62, s74
	s_addc_u32 s63, s65, 0
	s_mul_i32 s1, s61, s1
	s_add_u32 s1, s62, s1
	s_addc_u32 s62, 0, s63
	s_add_u32 s63, s0, s1
	s_cselect_b64 s[0:1], -1, 0
	s_cmp_lg_u64 s[0:1], 0
	s_addc_u32 s61, s61, s62
	s_mul_i32 s0, s57, s61
	s_mul_hi_u32 s1, s57, s63
	s_add_i32 s0, s1, s0
	s_mul_i32 s60, s60, s63
	s_add_i32 s0, s0, s60
	s_mul_i32 s57, s57, s63
	s_mul_hi_u32 s60, s61, s57
	s_mul_i32 s62, s61, s57
	s_mul_i32 s65, s63, s0
	s_mul_hi_u32 s57, s63, s57
	s_mul_hi_u32 s64, s63, s0
	s_add_u32 s57, s57, s65
	s_addc_u32 s64, 0, s64
	s_add_u32 s57, s57, s62
	s_mul_hi_u32 s1, s61, s0
	s_addc_u32 s57, s64, s60
	s_addc_u32 s1, s1, 0
	s_mul_i32 s0, s61, s0
	s_add_u32 s0, s57, s0
	s_addc_u32 s57, 0, s1
	s_add_u32 s60, s63, s0
	s_cselect_b64 s[0:1], -1, 0
	v_ashrrev_i32_e32 v3, 31, v11
	s_cmp_lg_u64 s[0:1], 0
	v_add_co_u32_e32 v12, vcc, v10, v3
	s_addc_u32 s57, s61, s57
	v_xor_b32_e32 v18, v12, v3
	v_mad_u64_u32 v[12:13], s[0:1], v18, s57, 0
	v_mul_hi_u32 v15, v18, s60
	v_addc_co_u32_e32 v14, vcc, v11, v3, vcc
	v_xor_b32_e32 v19, v14, v3
	v_add_co_u32_e32 v20, vcc, v15, v12
	v_addc_co_u32_e32 v21, vcc, 0, v13, vcc
	v_mad_u64_u32 v[12:13], s[0:1], v19, s60, 0
	v_mad_u64_u32 v[14:15], s[0:1], v19, s57, 0
	v_add_co_u32_e32 v12, vcc, v20, v12
	v_addc_co_u32_e32 v12, vcc, v21, v13, vcc
	v_addc_co_u32_e32 v13, vcc, 0, v15, vcc
	v_add_co_u32_e32 v14, vcc, v12, v14
	v_addc_co_u32_e32 v15, vcc, 0, v13, vcc
	v_mul_lo_u32 v20, s59, v14
	v_mul_lo_u32 v21, s58, v15
	v_mad_u64_u32 v[12:13], s[0:1], s58, v14, 0
	v_xor_b32_e32 v3, s56, v3
	v_add3_u32 v13, v13, v21, v20
	v_sub_u32_e32 v20, v19, v13
	v_mov_b32_e32 v21, s59
	v_sub_co_u32_e32 v12, vcc, v18, v12
	v_subb_co_u32_e64 v18, s[0:1], v20, v21, vcc
	v_subrev_co_u32_e64 v20, s[0:1], s58, v12
	v_subbrev_co_u32_e64 v18, s[0:1], 0, v18, s[0:1]
	v_cmp_le_u32_e64 s[0:1], s59, v18
	v_cndmask_b32_e64 v21, 0, -1, s[0:1]
	v_cmp_le_u32_e64 s[0:1], s58, v20
	v_cndmask_b32_e64 v20, 0, -1, s[0:1]
	v_cmp_eq_u32_e64 s[0:1], s59, v18
	v_cndmask_b32_e64 v18, v21, v20, s[0:1]
	v_add_co_u32_e64 v20, s[0:1], 2, v14
	v_subb_co_u32_e32 v13, vcc, v19, v13, vcc
	v_addc_co_u32_e64 v21, s[0:1], 0, v15, s[0:1]
	v_cmp_le_u32_e32 vcc, s59, v13
	v_add_co_u32_e64 v22, s[0:1], 1, v14
	v_cndmask_b32_e64 v19, 0, -1, vcc
	v_cmp_le_u32_e32 vcc, s58, v12
	v_addc_co_u32_e64 v23, s[0:1], 0, v15, s[0:1]
	v_cndmask_b32_e64 v12, 0, -1, vcc
	v_cmp_eq_u32_e32 vcc, s59, v13
	v_cmp_ne_u32_e64 s[0:1], 0, v18
	v_cndmask_b32_e32 v12, v19, v12, vcc
	v_cndmask_b32_e64 v18, v23, v21, s[0:1]
	v_cmp_ne_u32_e32 vcc, 0, v12
	v_cndmask_b32_e64 v13, v22, v20, s[0:1]
	v_cndmask_b32_e32 v12, v15, v18, vcc
	v_cndmask_b32_e32 v13, v14, v13, vcc
	v_xor_b32_e32 v14, v12, v3
	v_xor_b32_e32 v12, v13, v3
	v_sub_co_u32_e32 v12, vcc, v12, v3
	v_subb_co_u32_e32 v13, vcc, v14, v3, vcc
.LBB43_23:                              ;   in Loop: Header=BB43_21 Depth=2
	s_andn2_saveexec_b64 s[0:1], s[54:55]
	s_cbranch_execz .LBB43_25
; %bb.24:                               ;   in Loop: Header=BB43_21 Depth=2
	v_cvt_f32_u32_e32 v3, s52
	s_sub_i32 s54, 0, s52
	v_rcp_iflag_f32_e32 v3, v3
	v_mul_f32_e32 v3, 0x4f7ffffe, v3
	v_cvt_u32_f32_e32 v3, v3
	v_mul_lo_u32 v12, s54, v3
	v_mul_hi_u32 v12, v3, v12
	v_add_u32_e32 v3, v3, v12
	v_mul_hi_u32 v3, v10, v3
	v_mul_lo_u32 v12, v3, s52
	v_add_u32_e32 v13, 1, v3
	v_sub_u32_e32 v12, v10, v12
	v_subrev_u32_e32 v14, s52, v12
	v_cmp_le_u32_e32 vcc, s52, v12
	v_cndmask_b32_e32 v12, v12, v14, vcc
	v_cndmask_b32_e32 v3, v3, v13, vcc
	v_add_u32_e32 v13, 1, v3
	v_cmp_le_u32_e32 vcc, s52, v12
	v_cndmask_b32_e32 v12, v3, v13, vcc
	v_mov_b32_e32 v13, v2
.LBB43_25:                              ;   in Loop: Header=BB43_21 Depth=2
	s_or_b64 exec, exec, s[0:1]
	s_load_dwordx2 s[54:55], s[48:49], 0x0
	s_load_dwordx2 s[58:59], s[48:49], 0xd0
	;; [unrolled: 1-line block ×3, first 2 shown]
                                        ; implicit-def: $vgpr14_vgpr15
	s_waitcnt lgkmcnt(0)
	v_or_b32_e32 v3, s55, v13
	v_cmp_ne_u64_e32 vcc, 0, v[2:3]
	s_and_saveexec_b64 s[0:1], vcc
	s_xor_b64 s[60:61], exec, s[0:1]
	s_cbranch_execz .LBB43_27
; %bb.26:                               ;   in Loop: Header=BB43_21 Depth=2
	s_ashr_i32 s62, s55, 31
	s_add_u32 s0, s54, s62
	s_mov_b32 s63, s62
	s_addc_u32 s1, s55, s62
	s_xor_b64 s[64:65], s[0:1], s[62:63]
	v_cvt_f32_u32_e32 v3, s64
	v_cvt_f32_u32_e32 v14, s65
	s_sub_u32 s63, 0, s64
	s_subb_u32 s74, 0, s65
	v_mac_f32_e32 v3, 0x4f800000, v14
	v_rcp_f32_e32 v3, v3
	v_mul_f32_e32 v3, 0x5f7ffffc, v3
	v_mul_f32_e32 v14, 0x2f800000, v3
	v_trunc_f32_e32 v14, v14
	v_mac_f32_e32 v3, 0xcf800000, v14
	v_cvt_u32_f32_e32 v14, v14
	v_cvt_u32_f32_e32 v3, v3
	v_readfirstlane_b32 s75, v14
	v_readfirstlane_b32 s0, v3
	s_mul_i32 s1, s63, s75
	s_mul_hi_u32 s77, s63, s0
	s_mul_i32 s76, s74, s0
	s_add_i32 s1, s77, s1
	s_add_i32 s1, s1, s76
	s_mul_i32 s78, s63, s0
	s_mul_i32 s77, s0, s1
	s_mul_hi_u32 s79, s0, s78
	s_mul_hi_u32 s76, s0, s1
	s_add_u32 s77, s79, s77
	s_addc_u32 s76, 0, s76
	s_mul_hi_u32 s80, s75, s78
	s_mul_i32 s78, s75, s78
	s_add_u32 s77, s77, s78
	s_mul_hi_u32 s79, s75, s1
	s_addc_u32 s76, s76, s80
	s_addc_u32 s77, s79, 0
	s_mul_i32 s1, s75, s1
	s_add_u32 s1, s76, s1
	s_addc_u32 s76, 0, s77
	s_add_u32 s77, s0, s1
	s_cselect_b64 s[0:1], -1, 0
	s_cmp_lg_u64 s[0:1], 0
	s_addc_u32 s75, s75, s76
	s_mul_i32 s0, s63, s75
	s_mul_hi_u32 s1, s63, s77
	s_add_i32 s0, s1, s0
	s_mul_i32 s74, s74, s77
	s_add_i32 s0, s0, s74
	s_mul_i32 s63, s63, s77
	s_mul_hi_u32 s74, s75, s63
	s_mul_i32 s76, s75, s63
	s_mul_i32 s79, s77, s0
	s_mul_hi_u32 s63, s77, s63
	s_mul_hi_u32 s78, s77, s0
	s_add_u32 s63, s63, s79
	s_addc_u32 s78, 0, s78
	s_add_u32 s63, s63, s76
	s_mul_hi_u32 s1, s75, s0
	s_addc_u32 s63, s78, s74
	s_addc_u32 s1, s1, 0
	s_mul_i32 s0, s75, s0
	s_add_u32 s0, s63, s0
	s_addc_u32 s63, 0, s1
	s_add_u32 s74, s77, s0
	s_cselect_b64 s[0:1], -1, 0
	v_ashrrev_i32_e32 v3, 31, v13
	s_cmp_lg_u64 s[0:1], 0
	v_add_co_u32_e32 v14, vcc, v12, v3
	s_addc_u32 s63, s75, s63
	v_xor_b32_e32 v20, v14, v3
	v_mad_u64_u32 v[14:15], s[0:1], v20, s63, 0
	v_mul_hi_u32 v19, v20, s74
	v_addc_co_u32_e32 v18, vcc, v13, v3, vcc
	v_xor_b32_e32 v21, v18, v3
	v_add_co_u32_e32 v22, vcc, v19, v14
	v_addc_co_u32_e32 v23, vcc, 0, v15, vcc
	v_mad_u64_u32 v[14:15], s[0:1], v21, s74, 0
	v_mad_u64_u32 v[18:19], s[0:1], v21, s63, 0
	v_add_co_u32_e32 v14, vcc, v22, v14
	v_addc_co_u32_e32 v14, vcc, v23, v15, vcc
	v_addc_co_u32_e32 v15, vcc, 0, v19, vcc
	v_add_co_u32_e32 v18, vcc, v14, v18
	v_addc_co_u32_e32 v19, vcc, 0, v15, vcc
	v_mul_lo_u32 v22, s65, v18
	v_mul_lo_u32 v23, s64, v19
	v_mad_u64_u32 v[14:15], s[0:1], s64, v18, 0
	v_xor_b32_e32 v3, s62, v3
	v_add3_u32 v15, v15, v23, v22
	v_sub_u32_e32 v22, v21, v15
	v_mov_b32_e32 v23, s65
	v_sub_co_u32_e32 v14, vcc, v20, v14
	v_subb_co_u32_e64 v20, s[0:1], v22, v23, vcc
	v_subrev_co_u32_e64 v22, s[0:1], s64, v14
	v_subbrev_co_u32_e64 v20, s[0:1], 0, v20, s[0:1]
	v_cmp_le_u32_e64 s[0:1], s65, v20
	v_cndmask_b32_e64 v23, 0, -1, s[0:1]
	v_cmp_le_u32_e64 s[0:1], s64, v22
	v_cndmask_b32_e64 v22, 0, -1, s[0:1]
	v_cmp_eq_u32_e64 s[0:1], s65, v20
	v_cndmask_b32_e64 v20, v23, v22, s[0:1]
	v_add_co_u32_e64 v22, s[0:1], 2, v18
	v_subb_co_u32_e32 v15, vcc, v21, v15, vcc
	v_addc_co_u32_e64 v23, s[0:1], 0, v19, s[0:1]
	v_cmp_le_u32_e32 vcc, s65, v15
	v_add_co_u32_e64 v24, s[0:1], 1, v18
	v_cndmask_b32_e64 v21, 0, -1, vcc
	v_cmp_le_u32_e32 vcc, s64, v14
	v_addc_co_u32_e64 v25, s[0:1], 0, v19, s[0:1]
	v_cndmask_b32_e64 v14, 0, -1, vcc
	v_cmp_eq_u32_e32 vcc, s65, v15
	v_cmp_ne_u32_e64 s[0:1], 0, v20
	v_cndmask_b32_e32 v14, v21, v14, vcc
	v_cndmask_b32_e64 v20, v25, v23, s[0:1]
	v_cmp_ne_u32_e32 vcc, 0, v14
	v_cndmask_b32_e64 v15, v24, v22, s[0:1]
	v_cndmask_b32_e32 v14, v19, v20, vcc
	v_cndmask_b32_e32 v15, v18, v15, vcc
	v_xor_b32_e32 v18, v14, v3
	v_xor_b32_e32 v14, v15, v3
	v_sub_co_u32_e32 v14, vcc, v14, v3
	v_subb_co_u32_e32 v15, vcc, v18, v3, vcc
.LBB43_27:                              ;   in Loop: Header=BB43_21 Depth=2
	s_andn2_saveexec_b64 s[0:1], s[60:61]
	s_cbranch_execz .LBB43_20
; %bb.28:                               ;   in Loop: Header=BB43_21 Depth=2
	v_cvt_f32_u32_e32 v3, s54
	s_sub_i32 s60, 0, s54
	v_rcp_iflag_f32_e32 v3, v3
	v_mul_f32_e32 v3, 0x4f7ffffe, v3
	v_cvt_u32_f32_e32 v3, v3
	v_mul_lo_u32 v14, s60, v3
	v_mul_hi_u32 v14, v3, v14
	v_add_u32_e32 v3, v3, v14
	v_mul_hi_u32 v3, v12, v3
	v_mul_lo_u32 v14, v3, s54
	v_add_u32_e32 v15, 1, v3
	v_sub_u32_e32 v14, v12, v14
	v_subrev_u32_e32 v18, s54, v14
	v_cmp_le_u32_e32 vcc, s54, v14
	v_cndmask_b32_e32 v14, v14, v18, vcc
	v_cndmask_b32_e32 v3, v3, v15, vcc
	v_add_u32_e32 v15, 1, v3
	v_cmp_le_u32_e32 vcc, s54, v14
	v_cndmask_b32_e32 v14, v3, v15, vcc
	v_mov_b32_e32 v15, v2
	s_branch .LBB43_20
.LBB43_29:                              ;   in Loop: Header=BB43_3 Depth=1
	v_sub_co_u32_e32 v10, vcc, v4, v16
	v_subb_co_u32_e32 v11, vcc, v5, v17, vcc
	v_cmp_ge_i64_e32 vcc, s[8:9], v[10:11]
	v_mov_b32_e32 v3, 0
	v_mov_b32_e32 v15, 0
	;; [unrolled: 1-line block ×4, first 2 shown]
	s_and_saveexec_b64 s[0:1], vcc
	s_cbranch_execz .LBB43_39
; %bb.30:                               ;   in Loop: Header=BB43_3 Depth=1
	v_cmp_gt_i64_e32 vcc, s[14:15], v[4:5]
	v_mov_b32_e32 v14, 0
	v_mov_b32_e32 v13, 0
	;; [unrolled: 1-line block ×4, first 2 shown]
	s_and_saveexec_b64 s[46:47], vcc
	s_cbranch_execz .LBB43_38
; %bb.31:                               ;   in Loop: Header=BB43_3 Depth=1
	v_lshlrev_b64 v[8:9], 1, v[8:9]
	v_mov_b32_e32 v3, s3
	v_add_co_u32_e32 v8, vcc, s2, v8
	v_addc_co_u32_e32 v9, vcc, v3, v9, vcc
	global_load_ushort v3, v[8:9], off
	v_add_co_u32_e32 v12, vcc, 1, v4
	v_addc_co_u32_e32 v13, vcc, 0, v5, vcc
	v_cmp_gt_i64_e32 vcc, s[14:15], v[12:13]
	v_mov_b32_e32 v12, 0
	v_mov_b32_e32 v13, 0
	;; [unrolled: 1-line block ×3, first 2 shown]
	s_and_saveexec_b64 s[48:49], vcc
	s_cbranch_execz .LBB43_37
; %bb.32:                               ;   in Loop: Header=BB43_3 Depth=1
	s_lshl_b64 s[50:51], s[18:19], 1
	v_mov_b32_e32 v13, s51
	v_add_co_u32_e32 v12, vcc, s50, v8
	v_addc_co_u32_e32 v13, vcc, v9, v13, vcc
	global_load_ushort v12, v[12:13], off
	v_add_co_u32_e32 v13, vcc, 2, v4
	v_addc_co_u32_e32 v14, vcc, 0, v5, vcc
	v_cmp_gt_i64_e32 vcc, s[14:15], v[13:14]
	v_mov_b32_e32 v13, 0
	v_mov_b32_e32 v14, 0
	s_and_saveexec_b64 s[50:51], vcc
	s_cbranch_execz .LBB43_36
; %bb.33:                               ;   in Loop: Header=BB43_3 Depth=1
	v_mov_b32_e32 v14, s31
	v_add_co_u32_e32 v13, vcc, s30, v8
	v_addc_co_u32_e32 v14, vcc, v9, v14, vcc
	global_load_ushort v13, v[13:14], off
	v_add_co_u32_e32 v14, vcc, 3, v4
	v_addc_co_u32_e32 v15, vcc, 0, v5, vcc
	v_cmp_gt_i64_e32 vcc, s[14:15], v[14:15]
	v_mov_b32_e32 v14, 0
	s_and_saveexec_b64 s[52:53], vcc
	s_cbranch_execz .LBB43_35
; %bb.34:                               ;   in Loop: Header=BB43_3 Depth=1
	v_mov_b32_e32 v14, s68
	v_add_co_u32_e32 v8, vcc, s69, v8
	v_addc_co_u32_e32 v9, vcc, v9, v14, vcc
	global_load_ushort v14, v[8:9], off
.LBB43_35:                              ;   in Loop: Header=BB43_3 Depth=1
	s_or_b64 exec, exec, s[52:53]
.LBB43_36:                              ;   in Loop: Header=BB43_3 Depth=1
	s_or_b64 exec, exec, s[50:51]
.LBB43_37:                              ;   in Loop: Header=BB43_3 Depth=1
	s_or_b64 exec, exec, s[48:49]
.LBB43_38:                              ;   in Loop: Header=BB43_3 Depth=1
	s_or_b64 exec, exec, s[46:47]
	v_add_co_u32_e32 v8, vcc, 1, v10
	v_addc_co_u32_e32 v9, vcc, 0, v11, vcc
	v_cmp_ge_i64_e32 vcc, s[8:9], v[8:9]
	s_waitcnt vmcnt(0)
	v_cndmask_b32_e32 v15, 0, v12, vcc
	v_add_co_u32_e32 v8, vcc, 2, v10
	v_addc_co_u32_e32 v9, vcc, 0, v11, vcc
	v_cmp_ge_i64_e32 vcc, s[8:9], v[8:9]
	v_cndmask_b32_e32 v13, 0, v13, vcc
	v_add_co_u32_e32 v8, vcc, 3, v10
	v_addc_co_u32_e32 v9, vcc, 0, v11, vcc
	v_cmp_ge_i64_e32 vcc, s[8:9], v[8:9]
	v_cndmask_b32_e32 v12, 0, v14, vcc
.LBB43_39:                              ;   in Loop: Header=BB43_3 Depth=1
	s_or_b64 exec, exec, s[0:1]
	v_cmp_gt_i64_e32 vcc, s[14:15], v[4:5]
	s_and_saveexec_b64 s[0:1], vcc
	s_cbranch_execz .LBB43_2
; %bb.40:                               ;   in Loop: Header=BB43_3 Depth=1
	v_lshlrev_b64 v[6:7], 1, v[6:7]
	v_mov_b32_e32 v8, s29
	v_add_co_u32_e32 v6, vcc, s28, v6
	v_addc_co_u32_e32 v7, vcc, v8, v7, vcc
	v_add_co_u32_e32 v8, vcc, 1, v4
	v_addc_co_u32_e32 v9, vcc, 0, v5, vcc
	v_cmp_gt_i64_e32 vcc, s[14:15], v[8:9]
	global_store_short v[6:7], v3, off
	s_and_saveexec_b64 s[46:47], vcc
	s_xor_b64 s[46:47], exec, s[46:47]
	s_cbranch_execz .LBB43_2
; %bb.41:                               ;   in Loop: Header=BB43_3 Depth=1
	s_lshl_b64 s[46:47], s[22:23], 1
	v_mov_b32_e32 v3, s47
	v_add_co_u32_e32 v8, vcc, s46, v6
	v_addc_co_u32_e32 v9, vcc, v7, v3, vcc
	v_add_co_u32_e32 v10, vcc, 2, v4
	v_addc_co_u32_e32 v11, vcc, 0, v5, vcc
	v_cmp_gt_i64_e32 vcc, s[14:15], v[10:11]
	global_store_short v[8:9], v15, off
	s_and_saveexec_b64 s[46:47], vcc
	s_xor_b64 s[46:47], exec, s[46:47]
	s_cbranch_execz .LBB43_2
; %bb.42:                               ;   in Loop: Header=BB43_3 Depth=1
	v_mov_b32_e32 v3, s35
	v_add_co_u32_e32 v8, vcc, s34, v6
	v_addc_co_u32_e32 v9, vcc, v7, v3, vcc
	v_add_co_u32_e32 v3, vcc, 3, v4
	v_addc_co_u32_e32 v4, vcc, 0, v5, vcc
	v_cmp_gt_i64_e32 vcc, s[14:15], v[3:4]
	global_store_short v[8:9], v13, off
	s_and_saveexec_b64 s[46:47], vcc
	s_xor_b64 s[46:47], exec, s[46:47]
	s_cbranch_execz .LBB43_2
; %bb.43:                               ;   in Loop: Header=BB43_3 Depth=1
	v_mov_b32_e32 v4, s70
	v_add_co_u32_e32 v3, vcc, s71, v6
	v_addc_co_u32_e32 v4, vcc, v7, v4, vcc
	global_store_short v[3:4], v12, off
	s_branch .LBB43_2
.LBB43_44:
	s_endpgm
	.section	.rodata,"a",@progbits
	.p2align	6, 0x0
	.amdhsa_kernel _ZN2at6native16triu_tril_kernelIN3c104HalfElLb0ELi4ELb0EEEvNS_4cuda6detail10TensorInfoIT_T0_EENS6_IKS7_S8_EEllS8_
		.amdhsa_group_segment_fixed_size 0
		.amdhsa_private_segment_fixed_size 0
		.amdhsa_kernarg_size 1112
		.amdhsa_user_sgpr_count 6
		.amdhsa_user_sgpr_private_segment_buffer 1
		.amdhsa_user_sgpr_dispatch_ptr 0
		.amdhsa_user_sgpr_queue_ptr 0
		.amdhsa_user_sgpr_kernarg_segment_ptr 1
		.amdhsa_user_sgpr_dispatch_id 0
		.amdhsa_user_sgpr_flat_scratch_init 0
		.amdhsa_user_sgpr_private_segment_size 0
		.amdhsa_uses_dynamic_stack 0
		.amdhsa_system_sgpr_private_segment_wavefront_offset 0
		.amdhsa_system_sgpr_workgroup_id_x 1
		.amdhsa_system_sgpr_workgroup_id_y 0
		.amdhsa_system_sgpr_workgroup_id_z 0
		.amdhsa_system_sgpr_workgroup_info 0
		.amdhsa_system_vgpr_workitem_id 0
		.amdhsa_next_free_vgpr 26
		.amdhsa_next_free_sgpr 81
		.amdhsa_reserve_vcc 1
		.amdhsa_reserve_flat_scratch 0
		.amdhsa_float_round_mode_32 0
		.amdhsa_float_round_mode_16_64 0
		.amdhsa_float_denorm_mode_32 3
		.amdhsa_float_denorm_mode_16_64 3
		.amdhsa_dx10_clamp 1
		.amdhsa_ieee_mode 1
		.amdhsa_fp16_overflow 0
		.amdhsa_exception_fp_ieee_invalid_op 0
		.amdhsa_exception_fp_denorm_src 0
		.amdhsa_exception_fp_ieee_div_zero 0
		.amdhsa_exception_fp_ieee_overflow 0
		.amdhsa_exception_fp_ieee_underflow 0
		.amdhsa_exception_fp_ieee_inexact 0
		.amdhsa_exception_int_div_zero 0
	.end_amdhsa_kernel
	.section	.text._ZN2at6native16triu_tril_kernelIN3c104HalfElLb0ELi4ELb0EEEvNS_4cuda6detail10TensorInfoIT_T0_EENS6_IKS7_S8_EEllS8_,"axG",@progbits,_ZN2at6native16triu_tril_kernelIN3c104HalfElLb0ELi4ELb0EEEvNS_4cuda6detail10TensorInfoIT_T0_EENS6_IKS7_S8_EEllS8_,comdat
.Lfunc_end43:
	.size	_ZN2at6native16triu_tril_kernelIN3c104HalfElLb0ELi4ELb0EEEvNS_4cuda6detail10TensorInfoIT_T0_EENS6_IKS7_S8_EEllS8_, .Lfunc_end43-_ZN2at6native16triu_tril_kernelIN3c104HalfElLb0ELi4ELb0EEEvNS_4cuda6detail10TensorInfoIT_T0_EENS6_IKS7_S8_EEllS8_
                                        ; -- End function
	.set _ZN2at6native16triu_tril_kernelIN3c104HalfElLb0ELi4ELb0EEEvNS_4cuda6detail10TensorInfoIT_T0_EENS6_IKS7_S8_EEllS8_.num_vgpr, 26
	.set _ZN2at6native16triu_tril_kernelIN3c104HalfElLb0ELi4ELb0EEEvNS_4cuda6detail10TensorInfoIT_T0_EENS6_IKS7_S8_EEllS8_.num_agpr, 0
	.set _ZN2at6native16triu_tril_kernelIN3c104HalfElLb0ELi4ELb0EEEvNS_4cuda6detail10TensorInfoIT_T0_EENS6_IKS7_S8_EEllS8_.numbered_sgpr, 81
	.set _ZN2at6native16triu_tril_kernelIN3c104HalfElLb0ELi4ELb0EEEvNS_4cuda6detail10TensorInfoIT_T0_EENS6_IKS7_S8_EEllS8_.num_named_barrier, 0
	.set _ZN2at6native16triu_tril_kernelIN3c104HalfElLb0ELi4ELb0EEEvNS_4cuda6detail10TensorInfoIT_T0_EENS6_IKS7_S8_EEllS8_.private_seg_size, 0
	.set _ZN2at6native16triu_tril_kernelIN3c104HalfElLb0ELi4ELb0EEEvNS_4cuda6detail10TensorInfoIT_T0_EENS6_IKS7_S8_EEllS8_.uses_vcc, 1
	.set _ZN2at6native16triu_tril_kernelIN3c104HalfElLb0ELi4ELb0EEEvNS_4cuda6detail10TensorInfoIT_T0_EENS6_IKS7_S8_EEllS8_.uses_flat_scratch, 0
	.set _ZN2at6native16triu_tril_kernelIN3c104HalfElLb0ELi4ELb0EEEvNS_4cuda6detail10TensorInfoIT_T0_EENS6_IKS7_S8_EEllS8_.has_dyn_sized_stack, 0
	.set _ZN2at6native16triu_tril_kernelIN3c104HalfElLb0ELi4ELb0EEEvNS_4cuda6detail10TensorInfoIT_T0_EENS6_IKS7_S8_EEllS8_.has_recursion, 0
	.set _ZN2at6native16triu_tril_kernelIN3c104HalfElLb0ELi4ELb0EEEvNS_4cuda6detail10TensorInfoIT_T0_EENS6_IKS7_S8_EEllS8_.has_indirect_call, 0
	.section	.AMDGPU.csdata,"",@progbits
; Kernel info:
; codeLenInByte = 5272
; TotalNumSgprs: 85
; NumVgprs: 26
; ScratchSize: 0
; MemoryBound: 0
; FloatMode: 240
; IeeeMode: 1
; LDSByteSize: 0 bytes/workgroup (compile time only)
; SGPRBlocks: 10
; VGPRBlocks: 6
; NumSGPRsForWavesPerEU: 85
; NumVGPRsForWavesPerEU: 26
; Occupancy: 9
; WaveLimiterHint : 0
; COMPUTE_PGM_RSRC2:SCRATCH_EN: 0
; COMPUTE_PGM_RSRC2:USER_SGPR: 6
; COMPUTE_PGM_RSRC2:TRAP_HANDLER: 0
; COMPUTE_PGM_RSRC2:TGID_X_EN: 1
; COMPUTE_PGM_RSRC2:TGID_Y_EN: 0
; COMPUTE_PGM_RSRC2:TGID_Z_EN: 0
; COMPUTE_PGM_RSRC2:TIDIG_COMP_CNT: 0
	.section	.text._ZN2at6native16triu_tril_kernelIN3c108BFloat16EiLb0ELi4ELb1EEEvNS_4cuda6detail10TensorInfoIT_T0_EENS6_IKS7_S8_EEllS8_,"axG",@progbits,_ZN2at6native16triu_tril_kernelIN3c108BFloat16EiLb0ELi4ELb1EEEvNS_4cuda6detail10TensorInfoIT_T0_EENS6_IKS7_S8_EEllS8_,comdat
	.protected	_ZN2at6native16triu_tril_kernelIN3c108BFloat16EiLb0ELi4ELb1EEEvNS_4cuda6detail10TensorInfoIT_T0_EENS6_IKS7_S8_EEllS8_ ; -- Begin function _ZN2at6native16triu_tril_kernelIN3c108BFloat16EiLb0ELi4ELb1EEEvNS_4cuda6detail10TensorInfoIT_T0_EENS6_IKS7_S8_EEllS8_
	.globl	_ZN2at6native16triu_tril_kernelIN3c108BFloat16EiLb0ELi4ELb1EEEvNS_4cuda6detail10TensorInfoIT_T0_EENS6_IKS7_S8_EEllS8_
	.p2align	8
	.type	_ZN2at6native16triu_tril_kernelIN3c108BFloat16EiLb0ELi4ELb1EEEvNS_4cuda6detail10TensorInfoIT_T0_EENS6_IKS7_S8_EEllS8_,@function
_ZN2at6native16triu_tril_kernelIN3c108BFloat16EiLb0ELi4ELb1EEEvNS_4cuda6detail10TensorInfoIT_T0_EENS6_IKS7_S8_EEllS8_: ; @_ZN2at6native16triu_tril_kernelIN3c108BFloat16EiLb0ELi4ELb1EEEvNS_4cuda6detail10TensorInfoIT_T0_EENS6_IKS7_S8_EEllS8_
; %bb.0:
	s_load_dword s2, s[4:5], 0x1d4
	s_load_dwordx4 s[8:11], s[4:5], 0x1b0
	s_add_u32 s0, s4, 0x1c8
	v_mov_b32_e32 v2, 0
	s_addc_u32 s1, s5, 0
	s_waitcnt lgkmcnt(0)
	s_and_b32 s7, s2, 0xffff
	v_mov_b32_e32 v1, v2
	v_mov_b32_e32 v3, s6
	v_mad_u64_u32 v[0:1], s[2:3], s7, v3, v[0:1]
	v_lshlrev_b64 v[0:1], 2, v[0:1]
	v_cmp_gt_i64_e32 vcc, s[10:11], v[0:1]
	s_and_saveexec_b64 s[2:3], vcc
	s_cbranch_execz .LBB44_69
; %bb.1:
	s_load_dword s33, s[4:5], 0x1c0
	s_load_dword s16, s[4:5], 0x1a8
	s_add_u32 s42, s4, 0xd8
	s_addc_u32 s43, s5, 0
	s_load_dword s6, s[0:1], 0x0
	s_waitcnt lgkmcnt(0)
	s_ashr_i32 s44, s33, 31
	s_ashr_i32 s17, s16, 31
	s_lshl_b64 s[0:1], s[16:17], 2
	s_add_u32 s2, s42, s0
	s_addc_u32 s3, s43, s1
	s_load_dword s45, s[2:3], 0x0
	s_load_dwordx2 s[12:13], s[4:5], 0x0
	s_mul_i32 s18, s6, s7
	v_cmp_gt_i64_e64 s[6:7], s[16:17], 2
	s_mov_b32 s17, 0
	s_waitcnt lgkmcnt(0)
	s_ashr_i32 s46, s45, 31
	s_add_u32 s14, s4, s0
	s_addc_u32 s15, s5, s1
	s_add_i32 s0, s16, 6
	s_add_i32 s47, s16, -3
	s_lshl_b32 s48, s18, 2
	s_and_b32 s49, s0, 7
	s_and_b32 s0, s16, 7
	s_cmp_lg_u32 s0, 2
	s_cselect_b64 s[18:19], -1, 0
	s_cmp_gt_u32 s47, 6
	s_cselect_b64 s[20:21], -1, 0
	s_mov_b64 s[22:23], 0
	s_ashr_i32 s24, s44, 31
	s_branch .LBB44_3
.LBB44_2:                               ;   in Loop: Header=BB44_3 Depth=1
	s_or_b64 exec, exec, s[26:27]
	v_add_co_u32_e32 v0, vcc, s48, v0
	v_addc_co_u32_e32 v1, vcc, 0, v1, vcc
	v_cmp_le_i64_e32 vcc, s[10:11], v[0:1]
	s_or_b64 s[22:23], vcc, s[22:23]
	s_andn2_b64 exec, exec, s[22:23]
	s_cbranch_execz .LBB44_69
.LBB44_3:                               ; =>This Loop Header: Depth=1
                                        ;     Child Loop BB44_14 Depth 2
                                        ;     Child Loop BB44_23 Depth 2
	v_or_b32_e32 v3, s44, v1
	v_cmp_ne_u64_e32 vcc, 0, v[2:3]
                                        ; implicit-def: $vgpr4_vgpr5
	s_and_saveexec_b64 s[0:1], vcc
	s_xor_b64 s[26:27], exec, s[0:1]
	s_cbranch_execz .LBB44_5
; %bb.4:                                ;   in Loop: Header=BB44_3 Depth=1
	s_add_u32 s0, s33, s24
	s_mov_b32 s25, s24
	s_addc_u32 s1, s44, s24
	s_xor_b64 s[28:29], s[0:1], s[24:25]
	v_cvt_f32_u32_e32 v3, s28
	v_cvt_f32_u32_e32 v4, s29
	s_sub_u32 s16, 0, s28
	s_subb_u32 s25, 0, s29
	v_ashrrev_i32_e32 v7, 31, v1
	v_mac_f32_e32 v3, 0x4f800000, v4
	v_rcp_f32_e32 v3, v3
	v_mul_f32_e32 v3, 0x5f7ffffc, v3
	v_mul_f32_e32 v4, 0x2f800000, v3
	v_trunc_f32_e32 v4, v4
	v_mac_f32_e32 v3, 0xcf800000, v4
	v_cvt_u32_f32_e32 v4, v4
	v_cvt_u32_f32_e32 v3, v3
	v_readfirstlane_b32 s30, v4
	v_readfirstlane_b32 s0, v3
	s_mul_i32 s1, s16, s30
	s_mul_hi_u32 s34, s16, s0
	s_mul_i32 s31, s25, s0
	s_add_i32 s1, s34, s1
	s_add_i32 s1, s1, s31
	s_mul_i32 s35, s16, s0
	s_mul_i32 s34, s0, s1
	s_mul_hi_u32 s36, s0, s35
	s_mul_hi_u32 s31, s0, s1
	s_add_u32 s34, s36, s34
	s_addc_u32 s31, 0, s31
	s_mul_hi_u32 s37, s30, s35
	s_mul_i32 s35, s30, s35
	s_add_u32 s34, s34, s35
	s_mul_hi_u32 s36, s30, s1
	s_addc_u32 s31, s31, s37
	s_addc_u32 s34, s36, 0
	s_mul_i32 s1, s30, s1
	s_add_u32 s1, s31, s1
	s_addc_u32 s31, 0, s34
	s_add_u32 s34, s0, s1
	s_cselect_b64 s[0:1], -1, 0
	s_cmp_lg_u64 s[0:1], 0
	s_addc_u32 s30, s30, s31
	s_mul_i32 s0, s16, s30
	s_mul_hi_u32 s1, s16, s34
	s_add_i32 s0, s1, s0
	s_mul_i32 s25, s25, s34
	s_add_i32 s0, s0, s25
	s_mul_i32 s16, s16, s34
	s_mul_hi_u32 s25, s30, s16
	s_mul_i32 s31, s30, s16
	s_mul_i32 s36, s34, s0
	s_mul_hi_u32 s16, s34, s16
	s_mul_hi_u32 s35, s34, s0
	s_add_u32 s16, s16, s36
	s_addc_u32 s35, 0, s35
	s_add_u32 s16, s16, s31
	s_mul_hi_u32 s1, s30, s0
	s_addc_u32 s16, s35, s25
	s_addc_u32 s1, s1, 0
	s_mul_i32 s0, s30, s0
	s_add_u32 s0, s16, s0
	s_addc_u32 s16, 0, s1
	s_add_u32 s25, s34, s0
	s_cselect_b64 s[0:1], -1, 0
	s_cmp_lg_u64 s[0:1], 0
	v_add_co_u32_e32 v3, vcc, v0, v7
	s_addc_u32 s16, s30, s16
	v_xor_b32_e32 v8, v3, v7
	v_mad_u64_u32 v[3:4], s[0:1], v8, s16, 0
	v_mul_hi_u32 v6, v8, s25
	v_addc_co_u32_e32 v5, vcc, v1, v7, vcc
	v_xor_b32_e32 v9, v5, v7
	v_add_co_u32_e32 v10, vcc, v6, v3
	v_addc_co_u32_e32 v11, vcc, 0, v4, vcc
	v_mad_u64_u32 v[3:4], s[0:1], v9, s25, 0
	v_mad_u64_u32 v[5:6], s[0:1], v9, s16, 0
	v_add_co_u32_e32 v3, vcc, v10, v3
	v_addc_co_u32_e32 v3, vcc, v11, v4, vcc
	v_addc_co_u32_e32 v4, vcc, 0, v6, vcc
	v_add_co_u32_e32 v5, vcc, v3, v5
	v_addc_co_u32_e32 v6, vcc, 0, v4, vcc
	v_mul_lo_u32 v10, s29, v5
	v_mul_lo_u32 v11, s28, v6
	v_mad_u64_u32 v[3:4], s[0:1], s28, v5, 0
	v_add3_u32 v4, v4, v11, v10
	v_sub_u32_e32 v10, v9, v4
	v_mov_b32_e32 v11, s29
	v_sub_co_u32_e32 v3, vcc, v8, v3
	v_subb_co_u32_e64 v8, s[0:1], v10, v11, vcc
	v_subrev_co_u32_e64 v10, s[0:1], s28, v3
	v_subbrev_co_u32_e64 v8, s[0:1], 0, v8, s[0:1]
	v_cmp_le_u32_e64 s[0:1], s29, v8
	v_cndmask_b32_e64 v11, 0, -1, s[0:1]
	v_cmp_le_u32_e64 s[0:1], s28, v10
	v_cndmask_b32_e64 v10, 0, -1, s[0:1]
	v_cmp_eq_u32_e64 s[0:1], s29, v8
	v_cndmask_b32_e64 v8, v11, v10, s[0:1]
	v_add_co_u32_e64 v10, s[0:1], 2, v5
	v_subb_co_u32_e32 v4, vcc, v9, v4, vcc
	v_addc_co_u32_e64 v11, s[0:1], 0, v6, s[0:1]
	v_cmp_le_u32_e32 vcc, s29, v4
	v_add_co_u32_e64 v12, s[0:1], 1, v5
	v_cndmask_b32_e64 v9, 0, -1, vcc
	v_cmp_le_u32_e32 vcc, s28, v3
	v_addc_co_u32_e64 v13, s[0:1], 0, v6, s[0:1]
	v_cndmask_b32_e64 v3, 0, -1, vcc
	v_cmp_eq_u32_e32 vcc, s29, v4
	v_cmp_ne_u32_e64 s[0:1], 0, v8
	v_cndmask_b32_e32 v3, v9, v3, vcc
	v_cmp_ne_u32_e32 vcc, 0, v3
	v_cndmask_b32_e64 v4, v12, v10, s[0:1]
	v_cndmask_b32_e64 v8, v13, v11, s[0:1]
	v_cndmask_b32_e32 v4, v5, v4, vcc
	v_xor_b32_e32 v5, s24, v7
	v_cndmask_b32_e32 v3, v6, v8, vcc
	v_xor_b32_e32 v4, v4, v5
	v_xor_b32_e32 v3, v3, v5
	v_sub_co_u32_e32 v4, vcc, v4, v5
	v_subb_co_u32_e32 v5, vcc, v3, v5, vcc
.LBB44_5:                               ;   in Loop: Header=BB44_3 Depth=1
	s_andn2_saveexec_b64 s[0:1], s[26:27]
	s_cbranch_execz .LBB44_7
; %bb.6:                                ;   in Loop: Header=BB44_3 Depth=1
	v_cvt_f32_u32_e32 v3, s33
	s_sub_i32 s16, 0, s33
	v_rcp_iflag_f32_e32 v3, v3
	v_mul_f32_e32 v3, 0x4f7ffffe, v3
	v_cvt_u32_f32_e32 v3, v3
	v_mul_lo_u32 v4, s16, v3
	v_mul_hi_u32 v4, v3, v4
	v_add_u32_e32 v3, v3, v4
	v_mul_hi_u32 v3, v0, v3
	v_mul_lo_u32 v4, v3, s33
	v_add_u32_e32 v5, 1, v3
	v_sub_u32_e32 v4, v0, v4
	v_subrev_u32_e32 v6, s33, v4
	v_cmp_le_u32_e32 vcc, s33, v4
	v_cndmask_b32_e32 v4, v4, v6, vcc
	v_cndmask_b32_e32 v3, v3, v5, vcc
	v_add_u32_e32 v5, 1, v3
	v_cmp_le_u32_e32 vcc, s33, v4
	v_cndmask_b32_e32 v4, v3, v5, vcc
	v_mov_b32_e32 v5, v2
.LBB44_7:                               ;   in Loop: Header=BB44_3 Depth=1
	s_or_b64 exec, exec, s[0:1]
	v_or_b32_e32 v3, s46, v5
	v_cmp_ne_u64_e32 vcc, 0, v[2:3]
                                        ; implicit-def: $vgpr7_vgpr8
	s_and_saveexec_b64 s[0:1], vcc
	s_xor_b64 s[26:27], exec, s[0:1]
	s_cbranch_execz .LBB44_9
; %bb.8:                                ;   in Loop: Header=BB44_3 Depth=1
	s_ashr_i32 s28, s46, 31
	s_add_u32 s0, s45, s28
	s_mov_b32 s29, s28
	s_addc_u32 s1, s46, s28
	s_xor_b64 s[30:31], s[0:1], s[28:29]
	v_cvt_f32_u32_e32 v3, s30
	v_cvt_f32_u32_e32 v6, s31
	s_sub_u32 s16, 0, s30
	s_subb_u32 s25, 0, s31
	v_mac_f32_e32 v3, 0x4f800000, v6
	v_rcp_f32_e32 v3, v3
	v_mul_f32_e32 v3, 0x5f7ffffc, v3
	v_mul_f32_e32 v6, 0x2f800000, v3
	v_trunc_f32_e32 v6, v6
	v_mac_f32_e32 v3, 0xcf800000, v6
	v_cvt_u32_f32_e32 v6, v6
	v_cvt_u32_f32_e32 v3, v3
	v_readfirstlane_b32 s29, v6
	v_readfirstlane_b32 s0, v3
	s_mul_i32 s1, s16, s29
	s_mul_hi_u32 s35, s16, s0
	s_mul_i32 s34, s25, s0
	s_add_i32 s1, s35, s1
	s_add_i32 s1, s1, s34
	s_mul_i32 s36, s16, s0
	s_mul_i32 s35, s0, s1
	s_mul_hi_u32 s37, s0, s36
	s_mul_hi_u32 s34, s0, s1
	s_add_u32 s35, s37, s35
	s_addc_u32 s34, 0, s34
	s_mul_hi_u32 s38, s29, s36
	s_mul_i32 s36, s29, s36
	s_add_u32 s35, s35, s36
	s_mul_hi_u32 s37, s29, s1
	s_addc_u32 s34, s34, s38
	s_addc_u32 s35, s37, 0
	s_mul_i32 s1, s29, s1
	s_add_u32 s1, s34, s1
	s_addc_u32 s34, 0, s35
	s_add_u32 s35, s0, s1
	s_cselect_b64 s[0:1], -1, 0
	s_cmp_lg_u64 s[0:1], 0
	s_addc_u32 s29, s29, s34
	s_mul_i32 s0, s16, s29
	s_mul_hi_u32 s1, s16, s35
	s_add_i32 s0, s1, s0
	s_mul_i32 s25, s25, s35
	s_add_i32 s0, s0, s25
	s_mul_i32 s16, s16, s35
	s_mul_hi_u32 s25, s29, s16
	s_mul_i32 s34, s29, s16
	s_mul_i32 s37, s35, s0
	s_mul_hi_u32 s16, s35, s16
	s_mul_hi_u32 s36, s35, s0
	s_add_u32 s16, s16, s37
	s_addc_u32 s36, 0, s36
	s_add_u32 s16, s16, s34
	s_mul_hi_u32 s1, s29, s0
	s_addc_u32 s16, s36, s25
	s_addc_u32 s1, s1, 0
	s_mul_i32 s0, s29, s0
	s_add_u32 s0, s16, s0
	s_addc_u32 s16, 0, s1
	s_add_u32 s25, s35, s0
	s_cselect_b64 s[0:1], -1, 0
	v_ashrrev_i32_e32 v3, 31, v5
	s_cmp_lg_u64 s[0:1], 0
	v_add_co_u32_e32 v6, vcc, v4, v3
	s_addc_u32 s16, s29, s16
	v_xor_b32_e32 v9, v6, v3
	v_addc_co_u32_e32 v7, vcc, v5, v3, vcc
	v_mad_u64_u32 v[5:6], s[0:1], v9, s16, 0
	v_mul_hi_u32 v8, v9, s25
	v_xor_b32_e32 v10, v7, v3
	v_xor_b32_e32 v3, s28, v3
	v_add_co_u32_e32 v11, vcc, v8, v5
	v_addc_co_u32_e32 v12, vcc, 0, v6, vcc
	v_mad_u64_u32 v[5:6], s[0:1], v10, s25, 0
	v_mad_u64_u32 v[7:8], s[0:1], v10, s16, 0
	v_add_co_u32_e32 v5, vcc, v11, v5
	v_addc_co_u32_e32 v5, vcc, v12, v6, vcc
	v_addc_co_u32_e32 v6, vcc, 0, v8, vcc
	v_add_co_u32_e32 v7, vcc, v5, v7
	v_addc_co_u32_e32 v8, vcc, 0, v6, vcc
	v_mul_lo_u32 v11, s31, v7
	v_mul_lo_u32 v12, s30, v8
	v_mad_u64_u32 v[5:6], s[0:1], s30, v7, 0
	v_add3_u32 v6, v6, v12, v11
	v_sub_u32_e32 v11, v10, v6
	v_mov_b32_e32 v12, s31
	v_sub_co_u32_e32 v5, vcc, v9, v5
	v_subb_co_u32_e64 v9, s[0:1], v11, v12, vcc
	v_subrev_co_u32_e64 v11, s[0:1], s30, v5
	v_subbrev_co_u32_e64 v9, s[0:1], 0, v9, s[0:1]
	v_cmp_le_u32_e64 s[0:1], s31, v9
	v_cndmask_b32_e64 v12, 0, -1, s[0:1]
	v_cmp_le_u32_e64 s[0:1], s30, v11
	v_cndmask_b32_e64 v11, 0, -1, s[0:1]
	v_cmp_eq_u32_e64 s[0:1], s31, v9
	v_cndmask_b32_e64 v9, v12, v11, s[0:1]
	v_add_co_u32_e64 v11, s[0:1], 2, v7
	v_subb_co_u32_e32 v6, vcc, v10, v6, vcc
	v_addc_co_u32_e64 v12, s[0:1], 0, v8, s[0:1]
	v_cmp_le_u32_e32 vcc, s31, v6
	v_add_co_u32_e64 v13, s[0:1], 1, v7
	v_cndmask_b32_e64 v10, 0, -1, vcc
	v_cmp_le_u32_e32 vcc, s30, v5
	v_addc_co_u32_e64 v14, s[0:1], 0, v8, s[0:1]
	v_cndmask_b32_e64 v5, 0, -1, vcc
	v_cmp_eq_u32_e32 vcc, s31, v6
	v_cmp_ne_u32_e64 s[0:1], 0, v9
	v_cndmask_b32_e32 v5, v10, v5, vcc
	v_cmp_ne_u32_e32 vcc, 0, v5
	v_cndmask_b32_e64 v6, v13, v11, s[0:1]
	v_cndmask_b32_e64 v9, v14, v12, s[0:1]
	v_cndmask_b32_e32 v6, v7, v6, vcc
	v_cndmask_b32_e32 v5, v8, v9, vcc
	v_xor_b32_e32 v6, v6, v3
	v_xor_b32_e32 v5, v5, v3
	v_sub_co_u32_e32 v7, vcc, v6, v3
	v_subb_co_u32_e32 v8, vcc, v5, v3, vcc
.LBB44_9:                               ;   in Loop: Header=BB44_3 Depth=1
	s_andn2_saveexec_b64 s[0:1], s[26:27]
	s_cbranch_execz .LBB44_11
; %bb.10:                               ;   in Loop: Header=BB44_3 Depth=1
	v_cvt_f32_u32_e32 v3, s45
	s_sub_i32 s16, 0, s45
	v_mov_b32_e32 v8, v2
	v_rcp_iflag_f32_e32 v3, v3
	v_mul_f32_e32 v3, 0x4f7ffffe, v3
	v_cvt_u32_f32_e32 v3, v3
	v_mul_lo_u32 v5, s16, v3
	v_mul_hi_u32 v5, v3, v5
	v_add_u32_e32 v3, v3, v5
	v_mul_hi_u32 v3, v4, v3
	v_mul_lo_u32 v5, v3, s45
	v_add_u32_e32 v6, 1, v3
	v_sub_u32_e32 v5, v4, v5
	v_subrev_u32_e32 v7, s45, v5
	v_cmp_le_u32_e32 vcc, s45, v5
	v_cndmask_b32_e32 v5, v5, v7, vcc
	v_cndmask_b32_e32 v3, v3, v6, vcc
	v_add_u32_e32 v6, 1, v3
	v_cmp_le_u32_e32 vcc, s45, v5
	v_cndmask_b32_e32 v7, v3, v6, vcc
.LBB44_11:                              ;   in Loop: Header=BB44_3 Depth=1
	s_or_b64 exec, exec, s[0:1]
	v_mad_u64_u32 v[5:6], s[0:1], v4, s33, 0
	v_mad_u64_u32 v[9:10], s[0:1], v7, s45, 0
	v_sub_co_u32_e32 v26, vcc, v0, v5
	v_sub_co_u32_e32 v25, vcc, v4, v9
	v_sub_u32_e32 v6, v26, v25
	v_add_u32_e32 v3, 4, v6
	v_ashrrev_i32_e32 v4, 31, v3
	v_cmp_lt_i64_e32 vcc, s[8:9], v[3:4]
	s_and_saveexec_b64 s[26:27], vcc
	s_cbranch_execz .LBB44_2
; %bb.12:                               ;   in Loop: Header=BB44_3 Depth=1
	s_load_dwordx2 s[28:29], s[14:15], 0x64
	s_andn2_b64 vcc, exec, s[6:7]
	s_waitcnt lgkmcnt(0)
	v_mul_lo_u32 v3, s29, v26
	v_mad_u64_u32 v[4:5], s[0:1], s28, v25, v[3:4]
	s_cbranch_vccnz .LBB44_57
; %bb.13:                               ;   in Loop: Header=BB44_3 Depth=1
	s_andn2_b64 vcc, exec, s[18:19]
	s_mov_b32 s25, s49
	s_mov_b32 s16, s47
	;; [unrolled: 1-line block ×3, first 2 shown]
	s_cbranch_vccnz .LBB44_21
.LBB44_14:                              ;   Parent Loop BB44_3 Depth=1
                                        ; =>  This Inner Loop Header: Depth=2
	s_lshl_b64 s[30:31], s[16:17], 2
	s_add_u32 s0, s42, s30
	s_addc_u32 s1, s43, s31
	s_load_dword s28, s[0:1], 0x8
                                        ; implicit-def: $vgpr9_vgpr10
	s_waitcnt lgkmcnt(0)
	s_ashr_i32 s0, s28, 31
	v_or_b32_e32 v3, s0, v8
	v_cmp_ne_u64_e32 vcc, 0, v[2:3]
	s_and_saveexec_b64 s[34:35], vcc
	s_xor_b64 s[34:35], exec, s[34:35]
	s_cbranch_execz .LBB44_16
; %bb.15:                               ;   in Loop: Header=BB44_14 Depth=2
	s_ashr_i32 s36, s0, 31
	s_add_u32 s38, s28, s36
	s_mov_b32 s37, s36
	s_addc_u32 s39, s0, s36
	s_xor_b64 s[38:39], s[38:39], s[36:37]
	v_cvt_f32_u32_e32 v3, s38
	v_cvt_f32_u32_e32 v5, s39
	s_sub_u32 s37, 0, s38
	s_subb_u32 s40, 0, s39
	v_mac_f32_e32 v3, 0x4f800000, v5
	v_rcp_f32_e32 v3, v3
	v_mul_f32_e32 v3, 0x5f7ffffc, v3
	v_mul_f32_e32 v5, 0x2f800000, v3
	v_trunc_f32_e32 v5, v5
	v_mac_f32_e32 v3, 0xcf800000, v5
	v_cvt_u32_f32_e32 v5, v5
	v_cvt_u32_f32_e32 v3, v3
	v_readfirstlane_b32 s41, v5
	v_readfirstlane_b32 s0, v3
	s_mul_i32 s1, s37, s41
	s_mul_hi_u32 s51, s37, s0
	s_mul_i32 s50, s40, s0
	s_add_i32 s1, s51, s1
	s_add_i32 s1, s1, s50
	s_mul_i32 s52, s37, s0
	s_mul_i32 s51, s0, s1
	s_mul_hi_u32 s53, s0, s52
	s_mul_hi_u32 s50, s0, s1
	s_add_u32 s51, s53, s51
	s_addc_u32 s50, 0, s50
	s_mul_hi_u32 s54, s41, s52
	s_mul_i32 s52, s41, s52
	s_add_u32 s51, s51, s52
	s_mul_hi_u32 s53, s41, s1
	s_addc_u32 s50, s50, s54
	s_addc_u32 s51, s53, 0
	s_mul_i32 s1, s41, s1
	s_add_u32 s1, s50, s1
	s_addc_u32 s50, 0, s51
	s_add_u32 s51, s0, s1
	s_cselect_b64 s[0:1], -1, 0
	s_cmp_lg_u64 s[0:1], 0
	s_addc_u32 s41, s41, s50
	s_mul_i32 s0, s37, s41
	s_mul_hi_u32 s1, s37, s51
	s_add_i32 s0, s1, s0
	s_mul_i32 s40, s40, s51
	s_add_i32 s0, s0, s40
	s_mul_i32 s37, s37, s51
	s_mul_hi_u32 s40, s41, s37
	s_mul_i32 s50, s41, s37
	s_mul_i32 s53, s51, s0
	s_mul_hi_u32 s37, s51, s37
	s_mul_hi_u32 s52, s51, s0
	s_add_u32 s37, s37, s53
	s_addc_u32 s52, 0, s52
	s_add_u32 s37, s37, s50
	s_mul_hi_u32 s1, s41, s0
	s_addc_u32 s37, s52, s40
	s_addc_u32 s1, s1, 0
	s_mul_i32 s0, s41, s0
	s_add_u32 s0, s37, s0
	s_addc_u32 s37, 0, s1
	s_add_u32 s40, s51, s0
	s_cselect_b64 s[0:1], -1, 0
	v_ashrrev_i32_e32 v3, 31, v8
	s_cmp_lg_u64 s[0:1], 0
	v_add_co_u32_e32 v5, vcc, v7, v3
	s_addc_u32 s37, s41, s37
	v_xor_b32_e32 v5, v5, v3
	v_addc_co_u32_e32 v10, vcc, v8, v3, vcc
	v_mad_u64_u32 v[8:9], s[0:1], v5, s37, 0
	v_mul_hi_u32 v11, v5, s40
	v_xor_b32_e32 v12, v10, v3
	v_xor_b32_e32 v3, s36, v3
	v_add_co_u32_e32 v13, vcc, v11, v8
	v_addc_co_u32_e32 v14, vcc, 0, v9, vcc
	v_mad_u64_u32 v[8:9], s[0:1], v12, s40, 0
	v_mad_u64_u32 v[10:11], s[0:1], v12, s37, 0
	v_add_co_u32_e32 v8, vcc, v13, v8
	v_addc_co_u32_e32 v8, vcc, v14, v9, vcc
	v_addc_co_u32_e32 v9, vcc, 0, v11, vcc
	v_add_co_u32_e32 v10, vcc, v8, v10
	v_addc_co_u32_e32 v11, vcc, 0, v9, vcc
	v_mul_lo_u32 v13, s39, v10
	v_mul_lo_u32 v14, s38, v11
	v_mad_u64_u32 v[8:9], s[0:1], s38, v10, 0
	v_add3_u32 v9, v9, v14, v13
	v_sub_u32_e32 v13, v12, v9
	v_mov_b32_e32 v14, s39
	v_sub_co_u32_e32 v5, vcc, v5, v8
	v_subb_co_u32_e64 v8, s[0:1], v13, v14, vcc
	v_subrev_co_u32_e64 v13, s[0:1], s38, v5
	v_subbrev_co_u32_e64 v8, s[0:1], 0, v8, s[0:1]
	v_cmp_le_u32_e64 s[0:1], s39, v8
	v_cndmask_b32_e64 v14, 0, -1, s[0:1]
	v_cmp_le_u32_e64 s[0:1], s38, v13
	v_cndmask_b32_e64 v13, 0, -1, s[0:1]
	v_cmp_eq_u32_e64 s[0:1], s39, v8
	v_cndmask_b32_e64 v8, v14, v13, s[0:1]
	v_add_co_u32_e64 v13, s[0:1], 2, v10
	v_subb_co_u32_e32 v9, vcc, v12, v9, vcc
	v_addc_co_u32_e64 v14, s[0:1], 0, v11, s[0:1]
	v_cmp_le_u32_e32 vcc, s39, v9
	v_add_co_u32_e64 v15, s[0:1], 1, v10
	v_cndmask_b32_e64 v12, 0, -1, vcc
	v_cmp_le_u32_e32 vcc, s38, v5
	v_addc_co_u32_e64 v16, s[0:1], 0, v11, s[0:1]
	v_cndmask_b32_e64 v5, 0, -1, vcc
	v_cmp_eq_u32_e32 vcc, s39, v9
	v_cmp_ne_u32_e64 s[0:1], 0, v8
	v_cndmask_b32_e32 v5, v12, v5, vcc
	v_cndmask_b32_e64 v8, v16, v14, s[0:1]
	v_cmp_ne_u32_e32 vcc, 0, v5
	v_cndmask_b32_e32 v5, v11, v8, vcc
	v_cndmask_b32_e64 v8, v15, v13, s[0:1]
	v_cndmask_b32_e32 v8, v10, v8, vcc
	v_xor_b32_e32 v8, v8, v3
	v_xor_b32_e32 v5, v5, v3
	v_sub_co_u32_e32 v9, vcc, v8, v3
	v_subb_co_u32_e32 v10, vcc, v5, v3, vcc
.LBB44_16:                              ;   in Loop: Header=BB44_14 Depth=2
	s_andn2_saveexec_b64 s[0:1], s[34:35]
	s_cbranch_execz .LBB44_18
; %bb.17:                               ;   in Loop: Header=BB44_14 Depth=2
	v_cvt_f32_u32_e32 v3, s28
	s_sub_i32 s34, 0, s28
	v_mov_b32_e32 v10, v2
	v_rcp_iflag_f32_e32 v3, v3
	v_mul_f32_e32 v3, 0x4f7ffffe, v3
	v_cvt_u32_f32_e32 v3, v3
	v_mul_lo_u32 v5, s34, v3
	v_mul_hi_u32 v5, v3, v5
	v_add_u32_e32 v3, v3, v5
	v_mul_hi_u32 v3, v7, v3
	v_mul_lo_u32 v5, v3, s28
	v_add_u32_e32 v8, 1, v3
	v_sub_u32_e32 v5, v7, v5
	v_subrev_u32_e32 v9, s28, v5
	v_cmp_le_u32_e32 vcc, s28, v5
	v_cndmask_b32_e32 v5, v5, v9, vcc
	v_cndmask_b32_e32 v3, v3, v8, vcc
	v_add_u32_e32 v8, 1, v3
	v_cmp_le_u32_e32 vcc, s28, v5
	v_cndmask_b32_e32 v9, v3, v8, vcc
.LBB44_18:                              ;   in Loop: Header=BB44_14 Depth=2
	s_or_b64 exec, exec, s[0:1]
	s_add_u32 s0, s4, s30
	s_addc_u32 s1, s5, s31
	v_mul_lo_u32 v3, v9, s28
	s_load_dword s0, s[0:1], 0x6c
	s_add_i32 s16, s16, -1
	s_add_i32 s25, s25, -1
	v_sub_u32_e32 v3, v7, v3
	s_cmp_lg_u32 s25, 0
	s_waitcnt lgkmcnt(0)
	v_mad_u64_u32 v[4:5], s[0:1], s0, v3, v[4:5]
	s_cbranch_scc0 .LBB44_20
; %bb.19:                               ;   in Loop: Header=BB44_14 Depth=2
	v_mov_b32_e32 v7, v9
	v_mov_b32_e32 v8, v10
	s_branch .LBB44_14
.LBB44_20:                              ;   in Loop: Header=BB44_3 Depth=1
	v_mov_b32_e32 v7, v9
	s_mov_b32 s0, s16
	v_mov_b32_e32 v8, v10
.LBB44_21:                              ;   in Loop: Header=BB44_3 Depth=1
	s_andn2_b64 vcc, exec, s[20:21]
	s_cbranch_vccnz .LBB44_57
; %bb.22:                               ;   in Loop: Header=BB44_3 Depth=1
	s_add_i32 s30, s0, -7
.LBB44_23:                              ;   Parent Loop BB44_3 Depth=1
                                        ; =>  This Inner Loop Header: Depth=2
	s_add_i32 s16, s30, 7
	s_lshl_b64 s[34:35], s[16:17], 2
	s_add_u32 s0, s42, s34
	s_addc_u32 s1, s43, s35
	s_load_dword s25, s[0:1], 0x8
                                        ; implicit-def: $vgpr9_vgpr10
	s_waitcnt lgkmcnt(0)
	s_ashr_i32 s0, s25, 31
	v_or_b32_e32 v3, s0, v8
	v_cmp_ne_u64_e32 vcc, 0, v[2:3]
	s_and_saveexec_b64 s[36:37], vcc
	s_xor_b64 s[36:37], exec, s[36:37]
	s_cbranch_execz .LBB44_25
; %bb.24:                               ;   in Loop: Header=BB44_23 Depth=2
	s_ashr_i32 s38, s0, 31
	s_add_u32 s40, s25, s38
	s_mov_b32 s39, s38
	s_addc_u32 s41, s0, s38
	s_xor_b64 s[40:41], s[40:41], s[38:39]
	v_cvt_f32_u32_e32 v3, s40
	v_cvt_f32_u32_e32 v5, s41
	s_sub_u32 s16, 0, s40
	s_subb_u32 s28, 0, s41
	v_mac_f32_e32 v3, 0x4f800000, v5
	v_rcp_f32_e32 v3, v3
	v_mul_f32_e32 v3, 0x5f7ffffc, v3
	v_mul_f32_e32 v5, 0x2f800000, v3
	v_trunc_f32_e32 v5, v5
	v_mac_f32_e32 v3, 0xcf800000, v5
	v_cvt_u32_f32_e32 v5, v5
	v_cvt_u32_f32_e32 v3, v3
	v_readfirstlane_b32 s31, v5
	v_readfirstlane_b32 s0, v3
	s_mul_i32 s1, s16, s31
	s_mul_hi_u32 s50, s16, s0
	s_mul_i32 s39, s28, s0
	s_add_i32 s1, s50, s1
	s_add_i32 s1, s1, s39
	s_mul_i32 s51, s16, s0
	s_mul_i32 s50, s0, s1
	s_mul_hi_u32 s52, s0, s51
	s_mul_hi_u32 s39, s0, s1
	s_add_u32 s50, s52, s50
	s_addc_u32 s39, 0, s39
	s_mul_hi_u32 s53, s31, s51
	s_mul_i32 s51, s31, s51
	s_add_u32 s50, s50, s51
	s_mul_hi_u32 s52, s31, s1
	s_addc_u32 s39, s39, s53
	s_addc_u32 s50, s52, 0
	s_mul_i32 s1, s31, s1
	s_add_u32 s1, s39, s1
	s_addc_u32 s39, 0, s50
	s_add_u32 s50, s0, s1
	s_cselect_b64 s[0:1], -1, 0
	s_cmp_lg_u64 s[0:1], 0
	s_addc_u32 s31, s31, s39
	s_mul_i32 s0, s16, s31
	s_mul_hi_u32 s1, s16, s50
	s_add_i32 s0, s1, s0
	s_mul_i32 s28, s28, s50
	s_add_i32 s0, s0, s28
	s_mul_i32 s16, s16, s50
	s_mul_hi_u32 s28, s31, s16
	s_mul_i32 s39, s31, s16
	s_mul_i32 s52, s50, s0
	s_mul_hi_u32 s16, s50, s16
	s_mul_hi_u32 s51, s50, s0
	s_add_u32 s16, s16, s52
	s_addc_u32 s51, 0, s51
	s_add_u32 s16, s16, s39
	s_mul_hi_u32 s1, s31, s0
	s_addc_u32 s16, s51, s28
	s_addc_u32 s1, s1, 0
	s_mul_i32 s0, s31, s0
	s_add_u32 s0, s16, s0
	s_addc_u32 s16, 0, s1
	s_add_u32 s28, s50, s0
	s_cselect_b64 s[0:1], -1, 0
	v_ashrrev_i32_e32 v3, 31, v8
	s_cmp_lg_u64 s[0:1], 0
	v_add_co_u32_e32 v5, vcc, v7, v3
	s_addc_u32 s16, s31, s16
	v_xor_b32_e32 v5, v5, v3
	v_addc_co_u32_e32 v10, vcc, v8, v3, vcc
	v_mad_u64_u32 v[8:9], s[0:1], v5, s16, 0
	v_mul_hi_u32 v11, v5, s28
	v_xor_b32_e32 v12, v10, v3
	v_xor_b32_e32 v3, s38, v3
	v_add_co_u32_e32 v13, vcc, v11, v8
	v_addc_co_u32_e32 v14, vcc, 0, v9, vcc
	v_mad_u64_u32 v[8:9], s[0:1], v12, s28, 0
	v_mad_u64_u32 v[10:11], s[0:1], v12, s16, 0
	v_add_co_u32_e32 v8, vcc, v13, v8
	v_addc_co_u32_e32 v8, vcc, v14, v9, vcc
	v_addc_co_u32_e32 v9, vcc, 0, v11, vcc
	v_add_co_u32_e32 v10, vcc, v8, v10
	v_addc_co_u32_e32 v11, vcc, 0, v9, vcc
	v_mul_lo_u32 v13, s41, v10
	v_mul_lo_u32 v14, s40, v11
	v_mad_u64_u32 v[8:9], s[0:1], s40, v10, 0
	v_add3_u32 v9, v9, v14, v13
	v_sub_u32_e32 v13, v12, v9
	v_mov_b32_e32 v14, s41
	v_sub_co_u32_e32 v5, vcc, v5, v8
	v_subb_co_u32_e64 v8, s[0:1], v13, v14, vcc
	v_subrev_co_u32_e64 v13, s[0:1], s40, v5
	v_subbrev_co_u32_e64 v8, s[0:1], 0, v8, s[0:1]
	v_cmp_le_u32_e64 s[0:1], s41, v8
	v_cndmask_b32_e64 v14, 0, -1, s[0:1]
	v_cmp_le_u32_e64 s[0:1], s40, v13
	v_cndmask_b32_e64 v13, 0, -1, s[0:1]
	v_cmp_eq_u32_e64 s[0:1], s41, v8
	v_cndmask_b32_e64 v8, v14, v13, s[0:1]
	v_add_co_u32_e64 v13, s[0:1], 2, v10
	v_subb_co_u32_e32 v9, vcc, v12, v9, vcc
	v_addc_co_u32_e64 v14, s[0:1], 0, v11, s[0:1]
	v_cmp_le_u32_e32 vcc, s41, v9
	v_add_co_u32_e64 v15, s[0:1], 1, v10
	v_cndmask_b32_e64 v12, 0, -1, vcc
	v_cmp_le_u32_e32 vcc, s40, v5
	v_addc_co_u32_e64 v16, s[0:1], 0, v11, s[0:1]
	v_cndmask_b32_e64 v5, 0, -1, vcc
	v_cmp_eq_u32_e32 vcc, s41, v9
	v_cmp_ne_u32_e64 s[0:1], 0, v8
	v_cndmask_b32_e32 v5, v12, v5, vcc
	v_cndmask_b32_e64 v8, v16, v14, s[0:1]
	v_cmp_ne_u32_e32 vcc, 0, v5
	v_cndmask_b32_e32 v5, v11, v8, vcc
	v_cndmask_b32_e64 v8, v15, v13, s[0:1]
	v_cndmask_b32_e32 v8, v10, v8, vcc
	v_xor_b32_e32 v8, v8, v3
	v_xor_b32_e32 v5, v5, v3
	v_sub_co_u32_e32 v9, vcc, v8, v3
	v_subb_co_u32_e32 v10, vcc, v5, v3, vcc
.LBB44_25:                              ;   in Loop: Header=BB44_23 Depth=2
	s_andn2_saveexec_b64 s[0:1], s[36:37]
	s_cbranch_execz .LBB44_27
; %bb.26:                               ;   in Loop: Header=BB44_23 Depth=2
	v_cvt_f32_u32_e32 v3, s25
	s_sub_i32 s16, 0, s25
	v_mov_b32_e32 v10, v2
	v_rcp_iflag_f32_e32 v3, v3
	v_mul_f32_e32 v3, 0x4f7ffffe, v3
	v_cvt_u32_f32_e32 v3, v3
	v_mul_lo_u32 v5, s16, v3
	v_mul_hi_u32 v5, v3, v5
	v_add_u32_e32 v3, v3, v5
	v_mul_hi_u32 v3, v7, v3
	v_mul_lo_u32 v5, v3, s25
	v_add_u32_e32 v8, 1, v3
	v_sub_u32_e32 v5, v7, v5
	v_subrev_u32_e32 v9, s25, v5
	v_cmp_le_u32_e32 vcc, s25, v5
	v_cndmask_b32_e32 v5, v5, v9, vcc
	v_cndmask_b32_e32 v3, v3, v8, vcc
	v_add_u32_e32 v8, 1, v3
	v_cmp_le_u32_e32 vcc, s25, v5
	v_cndmask_b32_e32 v9, v3, v8, vcc
.LBB44_27:                              ;   in Loop: Header=BB44_23 Depth=2
	s_or_b64 exec, exec, s[0:1]
	s_add_u32 s0, s4, s34
	s_addc_u32 s1, s5, s35
	s_add_i32 s16, s30, 6
	s_lshl_b64 s[34:35], s[16:17], 2
	s_add_u32 s36, s42, s34
	s_addc_u32 s37, s43, s35
	s_load_dword s50, s[36:37], 0x8
	s_load_dword s28, s[0:1], 0x6c
                                        ; implicit-def: $vgpr11_vgpr12
	s_waitcnt lgkmcnt(0)
	s_ashr_i32 s0, s50, 31
	v_or_b32_e32 v3, s0, v10
	v_cmp_ne_u64_e32 vcc, 0, v[2:3]
	s_and_saveexec_b64 s[36:37], vcc
	s_xor_b64 s[36:37], exec, s[36:37]
	s_cbranch_execz .LBB44_29
; %bb.28:                               ;   in Loop: Header=BB44_23 Depth=2
	s_ashr_i32 s38, s0, 31
	s_add_u32 s40, s50, s38
	s_mov_b32 s39, s38
	s_addc_u32 s41, s0, s38
	s_xor_b64 s[40:41], s[40:41], s[38:39]
	v_cvt_f32_u32_e32 v3, s40
	v_cvt_f32_u32_e32 v5, s41
	s_sub_u32 s16, 0, s40
	s_subb_u32 s31, 0, s41
	v_mac_f32_e32 v3, 0x4f800000, v5
	v_rcp_f32_e32 v3, v3
	v_mul_f32_e32 v3, 0x5f7ffffc, v3
	v_mul_f32_e32 v5, 0x2f800000, v3
	v_trunc_f32_e32 v5, v5
	v_mac_f32_e32 v3, 0xcf800000, v5
	v_cvt_u32_f32_e32 v5, v5
	v_cvt_u32_f32_e32 v3, v3
	v_readfirstlane_b32 s39, v5
	v_readfirstlane_b32 s0, v3
	s_mul_i32 s1, s16, s39
	s_mul_hi_u32 s52, s16, s0
	s_mul_i32 s51, s31, s0
	s_add_i32 s1, s52, s1
	s_add_i32 s1, s1, s51
	s_mul_i32 s53, s16, s0
	s_mul_i32 s52, s0, s1
	s_mul_hi_u32 s54, s0, s53
	s_mul_hi_u32 s51, s0, s1
	s_add_u32 s52, s54, s52
	s_addc_u32 s51, 0, s51
	s_mul_hi_u32 s55, s39, s53
	s_mul_i32 s53, s39, s53
	s_add_u32 s52, s52, s53
	s_mul_hi_u32 s54, s39, s1
	s_addc_u32 s51, s51, s55
	s_addc_u32 s52, s54, 0
	s_mul_i32 s1, s39, s1
	s_add_u32 s1, s51, s1
	s_addc_u32 s51, 0, s52
	s_add_u32 s52, s0, s1
	s_cselect_b64 s[0:1], -1, 0
	s_cmp_lg_u64 s[0:1], 0
	s_addc_u32 s39, s39, s51
	s_mul_i32 s0, s16, s39
	s_mul_hi_u32 s1, s16, s52
	s_add_i32 s0, s1, s0
	s_mul_i32 s31, s31, s52
	s_add_i32 s0, s0, s31
	s_mul_i32 s16, s16, s52
	s_mul_hi_u32 s31, s39, s16
	s_mul_i32 s51, s39, s16
	s_mul_i32 s54, s52, s0
	s_mul_hi_u32 s16, s52, s16
	s_mul_hi_u32 s53, s52, s0
	s_add_u32 s16, s16, s54
	s_addc_u32 s53, 0, s53
	s_add_u32 s16, s16, s51
	s_mul_hi_u32 s1, s39, s0
	s_addc_u32 s16, s53, s31
	s_addc_u32 s1, s1, 0
	s_mul_i32 s0, s39, s0
	s_add_u32 s0, s16, s0
	s_addc_u32 s16, 0, s1
	s_add_u32 s31, s52, s0
	s_cselect_b64 s[0:1], -1, 0
	v_ashrrev_i32_e32 v3, 31, v10
	s_cmp_lg_u64 s[0:1], 0
	v_add_co_u32_e32 v5, vcc, v9, v3
	s_addc_u32 s16, s39, s16
	v_xor_b32_e32 v5, v5, v3
	v_addc_co_u32_e32 v8, vcc, v10, v3, vcc
	v_mad_u64_u32 v[10:11], s[0:1], v5, s16, 0
	v_mul_hi_u32 v12, v5, s31
	v_xor_b32_e32 v8, v8, v3
	v_xor_b32_e32 v3, s38, v3
	v_add_co_u32_e32 v14, vcc, v12, v10
	v_addc_co_u32_e32 v15, vcc, 0, v11, vcc
	v_mad_u64_u32 v[10:11], s[0:1], v8, s31, 0
	v_mad_u64_u32 v[12:13], s[0:1], v8, s16, 0
	v_add_co_u32_e32 v10, vcc, v14, v10
	v_addc_co_u32_e32 v10, vcc, v15, v11, vcc
	v_addc_co_u32_e32 v11, vcc, 0, v13, vcc
	v_add_co_u32_e32 v12, vcc, v10, v12
	v_addc_co_u32_e32 v13, vcc, 0, v11, vcc
	v_mul_lo_u32 v14, s41, v12
	v_mul_lo_u32 v15, s40, v13
	v_mad_u64_u32 v[10:11], s[0:1], s40, v12, 0
	v_add3_u32 v11, v11, v15, v14
	v_sub_u32_e32 v14, v8, v11
	v_mov_b32_e32 v15, s41
	v_sub_co_u32_e32 v5, vcc, v5, v10
	v_subb_co_u32_e64 v10, s[0:1], v14, v15, vcc
	v_subrev_co_u32_e64 v14, s[0:1], s40, v5
	v_subbrev_co_u32_e64 v10, s[0:1], 0, v10, s[0:1]
	v_cmp_le_u32_e64 s[0:1], s41, v10
	v_cndmask_b32_e64 v15, 0, -1, s[0:1]
	v_cmp_le_u32_e64 s[0:1], s40, v14
	v_cndmask_b32_e64 v14, 0, -1, s[0:1]
	v_cmp_eq_u32_e64 s[0:1], s41, v10
	v_cndmask_b32_e64 v10, v15, v14, s[0:1]
	v_add_co_u32_e64 v14, s[0:1], 2, v12
	v_subb_co_u32_e32 v8, vcc, v8, v11, vcc
	v_addc_co_u32_e64 v15, s[0:1], 0, v13, s[0:1]
	v_cmp_le_u32_e32 vcc, s41, v8
	v_add_co_u32_e64 v16, s[0:1], 1, v12
	v_cndmask_b32_e64 v11, 0, -1, vcc
	v_cmp_le_u32_e32 vcc, s40, v5
	v_addc_co_u32_e64 v17, s[0:1], 0, v13, s[0:1]
	v_cndmask_b32_e64 v5, 0, -1, vcc
	v_cmp_eq_u32_e32 vcc, s41, v8
	v_cmp_ne_u32_e64 s[0:1], 0, v10
	v_cndmask_b32_e32 v5, v11, v5, vcc
	v_cmp_ne_u32_e32 vcc, 0, v5
	v_cndmask_b32_e64 v8, v16, v14, s[0:1]
	v_cndmask_b32_e64 v10, v17, v15, s[0:1]
	v_cndmask_b32_e32 v8, v12, v8, vcc
	v_cndmask_b32_e32 v5, v13, v10, vcc
	v_xor_b32_e32 v8, v8, v3
	v_xor_b32_e32 v5, v5, v3
	v_sub_co_u32_e32 v11, vcc, v8, v3
	v_subb_co_u32_e32 v12, vcc, v5, v3, vcc
.LBB44_29:                              ;   in Loop: Header=BB44_23 Depth=2
	s_andn2_saveexec_b64 s[0:1], s[36:37]
	s_cbranch_execz .LBB44_31
; %bb.30:                               ;   in Loop: Header=BB44_23 Depth=2
	v_cvt_f32_u32_e32 v3, s50
	s_sub_i32 s16, 0, s50
	v_mov_b32_e32 v12, v2
	v_rcp_iflag_f32_e32 v3, v3
	v_mul_f32_e32 v3, 0x4f7ffffe, v3
	v_cvt_u32_f32_e32 v3, v3
	v_mul_lo_u32 v5, s16, v3
	v_mul_hi_u32 v5, v3, v5
	v_add_u32_e32 v3, v3, v5
	v_mul_hi_u32 v3, v9, v3
	v_mul_lo_u32 v5, v3, s50
	v_add_u32_e32 v8, 1, v3
	v_sub_u32_e32 v5, v9, v5
	v_subrev_u32_e32 v10, s50, v5
	v_cmp_le_u32_e32 vcc, s50, v5
	v_cndmask_b32_e32 v5, v5, v10, vcc
	v_cndmask_b32_e32 v3, v3, v8, vcc
	v_add_u32_e32 v8, 1, v3
	v_cmp_le_u32_e32 vcc, s50, v5
	v_cndmask_b32_e32 v11, v3, v8, vcc
.LBB44_31:                              ;   in Loop: Header=BB44_23 Depth=2
	s_or_b64 exec, exec, s[0:1]
	s_add_u32 s0, s4, s34
	s_addc_u32 s1, s5, s35
	s_add_i32 s16, s30, 5
	s_lshl_b64 s[34:35], s[16:17], 2
	s_add_u32 s36, s42, s34
	s_addc_u32 s37, s43, s35
	s_load_dword s52, s[36:37], 0x8
	s_load_dword s51, s[0:1], 0x6c
                                        ; implicit-def: $vgpr13_vgpr14
	s_waitcnt lgkmcnt(0)
	s_ashr_i32 s0, s52, 31
	v_or_b32_e32 v3, s0, v12
	v_cmp_ne_u64_e32 vcc, 0, v[2:3]
	s_and_saveexec_b64 s[36:37], vcc
	s_xor_b64 s[36:37], exec, s[36:37]
	s_cbranch_execz .LBB44_33
; %bb.32:                               ;   in Loop: Header=BB44_23 Depth=2
	s_ashr_i32 s38, s0, 31
	s_add_u32 s40, s52, s38
	s_mov_b32 s39, s38
	s_addc_u32 s41, s0, s38
	s_xor_b64 s[40:41], s[40:41], s[38:39]
	v_cvt_f32_u32_e32 v3, s40
	v_cvt_f32_u32_e32 v5, s41
	s_sub_u32 s16, 0, s40
	s_subb_u32 s31, 0, s41
	v_mac_f32_e32 v3, 0x4f800000, v5
	v_rcp_f32_e32 v3, v3
	v_mul_f32_e32 v3, 0x5f7ffffc, v3
	v_mul_f32_e32 v5, 0x2f800000, v3
	v_trunc_f32_e32 v5, v5
	v_mac_f32_e32 v3, 0xcf800000, v5
	v_cvt_u32_f32_e32 v5, v5
	v_cvt_u32_f32_e32 v3, v3
	v_readfirstlane_b32 s39, v5
	v_readfirstlane_b32 s0, v3
	s_mul_i32 s1, s16, s39
	s_mul_hi_u32 s54, s16, s0
	s_mul_i32 s53, s31, s0
	s_add_i32 s1, s54, s1
	s_add_i32 s1, s1, s53
	s_mul_i32 s55, s16, s0
	s_mul_i32 s54, s0, s1
	s_mul_hi_u32 s56, s0, s55
	s_mul_hi_u32 s53, s0, s1
	s_add_u32 s54, s56, s54
	s_addc_u32 s53, 0, s53
	s_mul_hi_u32 s57, s39, s55
	s_mul_i32 s55, s39, s55
	s_add_u32 s54, s54, s55
	s_mul_hi_u32 s56, s39, s1
	s_addc_u32 s53, s53, s57
	s_addc_u32 s54, s56, 0
	s_mul_i32 s1, s39, s1
	s_add_u32 s1, s53, s1
	s_addc_u32 s53, 0, s54
	s_add_u32 s54, s0, s1
	s_cselect_b64 s[0:1], -1, 0
	s_cmp_lg_u64 s[0:1], 0
	s_addc_u32 s39, s39, s53
	s_mul_i32 s0, s16, s39
	s_mul_hi_u32 s1, s16, s54
	s_add_i32 s0, s1, s0
	s_mul_i32 s31, s31, s54
	s_add_i32 s0, s0, s31
	s_mul_i32 s16, s16, s54
	s_mul_hi_u32 s31, s39, s16
	s_mul_i32 s53, s39, s16
	s_mul_i32 s56, s54, s0
	s_mul_hi_u32 s16, s54, s16
	s_mul_hi_u32 s55, s54, s0
	s_add_u32 s16, s16, s56
	s_addc_u32 s55, 0, s55
	s_add_u32 s16, s16, s53
	s_mul_hi_u32 s1, s39, s0
	s_addc_u32 s16, s55, s31
	s_addc_u32 s1, s1, 0
	s_mul_i32 s0, s39, s0
	s_add_u32 s0, s16, s0
	s_addc_u32 s16, 0, s1
	s_add_u32 s31, s54, s0
	s_cselect_b64 s[0:1], -1, 0
	v_ashrrev_i32_e32 v3, 31, v12
	s_cmp_lg_u64 s[0:1], 0
	v_add_co_u32_e32 v5, vcc, v11, v3
	s_addc_u32 s16, s39, s16
	v_xor_b32_e32 v5, v5, v3
	v_addc_co_u32_e32 v8, vcc, v12, v3, vcc
	v_mad_u64_u32 v[12:13], s[0:1], v5, s16, 0
	v_mul_hi_u32 v10, v5, s31
	v_xor_b32_e32 v8, v8, v3
	v_mad_u64_u32 v[14:15], s[0:1], v8, s16, 0
	v_add_co_u32_e32 v10, vcc, v10, v12
	v_addc_co_u32_e32 v16, vcc, 0, v13, vcc
	v_mad_u64_u32 v[12:13], s[0:1], v8, s31, 0
	v_xor_b32_e32 v3, s38, v3
	v_add_co_u32_e32 v10, vcc, v10, v12
	v_addc_co_u32_e32 v10, vcc, v16, v13, vcc
	v_addc_co_u32_e32 v12, vcc, 0, v15, vcc
	v_add_co_u32_e32 v10, vcc, v10, v14
	v_addc_co_u32_e32 v14, vcc, 0, v12, vcc
	v_mul_lo_u32 v15, s41, v10
	v_mul_lo_u32 v16, s40, v14
	v_mad_u64_u32 v[12:13], s[0:1], s40, v10, 0
	v_add3_u32 v13, v13, v16, v15
	v_sub_u32_e32 v15, v8, v13
	v_mov_b32_e32 v16, s41
	v_sub_co_u32_e32 v5, vcc, v5, v12
	v_subb_co_u32_e64 v12, s[0:1], v15, v16, vcc
	v_subrev_co_u32_e64 v15, s[0:1], s40, v5
	v_subbrev_co_u32_e64 v12, s[0:1], 0, v12, s[0:1]
	v_cmp_le_u32_e64 s[0:1], s41, v12
	v_cndmask_b32_e64 v16, 0, -1, s[0:1]
	v_cmp_le_u32_e64 s[0:1], s40, v15
	v_cndmask_b32_e64 v15, 0, -1, s[0:1]
	v_cmp_eq_u32_e64 s[0:1], s41, v12
	v_cndmask_b32_e64 v12, v16, v15, s[0:1]
	v_add_co_u32_e64 v15, s[0:1], 2, v10
	v_subb_co_u32_e32 v8, vcc, v8, v13, vcc
	v_addc_co_u32_e64 v16, s[0:1], 0, v14, s[0:1]
	v_cmp_le_u32_e32 vcc, s41, v8
	v_add_co_u32_e64 v17, s[0:1], 1, v10
	v_cndmask_b32_e64 v13, 0, -1, vcc
	v_cmp_le_u32_e32 vcc, s40, v5
	v_addc_co_u32_e64 v18, s[0:1], 0, v14, s[0:1]
	v_cndmask_b32_e64 v5, 0, -1, vcc
	v_cmp_eq_u32_e32 vcc, s41, v8
	v_cmp_ne_u32_e64 s[0:1], 0, v12
	v_cndmask_b32_e32 v5, v13, v5, vcc
	v_cmp_ne_u32_e32 vcc, 0, v5
	v_cndmask_b32_e64 v8, v17, v15, s[0:1]
	v_cndmask_b32_e64 v12, v18, v16, s[0:1]
	v_cndmask_b32_e32 v8, v10, v8, vcc
	v_cndmask_b32_e32 v5, v14, v12, vcc
	v_xor_b32_e32 v8, v8, v3
	v_xor_b32_e32 v5, v5, v3
	v_sub_co_u32_e32 v13, vcc, v8, v3
	v_subb_co_u32_e32 v14, vcc, v5, v3, vcc
.LBB44_33:                              ;   in Loop: Header=BB44_23 Depth=2
	s_andn2_saveexec_b64 s[0:1], s[36:37]
	s_cbranch_execz .LBB44_35
; %bb.34:                               ;   in Loop: Header=BB44_23 Depth=2
	v_cvt_f32_u32_e32 v3, s52
	s_sub_i32 s16, 0, s52
	v_mov_b32_e32 v14, v2
	v_rcp_iflag_f32_e32 v3, v3
	v_mul_f32_e32 v3, 0x4f7ffffe, v3
	v_cvt_u32_f32_e32 v3, v3
	v_mul_lo_u32 v5, s16, v3
	v_mul_hi_u32 v5, v3, v5
	v_add_u32_e32 v3, v3, v5
	v_mul_hi_u32 v3, v11, v3
	v_mul_lo_u32 v5, v3, s52
	v_add_u32_e32 v8, 1, v3
	v_sub_u32_e32 v5, v11, v5
	v_subrev_u32_e32 v10, s52, v5
	v_cmp_le_u32_e32 vcc, s52, v5
	v_cndmask_b32_e32 v5, v5, v10, vcc
	v_cndmask_b32_e32 v3, v3, v8, vcc
	v_add_u32_e32 v8, 1, v3
	v_cmp_le_u32_e32 vcc, s52, v5
	v_cndmask_b32_e32 v13, v3, v8, vcc
.LBB44_35:                              ;   in Loop: Header=BB44_23 Depth=2
	s_or_b64 exec, exec, s[0:1]
	s_add_u32 s0, s4, s34
	s_addc_u32 s1, s5, s35
	s_add_i32 s16, s30, 4
	s_lshl_b64 s[34:35], s[16:17], 2
	s_add_u32 s36, s42, s34
	s_addc_u32 s37, s43, s35
	s_load_dword s54, s[36:37], 0x8
	s_load_dword s53, s[0:1], 0x6c
                                        ; implicit-def: $vgpr15_vgpr16
	s_waitcnt lgkmcnt(0)
	s_ashr_i32 s0, s54, 31
	v_or_b32_e32 v3, s0, v14
	v_cmp_ne_u64_e32 vcc, 0, v[2:3]
	s_and_saveexec_b64 s[36:37], vcc
	s_xor_b64 s[36:37], exec, s[36:37]
	s_cbranch_execz .LBB44_37
; %bb.36:                               ;   in Loop: Header=BB44_23 Depth=2
	s_ashr_i32 s38, s0, 31
	s_add_u32 s40, s54, s38
	s_mov_b32 s39, s38
	s_addc_u32 s41, s0, s38
	s_xor_b64 s[40:41], s[40:41], s[38:39]
	v_cvt_f32_u32_e32 v3, s40
	v_cvt_f32_u32_e32 v5, s41
	s_sub_u32 s16, 0, s40
	s_subb_u32 s31, 0, s41
	v_mac_f32_e32 v3, 0x4f800000, v5
	v_rcp_f32_e32 v3, v3
	v_mul_f32_e32 v3, 0x5f7ffffc, v3
	v_mul_f32_e32 v5, 0x2f800000, v3
	v_trunc_f32_e32 v5, v5
	v_mac_f32_e32 v3, 0xcf800000, v5
	v_cvt_u32_f32_e32 v5, v5
	v_cvt_u32_f32_e32 v3, v3
	v_readfirstlane_b32 s39, v5
	v_readfirstlane_b32 s0, v3
	s_mul_i32 s1, s16, s39
	s_mul_hi_u32 s56, s16, s0
	s_mul_i32 s55, s31, s0
	s_add_i32 s1, s56, s1
	s_add_i32 s1, s1, s55
	s_mul_i32 s57, s16, s0
	s_mul_i32 s56, s0, s1
	s_mul_hi_u32 s58, s0, s57
	s_mul_hi_u32 s55, s0, s1
	s_add_u32 s56, s58, s56
	s_addc_u32 s55, 0, s55
	s_mul_hi_u32 s59, s39, s57
	s_mul_i32 s57, s39, s57
	s_add_u32 s56, s56, s57
	s_mul_hi_u32 s58, s39, s1
	s_addc_u32 s55, s55, s59
	s_addc_u32 s56, s58, 0
	s_mul_i32 s1, s39, s1
	s_add_u32 s1, s55, s1
	s_addc_u32 s55, 0, s56
	s_add_u32 s56, s0, s1
	s_cselect_b64 s[0:1], -1, 0
	s_cmp_lg_u64 s[0:1], 0
	s_addc_u32 s39, s39, s55
	s_mul_i32 s0, s16, s39
	s_mul_hi_u32 s1, s16, s56
	s_add_i32 s0, s1, s0
	s_mul_i32 s31, s31, s56
	s_add_i32 s0, s0, s31
	s_mul_i32 s16, s16, s56
	s_mul_hi_u32 s31, s39, s16
	s_mul_i32 s55, s39, s16
	s_mul_i32 s58, s56, s0
	s_mul_hi_u32 s16, s56, s16
	s_mul_hi_u32 s57, s56, s0
	s_add_u32 s16, s16, s58
	s_addc_u32 s57, 0, s57
	s_add_u32 s16, s16, s55
	s_mul_hi_u32 s1, s39, s0
	s_addc_u32 s16, s57, s31
	s_addc_u32 s1, s1, 0
	s_mul_i32 s0, s39, s0
	s_add_u32 s0, s16, s0
	s_addc_u32 s16, 0, s1
	s_add_u32 s31, s56, s0
	s_cselect_b64 s[0:1], -1, 0
	v_ashrrev_i32_e32 v3, 31, v14
	s_cmp_lg_u64 s[0:1], 0
	v_add_co_u32_e32 v5, vcc, v13, v3
	s_addc_u32 s16, s39, s16
	v_xor_b32_e32 v5, v5, v3
	v_addc_co_u32_e32 v8, vcc, v14, v3, vcc
	v_mad_u64_u32 v[14:15], s[0:1], v5, s16, 0
	v_mul_hi_u32 v10, v5, s31
	v_xor_b32_e32 v8, v8, v3
	v_mad_u64_u32 v[16:17], s[0:1], v8, s16, 0
	v_add_co_u32_e32 v10, vcc, v10, v14
	v_addc_co_u32_e32 v12, vcc, 0, v15, vcc
	v_mad_u64_u32 v[14:15], s[0:1], v8, s31, 0
	v_xor_b32_e32 v3, s38, v3
	v_add_co_u32_e32 v10, vcc, v10, v14
	v_addc_co_u32_e32 v10, vcc, v12, v15, vcc
	v_addc_co_u32_e32 v12, vcc, 0, v17, vcc
	v_add_co_u32_e32 v10, vcc, v10, v16
	v_addc_co_u32_e32 v12, vcc, 0, v12, vcc
	v_mul_lo_u32 v16, s41, v10
	v_mul_lo_u32 v17, s40, v12
	v_mad_u64_u32 v[14:15], s[0:1], s40, v10, 0
	v_add3_u32 v15, v15, v17, v16
	v_sub_u32_e32 v16, v8, v15
	v_mov_b32_e32 v17, s41
	v_sub_co_u32_e32 v5, vcc, v5, v14
	v_subb_co_u32_e64 v14, s[0:1], v16, v17, vcc
	v_subrev_co_u32_e64 v16, s[0:1], s40, v5
	v_subbrev_co_u32_e64 v14, s[0:1], 0, v14, s[0:1]
	v_cmp_le_u32_e64 s[0:1], s41, v14
	v_cndmask_b32_e64 v17, 0, -1, s[0:1]
	v_cmp_le_u32_e64 s[0:1], s40, v16
	v_cndmask_b32_e64 v16, 0, -1, s[0:1]
	v_cmp_eq_u32_e64 s[0:1], s41, v14
	v_cndmask_b32_e64 v14, v17, v16, s[0:1]
	v_add_co_u32_e64 v16, s[0:1], 2, v10
	v_subb_co_u32_e32 v8, vcc, v8, v15, vcc
	v_addc_co_u32_e64 v17, s[0:1], 0, v12, s[0:1]
	v_cmp_le_u32_e32 vcc, s41, v8
	v_add_co_u32_e64 v18, s[0:1], 1, v10
	v_cndmask_b32_e64 v15, 0, -1, vcc
	v_cmp_le_u32_e32 vcc, s40, v5
	v_addc_co_u32_e64 v19, s[0:1], 0, v12, s[0:1]
	v_cndmask_b32_e64 v5, 0, -1, vcc
	v_cmp_eq_u32_e32 vcc, s41, v8
	v_cmp_ne_u32_e64 s[0:1], 0, v14
	v_cndmask_b32_e32 v5, v15, v5, vcc
	v_cmp_ne_u32_e32 vcc, 0, v5
	v_cndmask_b32_e64 v8, v18, v16, s[0:1]
	v_cndmask_b32_e64 v14, v19, v17, s[0:1]
	v_cndmask_b32_e32 v8, v10, v8, vcc
	v_cndmask_b32_e32 v5, v12, v14, vcc
	v_xor_b32_e32 v8, v8, v3
	v_xor_b32_e32 v5, v5, v3
	v_sub_co_u32_e32 v15, vcc, v8, v3
	v_subb_co_u32_e32 v16, vcc, v5, v3, vcc
.LBB44_37:                              ;   in Loop: Header=BB44_23 Depth=2
	s_andn2_saveexec_b64 s[0:1], s[36:37]
	s_cbranch_execz .LBB44_39
; %bb.38:                               ;   in Loop: Header=BB44_23 Depth=2
	v_cvt_f32_u32_e32 v3, s54
	s_sub_i32 s16, 0, s54
	v_mov_b32_e32 v16, v2
	v_rcp_iflag_f32_e32 v3, v3
	v_mul_f32_e32 v3, 0x4f7ffffe, v3
	v_cvt_u32_f32_e32 v3, v3
	v_mul_lo_u32 v5, s16, v3
	v_mul_hi_u32 v5, v3, v5
	v_add_u32_e32 v3, v3, v5
	v_mul_hi_u32 v3, v13, v3
	v_mul_lo_u32 v5, v3, s54
	v_add_u32_e32 v8, 1, v3
	v_sub_u32_e32 v5, v13, v5
	v_subrev_u32_e32 v10, s54, v5
	v_cmp_le_u32_e32 vcc, s54, v5
	v_cndmask_b32_e32 v5, v5, v10, vcc
	v_cndmask_b32_e32 v3, v3, v8, vcc
	v_add_u32_e32 v8, 1, v3
	v_cmp_le_u32_e32 vcc, s54, v5
	v_cndmask_b32_e32 v15, v3, v8, vcc
.LBB44_39:                              ;   in Loop: Header=BB44_23 Depth=2
	s_or_b64 exec, exec, s[0:1]
	s_add_u32 s0, s4, s34
	s_addc_u32 s1, s5, s35
	s_add_i32 s16, s30, 3
	s_lshl_b64 s[34:35], s[16:17], 2
	s_add_u32 s36, s42, s34
	s_addc_u32 s37, s43, s35
	s_load_dword s55, s[36:37], 0x8
	s_load_dword s56, s[0:1], 0x6c
                                        ; implicit-def: $vgpr17_vgpr18
	s_waitcnt lgkmcnt(0)
	s_ashr_i32 s0, s55, 31
	v_or_b32_e32 v3, s0, v16
	v_cmp_ne_u64_e32 vcc, 0, v[2:3]
	s_and_saveexec_b64 s[36:37], vcc
	s_xor_b64 s[36:37], exec, s[36:37]
	s_cbranch_execz .LBB44_41
; %bb.40:                               ;   in Loop: Header=BB44_23 Depth=2
	s_ashr_i32 s38, s0, 31
	s_add_u32 s40, s55, s38
	s_mov_b32 s39, s38
	s_addc_u32 s41, s0, s38
	s_xor_b64 s[40:41], s[40:41], s[38:39]
	v_cvt_f32_u32_e32 v3, s40
	v_cvt_f32_u32_e32 v5, s41
	s_sub_u32 s16, 0, s40
	s_subb_u32 s31, 0, s41
	v_mac_f32_e32 v3, 0x4f800000, v5
	v_rcp_f32_e32 v3, v3
	v_mul_f32_e32 v3, 0x5f7ffffc, v3
	v_mul_f32_e32 v5, 0x2f800000, v3
	v_trunc_f32_e32 v5, v5
	v_mac_f32_e32 v3, 0xcf800000, v5
	v_cvt_u32_f32_e32 v5, v5
	v_cvt_u32_f32_e32 v3, v3
	v_readfirstlane_b32 s39, v5
	v_readfirstlane_b32 s0, v3
	s_mul_i32 s1, s16, s39
	s_mul_hi_u32 s58, s16, s0
	s_mul_i32 s57, s31, s0
	s_add_i32 s1, s58, s1
	s_add_i32 s1, s1, s57
	s_mul_i32 s59, s16, s0
	s_mul_i32 s58, s0, s1
	s_mul_hi_u32 s60, s0, s59
	s_mul_hi_u32 s57, s0, s1
	s_add_u32 s58, s60, s58
	s_addc_u32 s57, 0, s57
	s_mul_hi_u32 s61, s39, s59
	s_mul_i32 s59, s39, s59
	s_add_u32 s58, s58, s59
	s_mul_hi_u32 s60, s39, s1
	s_addc_u32 s57, s57, s61
	s_addc_u32 s58, s60, 0
	s_mul_i32 s1, s39, s1
	s_add_u32 s1, s57, s1
	s_addc_u32 s57, 0, s58
	s_add_u32 s58, s0, s1
	s_cselect_b64 s[0:1], -1, 0
	s_cmp_lg_u64 s[0:1], 0
	s_addc_u32 s39, s39, s57
	s_mul_i32 s0, s16, s39
	s_mul_hi_u32 s1, s16, s58
	s_add_i32 s0, s1, s0
	s_mul_i32 s31, s31, s58
	s_add_i32 s0, s0, s31
	s_mul_i32 s16, s16, s58
	s_mul_hi_u32 s31, s39, s16
	s_mul_i32 s57, s39, s16
	s_mul_i32 s60, s58, s0
	s_mul_hi_u32 s16, s58, s16
	s_mul_hi_u32 s59, s58, s0
	s_add_u32 s16, s16, s60
	s_addc_u32 s59, 0, s59
	s_add_u32 s16, s16, s57
	s_mul_hi_u32 s1, s39, s0
	s_addc_u32 s16, s59, s31
	s_addc_u32 s1, s1, 0
	s_mul_i32 s0, s39, s0
	s_add_u32 s0, s16, s0
	s_addc_u32 s16, 0, s1
	s_add_u32 s31, s58, s0
	s_cselect_b64 s[0:1], -1, 0
	v_ashrrev_i32_e32 v3, 31, v16
	s_cmp_lg_u64 s[0:1], 0
	v_add_co_u32_e32 v5, vcc, v15, v3
	s_addc_u32 s16, s39, s16
	v_xor_b32_e32 v5, v5, v3
	v_addc_co_u32_e32 v8, vcc, v16, v3, vcc
	v_mad_u64_u32 v[16:17], s[0:1], v5, s16, 0
	v_mul_hi_u32 v10, v5, s31
	v_xor_b32_e32 v8, v8, v3
	v_mad_u64_u32 v[18:19], s[0:1], v8, s16, 0
	v_add_co_u32_e32 v10, vcc, v10, v16
	v_addc_co_u32_e32 v12, vcc, 0, v17, vcc
	v_mad_u64_u32 v[16:17], s[0:1], v8, s31, 0
	v_xor_b32_e32 v3, s38, v3
	v_add_co_u32_e32 v10, vcc, v10, v16
	v_addc_co_u32_e32 v10, vcc, v12, v17, vcc
	v_addc_co_u32_e32 v12, vcc, 0, v19, vcc
	v_add_co_u32_e32 v10, vcc, v10, v18
	v_addc_co_u32_e32 v12, vcc, 0, v12, vcc
	v_mul_lo_u32 v14, s41, v10
	v_mul_lo_u32 v18, s40, v12
	v_mad_u64_u32 v[16:17], s[0:1], s40, v10, 0
	v_add3_u32 v14, v17, v18, v14
	v_sub_u32_e32 v17, v8, v14
	v_mov_b32_e32 v18, s41
	v_sub_co_u32_e32 v5, vcc, v5, v16
	v_subb_co_u32_e64 v16, s[0:1], v17, v18, vcc
	v_subrev_co_u32_e64 v17, s[0:1], s40, v5
	v_subbrev_co_u32_e64 v16, s[0:1], 0, v16, s[0:1]
	v_cmp_le_u32_e64 s[0:1], s41, v16
	v_cndmask_b32_e64 v18, 0, -1, s[0:1]
	v_cmp_le_u32_e64 s[0:1], s40, v17
	v_cndmask_b32_e64 v17, 0, -1, s[0:1]
	v_cmp_eq_u32_e64 s[0:1], s41, v16
	v_cndmask_b32_e64 v16, v18, v17, s[0:1]
	v_add_co_u32_e64 v17, s[0:1], 2, v10
	v_subb_co_u32_e32 v8, vcc, v8, v14, vcc
	v_addc_co_u32_e64 v18, s[0:1], 0, v12, s[0:1]
	v_cmp_le_u32_e32 vcc, s41, v8
	v_add_co_u32_e64 v19, s[0:1], 1, v10
	v_cndmask_b32_e64 v14, 0, -1, vcc
	v_cmp_le_u32_e32 vcc, s40, v5
	v_addc_co_u32_e64 v20, s[0:1], 0, v12, s[0:1]
	v_cndmask_b32_e64 v5, 0, -1, vcc
	v_cmp_eq_u32_e32 vcc, s41, v8
	v_cmp_ne_u32_e64 s[0:1], 0, v16
	v_cndmask_b32_e32 v5, v14, v5, vcc
	v_cmp_ne_u32_e32 vcc, 0, v5
	v_cndmask_b32_e64 v8, v19, v17, s[0:1]
	v_cndmask_b32_e64 v16, v20, v18, s[0:1]
	v_cndmask_b32_e32 v8, v10, v8, vcc
	v_cndmask_b32_e32 v5, v12, v16, vcc
	v_xor_b32_e32 v8, v8, v3
	v_xor_b32_e32 v5, v5, v3
	v_sub_co_u32_e32 v17, vcc, v8, v3
	v_subb_co_u32_e32 v18, vcc, v5, v3, vcc
.LBB44_41:                              ;   in Loop: Header=BB44_23 Depth=2
	s_andn2_saveexec_b64 s[0:1], s[36:37]
	s_cbranch_execz .LBB44_43
; %bb.42:                               ;   in Loop: Header=BB44_23 Depth=2
	v_cvt_f32_u32_e32 v3, s55
	s_sub_i32 s16, 0, s55
	v_mov_b32_e32 v18, v2
	v_rcp_iflag_f32_e32 v3, v3
	v_mul_f32_e32 v3, 0x4f7ffffe, v3
	v_cvt_u32_f32_e32 v3, v3
	v_mul_lo_u32 v5, s16, v3
	v_mul_hi_u32 v5, v3, v5
	v_add_u32_e32 v3, v3, v5
	v_mul_hi_u32 v3, v15, v3
	v_mul_lo_u32 v5, v3, s55
	v_add_u32_e32 v8, 1, v3
	v_sub_u32_e32 v5, v15, v5
	v_subrev_u32_e32 v10, s55, v5
	v_cmp_le_u32_e32 vcc, s55, v5
	v_cndmask_b32_e32 v5, v5, v10, vcc
	v_cndmask_b32_e32 v3, v3, v8, vcc
	v_add_u32_e32 v8, 1, v3
	v_cmp_le_u32_e32 vcc, s55, v5
	v_cndmask_b32_e32 v17, v3, v8, vcc
.LBB44_43:                              ;   in Loop: Header=BB44_23 Depth=2
	s_or_b64 exec, exec, s[0:1]
	s_add_u32 s0, s4, s34
	s_addc_u32 s1, s5, s35
	s_add_i32 s16, s30, 2
	s_lshl_b64 s[34:35], s[16:17], 2
	s_add_u32 s36, s42, s34
	s_addc_u32 s37, s43, s35
	s_load_dword s58, s[36:37], 0x8
	s_load_dword s57, s[0:1], 0x6c
                                        ; implicit-def: $vgpr19_vgpr20
	s_waitcnt lgkmcnt(0)
	s_ashr_i32 s0, s58, 31
	v_or_b32_e32 v3, s0, v18
	v_cmp_ne_u64_e32 vcc, 0, v[2:3]
	s_and_saveexec_b64 s[36:37], vcc
	s_xor_b64 s[36:37], exec, s[36:37]
	s_cbranch_execz .LBB44_45
; %bb.44:                               ;   in Loop: Header=BB44_23 Depth=2
	s_ashr_i32 s38, s0, 31
	s_add_u32 s40, s58, s38
	s_mov_b32 s39, s38
	s_addc_u32 s41, s0, s38
	s_xor_b64 s[40:41], s[40:41], s[38:39]
	v_cvt_f32_u32_e32 v3, s40
	v_cvt_f32_u32_e32 v5, s41
	s_sub_u32 s16, 0, s40
	s_subb_u32 s31, 0, s41
	v_mac_f32_e32 v3, 0x4f800000, v5
	v_rcp_f32_e32 v3, v3
	v_mul_f32_e32 v3, 0x5f7ffffc, v3
	v_mul_f32_e32 v5, 0x2f800000, v3
	v_trunc_f32_e32 v5, v5
	v_mac_f32_e32 v3, 0xcf800000, v5
	v_cvt_u32_f32_e32 v5, v5
	v_cvt_u32_f32_e32 v3, v3
	v_readfirstlane_b32 s39, v5
	v_readfirstlane_b32 s0, v3
	s_mul_i32 s1, s16, s39
	s_mul_hi_u32 s60, s16, s0
	s_mul_i32 s59, s31, s0
	s_add_i32 s1, s60, s1
	s_add_i32 s1, s1, s59
	s_mul_i32 s61, s16, s0
	s_mul_i32 s60, s0, s1
	s_mul_hi_u32 s62, s0, s61
	s_mul_hi_u32 s59, s0, s1
	s_add_u32 s60, s62, s60
	s_addc_u32 s59, 0, s59
	s_mul_hi_u32 s63, s39, s61
	s_mul_i32 s61, s39, s61
	s_add_u32 s60, s60, s61
	s_mul_hi_u32 s62, s39, s1
	s_addc_u32 s59, s59, s63
	s_addc_u32 s60, s62, 0
	s_mul_i32 s1, s39, s1
	s_add_u32 s1, s59, s1
	s_addc_u32 s59, 0, s60
	s_add_u32 s60, s0, s1
	s_cselect_b64 s[0:1], -1, 0
	s_cmp_lg_u64 s[0:1], 0
	s_addc_u32 s39, s39, s59
	s_mul_i32 s0, s16, s39
	s_mul_hi_u32 s1, s16, s60
	s_add_i32 s0, s1, s0
	s_mul_i32 s31, s31, s60
	s_add_i32 s0, s0, s31
	s_mul_i32 s16, s16, s60
	s_mul_hi_u32 s31, s39, s16
	s_mul_i32 s59, s39, s16
	s_mul_i32 s62, s60, s0
	s_mul_hi_u32 s16, s60, s16
	s_mul_hi_u32 s61, s60, s0
	s_add_u32 s16, s16, s62
	s_addc_u32 s61, 0, s61
	s_add_u32 s16, s16, s59
	s_mul_hi_u32 s1, s39, s0
	s_addc_u32 s16, s61, s31
	s_addc_u32 s1, s1, 0
	s_mul_i32 s0, s39, s0
	s_add_u32 s0, s16, s0
	s_addc_u32 s16, 0, s1
	s_add_u32 s31, s60, s0
	s_cselect_b64 s[0:1], -1, 0
	v_ashrrev_i32_e32 v3, 31, v18
	s_cmp_lg_u64 s[0:1], 0
	v_add_co_u32_e32 v5, vcc, v17, v3
	s_addc_u32 s16, s39, s16
	v_xor_b32_e32 v5, v5, v3
	v_addc_co_u32_e32 v8, vcc, v18, v3, vcc
	v_mad_u64_u32 v[18:19], s[0:1], v5, s16, 0
	v_mul_hi_u32 v10, v5, s31
	v_xor_b32_e32 v8, v8, v3
	v_mad_u64_u32 v[20:21], s[0:1], v8, s16, 0
	v_add_co_u32_e32 v10, vcc, v10, v18
	v_addc_co_u32_e32 v12, vcc, 0, v19, vcc
	v_mad_u64_u32 v[18:19], s[0:1], v8, s31, 0
	v_xor_b32_e32 v3, s38, v3
	v_add_co_u32_e32 v10, vcc, v10, v18
	v_addc_co_u32_e32 v10, vcc, v12, v19, vcc
	v_addc_co_u32_e32 v12, vcc, 0, v21, vcc
	v_add_co_u32_e32 v10, vcc, v10, v20
	v_addc_co_u32_e32 v12, vcc, 0, v12, vcc
	v_mul_lo_u32 v14, s41, v10
	v_mul_lo_u32 v16, s40, v12
	v_mad_u64_u32 v[18:19], s[0:1], s40, v10, 0
	v_add3_u32 v14, v19, v16, v14
	v_sub_u32_e32 v16, v8, v14
	v_mov_b32_e32 v19, s41
	v_sub_co_u32_e32 v5, vcc, v5, v18
	v_subb_co_u32_e64 v16, s[0:1], v16, v19, vcc
	v_subrev_co_u32_e64 v18, s[0:1], s40, v5
	v_subbrev_co_u32_e64 v16, s[0:1], 0, v16, s[0:1]
	v_cmp_le_u32_e64 s[0:1], s41, v16
	v_cndmask_b32_e64 v19, 0, -1, s[0:1]
	v_cmp_le_u32_e64 s[0:1], s40, v18
	v_cndmask_b32_e64 v18, 0, -1, s[0:1]
	v_cmp_eq_u32_e64 s[0:1], s41, v16
	v_cndmask_b32_e64 v16, v19, v18, s[0:1]
	v_add_co_u32_e64 v18, s[0:1], 2, v10
	v_subb_co_u32_e32 v8, vcc, v8, v14, vcc
	v_addc_co_u32_e64 v19, s[0:1], 0, v12, s[0:1]
	v_cmp_le_u32_e32 vcc, s41, v8
	v_add_co_u32_e64 v20, s[0:1], 1, v10
	v_cndmask_b32_e64 v14, 0, -1, vcc
	v_cmp_le_u32_e32 vcc, s40, v5
	v_addc_co_u32_e64 v21, s[0:1], 0, v12, s[0:1]
	v_cndmask_b32_e64 v5, 0, -1, vcc
	v_cmp_eq_u32_e32 vcc, s41, v8
	v_cmp_ne_u32_e64 s[0:1], 0, v16
	v_cndmask_b32_e32 v5, v14, v5, vcc
	v_cmp_ne_u32_e32 vcc, 0, v5
	v_cndmask_b32_e64 v8, v20, v18, s[0:1]
	v_cndmask_b32_e64 v16, v21, v19, s[0:1]
	v_cndmask_b32_e32 v8, v10, v8, vcc
	v_cndmask_b32_e32 v5, v12, v16, vcc
	v_xor_b32_e32 v8, v8, v3
	v_xor_b32_e32 v5, v5, v3
	v_sub_co_u32_e32 v19, vcc, v8, v3
	v_subb_co_u32_e32 v20, vcc, v5, v3, vcc
.LBB44_45:                              ;   in Loop: Header=BB44_23 Depth=2
	s_andn2_saveexec_b64 s[0:1], s[36:37]
	s_cbranch_execz .LBB44_47
; %bb.46:                               ;   in Loop: Header=BB44_23 Depth=2
	v_cvt_f32_u32_e32 v3, s58
	s_sub_i32 s16, 0, s58
	v_mov_b32_e32 v20, v2
	v_rcp_iflag_f32_e32 v3, v3
	v_mul_f32_e32 v3, 0x4f7ffffe, v3
	v_cvt_u32_f32_e32 v3, v3
	v_mul_lo_u32 v5, s16, v3
	v_mul_hi_u32 v5, v3, v5
	v_add_u32_e32 v3, v3, v5
	v_mul_hi_u32 v3, v17, v3
	v_mul_lo_u32 v5, v3, s58
	v_add_u32_e32 v8, 1, v3
	v_sub_u32_e32 v5, v17, v5
	v_subrev_u32_e32 v10, s58, v5
	v_cmp_le_u32_e32 vcc, s58, v5
	v_cndmask_b32_e32 v5, v5, v10, vcc
	v_cndmask_b32_e32 v3, v3, v8, vcc
	v_add_u32_e32 v8, 1, v3
	v_cmp_le_u32_e32 vcc, s58, v5
	v_cndmask_b32_e32 v19, v3, v8, vcc
.LBB44_47:                              ;   in Loop: Header=BB44_23 Depth=2
	s_or_b64 exec, exec, s[0:1]
	s_add_u32 s0, s4, s34
	s_addc_u32 s1, s5, s35
	s_add_i32 s16, s30, 1
	s_lshl_b64 s[34:35], s[16:17], 2
	s_add_u32 s36, s42, s34
	s_addc_u32 s37, s43, s35
	s_load_dword s59, s[36:37], 0x8
	s_load_dword s16, s[0:1], 0x6c
                                        ; implicit-def: $vgpr21_vgpr22
	s_waitcnt lgkmcnt(0)
	s_ashr_i32 s0, s59, 31
	v_or_b32_e32 v3, s0, v20
	v_cmp_ne_u64_e32 vcc, 0, v[2:3]
	s_and_saveexec_b64 s[36:37], vcc
	s_xor_b64 s[36:37], exec, s[36:37]
	s_cbranch_execz .LBB44_49
; %bb.48:                               ;   in Loop: Header=BB44_23 Depth=2
	s_ashr_i32 s38, s0, 31
	s_add_u32 s40, s59, s38
	s_mov_b32 s39, s38
	s_addc_u32 s41, s0, s38
	s_xor_b64 s[40:41], s[40:41], s[38:39]
	v_cvt_f32_u32_e32 v3, s40
	v_cvt_f32_u32_e32 v5, s41
	s_sub_u32 s31, 0, s40
	s_subb_u32 s39, 0, s41
	v_mov_b32_e32 v18, s41
	v_mac_f32_e32 v3, 0x4f800000, v5
	v_rcp_f32_e32 v3, v3
	v_mul_f32_e32 v3, 0x5f7ffffc, v3
	v_mul_f32_e32 v5, 0x2f800000, v3
	v_trunc_f32_e32 v5, v5
	v_mac_f32_e32 v3, 0xcf800000, v5
	v_cvt_u32_f32_e32 v5, v5
	v_cvt_u32_f32_e32 v3, v3
	v_readfirstlane_b32 s60, v5
	v_readfirstlane_b32 s0, v3
	s_mul_i32 s1, s31, s60
	s_mul_hi_u32 s62, s31, s0
	s_mul_i32 s61, s39, s0
	s_add_i32 s1, s62, s1
	s_add_i32 s1, s1, s61
	s_mul_i32 s63, s31, s0
	s_mul_i32 s62, s0, s1
	s_mul_hi_u32 s64, s0, s63
	s_mul_hi_u32 s61, s0, s1
	s_add_u32 s62, s64, s62
	s_addc_u32 s61, 0, s61
	s_mul_hi_u32 s65, s60, s63
	s_mul_i32 s63, s60, s63
	s_add_u32 s62, s62, s63
	s_mul_hi_u32 s64, s60, s1
	s_addc_u32 s61, s61, s65
	s_addc_u32 s62, s64, 0
	s_mul_i32 s1, s60, s1
	s_add_u32 s1, s61, s1
	s_addc_u32 s61, 0, s62
	s_add_u32 s62, s0, s1
	s_cselect_b64 s[0:1], -1, 0
	s_cmp_lg_u64 s[0:1], 0
	s_addc_u32 s60, s60, s61
	s_mul_i32 s0, s31, s60
	s_mul_hi_u32 s1, s31, s62
	s_add_i32 s0, s1, s0
	s_mul_i32 s39, s39, s62
	s_add_i32 s0, s0, s39
	s_mul_i32 s31, s31, s62
	s_mul_hi_u32 s39, s60, s31
	s_mul_i32 s61, s60, s31
	s_mul_i32 s64, s62, s0
	s_mul_hi_u32 s31, s62, s31
	s_mul_hi_u32 s63, s62, s0
	s_add_u32 s31, s31, s64
	s_addc_u32 s63, 0, s63
	s_add_u32 s31, s31, s61
	s_mul_hi_u32 s1, s60, s0
	s_addc_u32 s31, s63, s39
	s_addc_u32 s1, s1, 0
	s_mul_i32 s0, s60, s0
	s_add_u32 s0, s31, s0
	s_addc_u32 s31, 0, s1
	s_add_u32 s39, s62, s0
	s_cselect_b64 s[0:1], -1, 0
	v_ashrrev_i32_e32 v3, 31, v20
	s_cmp_lg_u64 s[0:1], 0
	v_add_co_u32_e32 v5, vcc, v19, v3
	s_addc_u32 s31, s60, s31
	v_xor_b32_e32 v5, v5, v3
	v_addc_co_u32_e32 v8, vcc, v20, v3, vcc
	v_mad_u64_u32 v[20:21], s[0:1], v5, s31, 0
	v_mul_hi_u32 v10, v5, s39
	v_xor_b32_e32 v8, v8, v3
	v_mad_u64_u32 v[22:23], s[0:1], v8, s31, 0
	v_add_co_u32_e32 v10, vcc, v10, v20
	v_addc_co_u32_e32 v12, vcc, 0, v21, vcc
	v_mad_u64_u32 v[20:21], s[0:1], v8, s39, 0
	v_xor_b32_e32 v3, s38, v3
	v_add_co_u32_e32 v10, vcc, v10, v20
	v_addc_co_u32_e32 v10, vcc, v12, v21, vcc
	v_addc_co_u32_e32 v12, vcc, 0, v23, vcc
	v_add_co_u32_e32 v10, vcc, v10, v22
	v_addc_co_u32_e32 v12, vcc, 0, v12, vcc
	v_mul_lo_u32 v14, s41, v10
	v_mul_lo_u32 v16, s40, v12
	v_mad_u64_u32 v[20:21], s[0:1], s40, v10, 0
	v_add3_u32 v14, v21, v16, v14
	v_sub_u32_e32 v16, v8, v14
	v_sub_co_u32_e32 v5, vcc, v5, v20
	v_subb_co_u32_e64 v16, s[0:1], v16, v18, vcc
	v_subrev_co_u32_e64 v18, s[0:1], s40, v5
	v_subbrev_co_u32_e64 v16, s[0:1], 0, v16, s[0:1]
	v_cmp_le_u32_e64 s[0:1], s41, v16
	v_cndmask_b32_e64 v20, 0, -1, s[0:1]
	v_cmp_le_u32_e64 s[0:1], s40, v18
	v_cndmask_b32_e64 v18, 0, -1, s[0:1]
	v_cmp_eq_u32_e64 s[0:1], s41, v16
	v_cndmask_b32_e64 v16, v20, v18, s[0:1]
	v_add_co_u32_e64 v18, s[0:1], 2, v10
	v_subb_co_u32_e32 v8, vcc, v8, v14, vcc
	v_addc_co_u32_e64 v20, s[0:1], 0, v12, s[0:1]
	v_cmp_le_u32_e32 vcc, s41, v8
	v_add_co_u32_e64 v21, s[0:1], 1, v10
	v_cndmask_b32_e64 v14, 0, -1, vcc
	v_cmp_le_u32_e32 vcc, s40, v5
	v_addc_co_u32_e64 v22, s[0:1], 0, v12, s[0:1]
	v_cndmask_b32_e64 v5, 0, -1, vcc
	v_cmp_eq_u32_e32 vcc, s41, v8
	v_cmp_ne_u32_e64 s[0:1], 0, v16
	v_cndmask_b32_e32 v5, v14, v5, vcc
	v_cmp_ne_u32_e32 vcc, 0, v5
	v_cndmask_b32_e64 v8, v21, v18, s[0:1]
	v_cndmask_b32_e64 v16, v22, v20, s[0:1]
	v_cndmask_b32_e32 v8, v10, v8, vcc
	v_cndmask_b32_e32 v5, v12, v16, vcc
	v_xor_b32_e32 v8, v8, v3
	v_xor_b32_e32 v5, v5, v3
	v_sub_co_u32_e32 v21, vcc, v8, v3
	v_subb_co_u32_e32 v22, vcc, v5, v3, vcc
.LBB44_49:                              ;   in Loop: Header=BB44_23 Depth=2
	s_andn2_saveexec_b64 s[0:1], s[36:37]
	s_cbranch_execz .LBB44_51
; %bb.50:                               ;   in Loop: Header=BB44_23 Depth=2
	v_cvt_f32_u32_e32 v3, s59
	s_sub_i32 s31, 0, s59
	v_mov_b32_e32 v22, v2
	v_rcp_iflag_f32_e32 v3, v3
	v_mul_f32_e32 v3, 0x4f7ffffe, v3
	v_cvt_u32_f32_e32 v3, v3
	v_mul_lo_u32 v5, s31, v3
	v_mul_hi_u32 v5, v3, v5
	v_add_u32_e32 v3, v3, v5
	v_mul_hi_u32 v3, v19, v3
	v_mul_lo_u32 v5, v3, s59
	v_add_u32_e32 v8, 1, v3
	v_sub_u32_e32 v5, v19, v5
	v_subrev_u32_e32 v10, s59, v5
	v_cmp_le_u32_e32 vcc, s59, v5
	v_cndmask_b32_e32 v5, v5, v10, vcc
	v_cndmask_b32_e32 v3, v3, v8, vcc
	v_add_u32_e32 v8, 1, v3
	v_cmp_le_u32_e32 vcc, s59, v5
	v_cndmask_b32_e32 v21, v3, v8, vcc
.LBB44_51:                              ;   in Loop: Header=BB44_23 Depth=2
	s_or_b64 exec, exec, s[0:1]
	s_add_u32 s0, s4, s34
	s_mov_b32 s31, s17
	s_addc_u32 s1, s5, s35
	s_lshl_b64 s[34:35], s[30:31], 2
	s_add_u32 s36, s42, s34
	s_addc_u32 s37, s43, s35
	s_load_dword s60, s[36:37], 0x8
	s_load_dword s31, s[0:1], 0x6c
                                        ; implicit-def: $vgpr23_vgpr24
	s_waitcnt lgkmcnt(0)
	s_ashr_i32 s0, s60, 31
	v_or_b32_e32 v3, s0, v22
	v_cmp_ne_u64_e32 vcc, 0, v[2:3]
	s_and_saveexec_b64 s[36:37], vcc
	s_xor_b64 s[36:37], exec, s[36:37]
	s_cbranch_execz .LBB44_53
; %bb.52:                               ;   in Loop: Header=BB44_23 Depth=2
	s_ashr_i32 s38, s0, 31
	s_add_u32 s40, s60, s38
	s_mov_b32 s39, s38
	s_addc_u32 s41, s0, s38
	s_xor_b64 s[40:41], s[40:41], s[38:39]
	v_cvt_f32_u32_e32 v3, s40
	v_cvt_f32_u32_e32 v5, s41
	s_sub_u32 s39, 0, s40
	s_subb_u32 s61, 0, s41
	v_mov_b32_e32 v18, s41
	v_mac_f32_e32 v3, 0x4f800000, v5
	v_rcp_f32_e32 v3, v3
	v_mul_f32_e32 v3, 0x5f7ffffc, v3
	v_mul_f32_e32 v5, 0x2f800000, v3
	v_trunc_f32_e32 v5, v5
	v_mac_f32_e32 v3, 0xcf800000, v5
	v_cvt_u32_f32_e32 v5, v5
	v_cvt_u32_f32_e32 v3, v3
	v_readfirstlane_b32 s62, v5
	v_readfirstlane_b32 s0, v3
	s_mul_i32 s1, s39, s62
	s_mul_hi_u32 s64, s39, s0
	s_mul_i32 s63, s61, s0
	s_add_i32 s1, s64, s1
	s_add_i32 s1, s1, s63
	s_mul_i32 s65, s39, s0
	s_mul_i32 s64, s0, s1
	s_mul_hi_u32 s66, s0, s65
	s_mul_hi_u32 s63, s0, s1
	s_add_u32 s64, s66, s64
	s_addc_u32 s63, 0, s63
	s_mul_hi_u32 s67, s62, s65
	s_mul_i32 s65, s62, s65
	s_add_u32 s64, s64, s65
	s_mul_hi_u32 s66, s62, s1
	s_addc_u32 s63, s63, s67
	s_addc_u32 s64, s66, 0
	s_mul_i32 s1, s62, s1
	s_add_u32 s1, s63, s1
	s_addc_u32 s63, 0, s64
	s_add_u32 s64, s0, s1
	s_cselect_b64 s[0:1], -1, 0
	s_cmp_lg_u64 s[0:1], 0
	s_addc_u32 s62, s62, s63
	s_mul_i32 s0, s39, s62
	s_mul_hi_u32 s1, s39, s64
	s_add_i32 s0, s1, s0
	s_mul_i32 s61, s61, s64
	s_add_i32 s0, s0, s61
	s_mul_i32 s39, s39, s64
	s_mul_hi_u32 s61, s62, s39
	s_mul_i32 s63, s62, s39
	s_mul_i32 s66, s64, s0
	s_mul_hi_u32 s39, s64, s39
	s_mul_hi_u32 s65, s64, s0
	s_add_u32 s39, s39, s66
	s_addc_u32 s65, 0, s65
	s_add_u32 s39, s39, s63
	s_mul_hi_u32 s1, s62, s0
	s_addc_u32 s39, s65, s61
	s_addc_u32 s1, s1, 0
	s_mul_i32 s0, s62, s0
	s_add_u32 s0, s39, s0
	s_addc_u32 s39, 0, s1
	s_add_u32 s61, s64, s0
	s_cselect_b64 s[0:1], -1, 0
	v_ashrrev_i32_e32 v3, 31, v22
	s_cmp_lg_u64 s[0:1], 0
	v_add_co_u32_e32 v5, vcc, v21, v3
	s_addc_u32 s39, s62, s39
	v_xor_b32_e32 v5, v5, v3
	v_addc_co_u32_e32 v8, vcc, v22, v3, vcc
	v_mad_u64_u32 v[22:23], s[0:1], v5, s39, 0
	v_mul_hi_u32 v10, v5, s61
	v_xor_b32_e32 v8, v8, v3
	v_mad_u64_u32 v[27:28], s[0:1], v8, s39, 0
	v_add_co_u32_e32 v10, vcc, v10, v22
	v_addc_co_u32_e32 v12, vcc, 0, v23, vcc
	v_mad_u64_u32 v[22:23], s[0:1], v8, s61, 0
	v_xor_b32_e32 v3, s38, v3
	v_add_co_u32_e32 v10, vcc, v10, v22
	v_addc_co_u32_e32 v10, vcc, v12, v23, vcc
	v_addc_co_u32_e32 v12, vcc, 0, v28, vcc
	v_add_co_u32_e32 v10, vcc, v10, v27
	v_addc_co_u32_e32 v12, vcc, 0, v12, vcc
	v_mul_lo_u32 v14, s41, v10
	v_mul_lo_u32 v16, s40, v12
	v_mad_u64_u32 v[22:23], s[0:1], s40, v10, 0
	v_add3_u32 v14, v23, v16, v14
	v_sub_u32_e32 v16, v8, v14
	v_sub_co_u32_e32 v5, vcc, v5, v22
	v_subb_co_u32_e64 v16, s[0:1], v16, v18, vcc
	v_subrev_co_u32_e64 v18, s[0:1], s40, v5
	v_subbrev_co_u32_e64 v16, s[0:1], 0, v16, s[0:1]
	v_cmp_le_u32_e64 s[0:1], s41, v16
	v_cndmask_b32_e64 v20, 0, -1, s[0:1]
	v_cmp_le_u32_e64 s[0:1], s40, v18
	v_cndmask_b32_e64 v18, 0, -1, s[0:1]
	v_cmp_eq_u32_e64 s[0:1], s41, v16
	v_cndmask_b32_e64 v16, v20, v18, s[0:1]
	v_add_co_u32_e64 v18, s[0:1], 2, v10
	v_subb_co_u32_e32 v8, vcc, v8, v14, vcc
	v_addc_co_u32_e64 v20, s[0:1], 0, v12, s[0:1]
	v_cmp_le_u32_e32 vcc, s41, v8
	v_add_co_u32_e64 v22, s[0:1], 1, v10
	v_cndmask_b32_e64 v14, 0, -1, vcc
	v_cmp_le_u32_e32 vcc, s40, v5
	v_addc_co_u32_e64 v23, s[0:1], 0, v12, s[0:1]
	v_cndmask_b32_e64 v5, 0, -1, vcc
	v_cmp_eq_u32_e32 vcc, s41, v8
	v_cmp_ne_u32_e64 s[0:1], 0, v16
	v_cndmask_b32_e32 v5, v14, v5, vcc
	v_cmp_ne_u32_e32 vcc, 0, v5
	v_cndmask_b32_e64 v8, v22, v18, s[0:1]
	v_cndmask_b32_e64 v16, v23, v20, s[0:1]
	v_cndmask_b32_e32 v8, v10, v8, vcc
	v_cndmask_b32_e32 v5, v12, v16, vcc
	v_xor_b32_e32 v8, v8, v3
	v_xor_b32_e32 v5, v5, v3
	v_sub_co_u32_e32 v23, vcc, v8, v3
	v_subb_co_u32_e32 v24, vcc, v5, v3, vcc
.LBB44_53:                              ;   in Loop: Header=BB44_23 Depth=2
	s_andn2_saveexec_b64 s[0:1], s[36:37]
	s_cbranch_execz .LBB44_55
; %bb.54:                               ;   in Loop: Header=BB44_23 Depth=2
	v_cvt_f32_u32_e32 v3, s60
	s_sub_i32 s36, 0, s60
	v_mov_b32_e32 v24, v2
	v_rcp_iflag_f32_e32 v3, v3
	v_mul_f32_e32 v3, 0x4f7ffffe, v3
	v_cvt_u32_f32_e32 v3, v3
	v_mul_lo_u32 v5, s36, v3
	v_mul_hi_u32 v5, v3, v5
	v_add_u32_e32 v3, v3, v5
	v_mul_hi_u32 v3, v21, v3
	v_mul_lo_u32 v5, v3, s60
	v_add_u32_e32 v8, 1, v3
	v_sub_u32_e32 v5, v21, v5
	v_subrev_u32_e32 v10, s60, v5
	v_cmp_le_u32_e32 vcc, s60, v5
	v_cndmask_b32_e32 v5, v5, v10, vcc
	v_cndmask_b32_e32 v3, v3, v8, vcc
	v_add_u32_e32 v8, 1, v3
	v_cmp_le_u32_e32 vcc, s60, v5
	v_cndmask_b32_e32 v23, v3, v8, vcc
.LBB44_55:                              ;   in Loop: Header=BB44_23 Depth=2
	s_or_b64 exec, exec, s[0:1]
	v_mul_lo_u32 v3, v9, s25
	v_mul_lo_u32 v5, v11, s50
	;; [unrolled: 1-line block ×3, first 2 shown]
	s_add_u32 s0, s4, s34
	v_sub_u32_e32 v3, v7, v3
	v_mul_lo_u32 v7, v15, s54
	v_sub_u32_e32 v5, v9, v5
	v_mul_lo_u32 v3, s28, v3
	v_mul_lo_u32 v5, s51, v5
	v_sub_u32_e32 v8, v11, v8
	v_sub_u32_e32 v7, v13, v7
	v_mul_lo_u32 v8, s53, v8
	v_mul_lo_u32 v7, s56, v7
	;; [unrolled: 1-line block ×3, first 2 shown]
	v_add3_u32 v3, v3, v4, v5
	v_mul_lo_u32 v4, v19, s58
	s_addc_u32 s1, s5, s35
	v_add3_u32 v3, v8, v3, v7
	v_mul_lo_u32 v7, v21, s59
	v_mul_lo_u32 v8, v23, s60
	s_load_dword s0, s[0:1], 0x6c
	v_sub_u32_e32 v5, v15, v9
	v_sub_u32_e32 v4, v17, v4
	v_mul_lo_u32 v5, s57, v5
	v_mul_lo_u32 v4, s16, v4
	v_sub_u32_e32 v7, v19, v7
	v_sub_u32_e32 v8, v21, v8
	v_mul_lo_u32 v7, s31, v7
	s_waitcnt lgkmcnt(0)
	v_mul_lo_u32 v8, s0, v8
	v_add3_u32 v3, v5, v3, v4
	s_add_i32 s30, s30, -8
	s_cmp_eq_u32 s30, -8
	v_add3_u32 v4, v7, v3, v8
	s_cbranch_scc1 .LBB44_57
; %bb.56:                               ;   in Loop: Header=BB44_23 Depth=2
	v_mov_b32_e32 v7, v23
	v_mov_b32_e32 v8, v24
	s_branch .LBB44_23
.LBB44_57:                              ;   in Loop: Header=BB44_3 Depth=1
	s_load_dword s16, s[2:3], 0x4
	s_waitcnt lgkmcnt(0)
	v_cmp_gt_i32_e32 vcc, s16, v26
	s_and_b64 exec, exec, vcc
	s_cbranch_execz .LBB44_2
; %bb.58:                               ;   in Loop: Header=BB44_3 Depth=1
	v_ashrrev_i32_e32 v7, 31, v6
	v_cmp_lt_i64_e32 vcc, s[8:9], v[6:7]
	s_and_saveexec_b64 s[0:1], vcc
	s_cbranch_execz .LBB44_60
; %bb.59:                               ;   in Loop: Header=BB44_3 Depth=1
	v_ashrrev_i32_e32 v5, 31, v4
	v_lshlrev_b64 v[5:6], 1, v[4:5]
	v_mov_b32_e32 v3, s13
	v_add_co_u32_e32 v5, vcc, s12, v5
	v_addc_co_u32_e32 v6, vcc, v3, v6, vcc
	global_store_short v[5:6], v2, off
.LBB44_60:                              ;   in Loop: Header=BB44_3 Depth=1
	s_or_b64 exec, exec, s[0:1]
	v_add_u32_e32 v3, 1, v26
	v_cmp_gt_i32_e32 vcc, s16, v3
	s_and_b64 exec, exec, vcc
	s_cbranch_execz .LBB44_2
; %bb.61:                               ;   in Loop: Header=BB44_3 Depth=1
	v_sub_u32_e32 v5, v3, v25
	v_ashrrev_i32_e32 v6, 31, v5
	v_cmp_lt_i64_e32 vcc, s[8:9], v[5:6]
	s_and_saveexec_b64 s[0:1], vcc
	s_cbranch_execz .LBB44_63
; %bb.62:                               ;   in Loop: Header=BB44_3 Depth=1
	v_add_u32_e32 v5, s29, v4
	v_ashrrev_i32_e32 v6, 31, v5
	v_lshlrev_b64 v[5:6], 1, v[5:6]
	v_mov_b32_e32 v3, s13
	v_add_co_u32_e32 v5, vcc, s12, v5
	v_addc_co_u32_e32 v6, vcc, v3, v6, vcc
	global_store_short v[5:6], v2, off
.LBB44_63:                              ;   in Loop: Header=BB44_3 Depth=1
	s_or_b64 exec, exec, s[0:1]
	v_add_u32_e32 v3, 2, v26
	v_cmp_gt_i32_e32 vcc, s16, v3
	s_and_b64 exec, exec, vcc
	s_cbranch_execz .LBB44_2
; %bb.64:                               ;   in Loop: Header=BB44_3 Depth=1
	v_sub_u32_e32 v5, v3, v25
	v_ashrrev_i32_e32 v6, 31, v5
	v_cmp_lt_i64_e32 vcc, s[8:9], v[5:6]
	s_and_saveexec_b64 s[0:1], vcc
	s_cbranch_execz .LBB44_66
; %bb.65:                               ;   in Loop: Header=BB44_3 Depth=1
	v_lshl_add_u32 v5, s29, 1, v4
	v_ashrrev_i32_e32 v6, 31, v5
	v_lshlrev_b64 v[5:6], 1, v[5:6]
	v_mov_b32_e32 v3, s13
	v_add_co_u32_e32 v5, vcc, s12, v5
	v_addc_co_u32_e32 v6, vcc, v3, v6, vcc
	global_store_short v[5:6], v2, off
.LBB44_66:                              ;   in Loop: Header=BB44_3 Depth=1
	s_or_b64 exec, exec, s[0:1]
	v_add_u32_e32 v3, 3, v26
	v_cmp_gt_i32_e32 vcc, s16, v3
	s_and_b64 exec, exec, vcc
	s_cbranch_execz .LBB44_2
; %bb.67:                               ;   in Loop: Header=BB44_3 Depth=1
	v_sub_u32_e32 v5, v3, v25
	v_ashrrev_i32_e32 v6, 31, v5
	v_cmp_lt_i64_e32 vcc, s[8:9], v[5:6]
	s_and_b64 exec, exec, vcc
	s_cbranch_execz .LBB44_2
; %bb.68:                               ;   in Loop: Header=BB44_3 Depth=1
	v_mad_u64_u32 v[3:4], s[0:1], s29, 3, v[4:5]
	v_mov_b32_e32 v5, s13
	v_ashrrev_i32_e32 v4, 31, v3
	v_lshlrev_b64 v[3:4], 1, v[3:4]
	v_add_co_u32_e32 v3, vcc, s12, v3
	v_addc_co_u32_e32 v4, vcc, v5, v4, vcc
	global_store_short v[3:4], v2, off
	s_branch .LBB44_2
.LBB44_69:
	s_endpgm
	.section	.rodata,"a",@progbits
	.p2align	6, 0x0
	.amdhsa_kernel _ZN2at6native16triu_tril_kernelIN3c108BFloat16EiLb0ELi4ELb1EEEvNS_4cuda6detail10TensorInfoIT_T0_EENS6_IKS7_S8_EEllS8_
		.amdhsa_group_segment_fixed_size 0
		.amdhsa_private_segment_fixed_size 0
		.amdhsa_kernarg_size 712
		.amdhsa_user_sgpr_count 6
		.amdhsa_user_sgpr_private_segment_buffer 1
		.amdhsa_user_sgpr_dispatch_ptr 0
		.amdhsa_user_sgpr_queue_ptr 0
		.amdhsa_user_sgpr_kernarg_segment_ptr 1
		.amdhsa_user_sgpr_dispatch_id 0
		.amdhsa_user_sgpr_flat_scratch_init 0
		.amdhsa_user_sgpr_private_segment_size 0
		.amdhsa_uses_dynamic_stack 0
		.amdhsa_system_sgpr_private_segment_wavefront_offset 0
		.amdhsa_system_sgpr_workgroup_id_x 1
		.amdhsa_system_sgpr_workgroup_id_y 0
		.amdhsa_system_sgpr_workgroup_id_z 0
		.amdhsa_system_sgpr_workgroup_info 0
		.amdhsa_system_vgpr_workitem_id 0
		.amdhsa_next_free_vgpr 29
		.amdhsa_next_free_sgpr 68
		.amdhsa_reserve_vcc 1
		.amdhsa_reserve_flat_scratch 0
		.amdhsa_float_round_mode_32 0
		.amdhsa_float_round_mode_16_64 0
		.amdhsa_float_denorm_mode_32 3
		.amdhsa_float_denorm_mode_16_64 3
		.amdhsa_dx10_clamp 1
		.amdhsa_ieee_mode 1
		.amdhsa_fp16_overflow 0
		.amdhsa_exception_fp_ieee_invalid_op 0
		.amdhsa_exception_fp_denorm_src 0
		.amdhsa_exception_fp_ieee_div_zero 0
		.amdhsa_exception_fp_ieee_overflow 0
		.amdhsa_exception_fp_ieee_underflow 0
		.amdhsa_exception_fp_ieee_inexact 0
		.amdhsa_exception_int_div_zero 0
	.end_amdhsa_kernel
	.section	.text._ZN2at6native16triu_tril_kernelIN3c108BFloat16EiLb0ELi4ELb1EEEvNS_4cuda6detail10TensorInfoIT_T0_EENS6_IKS7_S8_EEllS8_,"axG",@progbits,_ZN2at6native16triu_tril_kernelIN3c108BFloat16EiLb0ELi4ELb1EEEvNS_4cuda6detail10TensorInfoIT_T0_EENS6_IKS7_S8_EEllS8_,comdat
.Lfunc_end44:
	.size	_ZN2at6native16triu_tril_kernelIN3c108BFloat16EiLb0ELi4ELb1EEEvNS_4cuda6detail10TensorInfoIT_T0_EENS6_IKS7_S8_EEllS8_, .Lfunc_end44-_ZN2at6native16triu_tril_kernelIN3c108BFloat16EiLb0ELi4ELb1EEEvNS_4cuda6detail10TensorInfoIT_T0_EENS6_IKS7_S8_EEllS8_
                                        ; -- End function
	.set _ZN2at6native16triu_tril_kernelIN3c108BFloat16EiLb0ELi4ELb1EEEvNS_4cuda6detail10TensorInfoIT_T0_EENS6_IKS7_S8_EEllS8_.num_vgpr, 29
	.set _ZN2at6native16triu_tril_kernelIN3c108BFloat16EiLb0ELi4ELb1EEEvNS_4cuda6detail10TensorInfoIT_T0_EENS6_IKS7_S8_EEllS8_.num_agpr, 0
	.set _ZN2at6native16triu_tril_kernelIN3c108BFloat16EiLb0ELi4ELb1EEEvNS_4cuda6detail10TensorInfoIT_T0_EENS6_IKS7_S8_EEllS8_.numbered_sgpr, 68
	.set _ZN2at6native16triu_tril_kernelIN3c108BFloat16EiLb0ELi4ELb1EEEvNS_4cuda6detail10TensorInfoIT_T0_EENS6_IKS7_S8_EEllS8_.num_named_barrier, 0
	.set _ZN2at6native16triu_tril_kernelIN3c108BFloat16EiLb0ELi4ELb1EEEvNS_4cuda6detail10TensorInfoIT_T0_EENS6_IKS7_S8_EEllS8_.private_seg_size, 0
	.set _ZN2at6native16triu_tril_kernelIN3c108BFloat16EiLb0ELi4ELb1EEEvNS_4cuda6detail10TensorInfoIT_T0_EENS6_IKS7_S8_EEllS8_.uses_vcc, 1
	.set _ZN2at6native16triu_tril_kernelIN3c108BFloat16EiLb0ELi4ELb1EEEvNS_4cuda6detail10TensorInfoIT_T0_EENS6_IKS7_S8_EEllS8_.uses_flat_scratch, 0
	.set _ZN2at6native16triu_tril_kernelIN3c108BFloat16EiLb0ELi4ELb1EEEvNS_4cuda6detail10TensorInfoIT_T0_EENS6_IKS7_S8_EEllS8_.has_dyn_sized_stack, 0
	.set _ZN2at6native16triu_tril_kernelIN3c108BFloat16EiLb0ELi4ELb1EEEvNS_4cuda6detail10TensorInfoIT_T0_EENS6_IKS7_S8_EEllS8_.has_recursion, 0
	.set _ZN2at6native16triu_tril_kernelIN3c108BFloat16EiLb0ELi4ELb1EEEvNS_4cuda6detail10TensorInfoIT_T0_EENS6_IKS7_S8_EEllS8_.has_indirect_call, 0
	.section	.AMDGPU.csdata,"",@progbits
; Kernel info:
; codeLenInByte = 9500
; TotalNumSgprs: 72
; NumVgprs: 29
; ScratchSize: 0
; MemoryBound: 0
; FloatMode: 240
; IeeeMode: 1
; LDSByteSize: 0 bytes/workgroup (compile time only)
; SGPRBlocks: 8
; VGPRBlocks: 7
; NumSGPRsForWavesPerEU: 72
; NumVGPRsForWavesPerEU: 29
; Occupancy: 8
; WaveLimiterHint : 0
; COMPUTE_PGM_RSRC2:SCRATCH_EN: 0
; COMPUTE_PGM_RSRC2:USER_SGPR: 6
; COMPUTE_PGM_RSRC2:TRAP_HANDLER: 0
; COMPUTE_PGM_RSRC2:TGID_X_EN: 1
; COMPUTE_PGM_RSRC2:TGID_Y_EN: 0
; COMPUTE_PGM_RSRC2:TGID_Z_EN: 0
; COMPUTE_PGM_RSRC2:TIDIG_COMP_CNT: 0
	.section	.text._ZN2at6native16triu_tril_kernelIN3c108BFloat16EiLb0ELi4ELb0EEEvNS_4cuda6detail10TensorInfoIT_T0_EENS6_IKS7_S8_EEllS8_,"axG",@progbits,_ZN2at6native16triu_tril_kernelIN3c108BFloat16EiLb0ELi4ELb0EEEvNS_4cuda6detail10TensorInfoIT_T0_EENS6_IKS7_S8_EEllS8_,comdat
	.protected	_ZN2at6native16triu_tril_kernelIN3c108BFloat16EiLb0ELi4ELb0EEEvNS_4cuda6detail10TensorInfoIT_T0_EENS6_IKS7_S8_EEllS8_ ; -- Begin function _ZN2at6native16triu_tril_kernelIN3c108BFloat16EiLb0ELi4ELb0EEEvNS_4cuda6detail10TensorInfoIT_T0_EENS6_IKS7_S8_EEllS8_
	.globl	_ZN2at6native16triu_tril_kernelIN3c108BFloat16EiLb0ELi4ELb0EEEvNS_4cuda6detail10TensorInfoIT_T0_EENS6_IKS7_S8_EEllS8_
	.p2align	8
	.type	_ZN2at6native16triu_tril_kernelIN3c108BFloat16EiLb0ELi4ELb0EEEvNS_4cuda6detail10TensorInfoIT_T0_EENS6_IKS7_S8_EEllS8_,@function
_ZN2at6native16triu_tril_kernelIN3c108BFloat16EiLb0ELi4ELb0EEEvNS_4cuda6detail10TensorInfoIT_T0_EENS6_IKS7_S8_EEllS8_: ; @_ZN2at6native16triu_tril_kernelIN3c108BFloat16EiLb0ELi4ELb0EEEvNS_4cuda6detail10TensorInfoIT_T0_EENS6_IKS7_S8_EEllS8_
; %bb.0:
	s_load_dword s2, s[4:5], 0x1d4
	s_load_dwordx4 s[8:11], s[4:5], 0x1b0
	s_add_u32 s0, s4, 0x1c8
	v_mov_b32_e32 v2, 0
	s_addc_u32 s1, s5, 0
	s_waitcnt lgkmcnt(0)
	s_and_b32 s12, s2, 0xffff
	v_mov_b32_e32 v1, v2
	v_mov_b32_e32 v3, s6
	v_mad_u64_u32 v[0:1], s[2:3], s12, v3, v[0:1]
	v_lshlrev_b64 v[0:1], 2, v[0:1]
	v_cmp_gt_i64_e32 vcc, s[10:11], v[0:1]
	s_and_saveexec_b64 s[2:3], vcc
	s_cbranch_execz .LBB45_54
; %bb.1:
	s_load_dword s33, s[4:5], 0x1c0
	s_load_dwordx2 s[2:3], s[4:5], 0xd8
	s_load_dwordx2 s[18:19], s[4:5], 0x0
	s_load_dword s20, s[4:5], 0x1a8
	s_load_dword s13, s[0:1], 0x0
	s_add_u32 s46, s4, 0xd8
	s_addc_u32 s47, s5, 0
	s_waitcnt lgkmcnt(0)
	s_ashr_i32 s48, s33, 31
	s_ashr_i32 s21, s20, 31
	s_lshl_b64 s[0:1], s[20:21], 2
	s_add_u32 s16, s46, s0
	s_addc_u32 s17, s47, s1
	s_load_dwordx2 s[6:7], s[16:17], 0x0
	s_load_dwordx2 s[14:15], s[16:17], 0x64
	s_mul_i32 s22, s13, s12
	v_cmp_gt_i64_e64 s[12:13], s[20:21], 2
	s_mov_b32 s21, 0
	s_waitcnt lgkmcnt(0)
	s_ashr_i32 s49, s6, 31
	s_add_u32 s0, s4, s0
	s_addc_u32 s1, s5, s1
	s_load_dwordx2 s[16:17], s[0:1], 0x64
	s_add_i32 s50, s20, -3
	s_lshl_b32 s51, s22, 2
	s_and_b32 s52, s20, 3
	s_cmp_lg_u32 s52, 2
	s_cselect_b64 s[22:23], -1, 0
	s_cmp_gt_u32 s50, 2
	s_cselect_b64 s[24:25], -1, 0
	s_ashr_i32 s27, s15, 31
	s_mov_b32 s26, s15
	s_add_i32 s15, s15, s15
	s_waitcnt lgkmcnt(0)
	s_ashr_i32 s29, s17, 31
	s_mov_b32 s28, s17
	s_add_i32 s17, s17, s17
	s_mov_b64 s[30:31], 0
	s_ashr_i32 s34, s48, 31
	s_branch .LBB45_3
.LBB45_2:                               ;   in Loop: Header=BB45_3 Depth=1
	s_or_b64 exec, exec, s[0:1]
	v_add_co_u32_e32 v0, vcc, s51, v0
	v_addc_co_u32_e32 v1, vcc, 0, v1, vcc
	v_cmp_le_i64_e32 vcc, s[10:11], v[0:1]
	s_or_b64 s[30:31], vcc, s[30:31]
	s_andn2_b64 exec, exec, s[30:31]
	s_cbranch_execz .LBB45_54
.LBB45_3:                               ; =>This Loop Header: Depth=1
                                        ;     Child Loop BB45_13 Depth 2
                                        ;     Child Loop BB45_21 Depth 2
	v_or_b32_e32 v3, s48, v1
	v_cmp_ne_u64_e32 vcc, 0, v[2:3]
                                        ; implicit-def: $vgpr4_vgpr5
	s_and_saveexec_b64 s[0:1], vcc
	s_xor_b64 s[36:37], exec, s[0:1]
	s_cbranch_execz .LBB45_5
; %bb.4:                                ;   in Loop: Header=BB45_3 Depth=1
	s_add_u32 s0, s33, s34
	s_mov_b32 s35, s34
	s_addc_u32 s1, s48, s34
	s_xor_b64 s[38:39], s[0:1], s[34:35]
	v_cvt_f32_u32_e32 v3, s38
	v_cvt_f32_u32_e32 v4, s39
	s_sub_u32 s20, 0, s38
	s_subb_u32 s35, 0, s39
	v_ashrrev_i32_e32 v7, 31, v1
	v_mac_f32_e32 v3, 0x4f800000, v4
	v_rcp_f32_e32 v3, v3
	v_mul_f32_e32 v3, 0x5f7ffffc, v3
	v_mul_f32_e32 v4, 0x2f800000, v3
	v_trunc_f32_e32 v4, v4
	v_mac_f32_e32 v3, 0xcf800000, v4
	v_cvt_u32_f32_e32 v4, v4
	v_cvt_u32_f32_e32 v3, v3
	v_readfirstlane_b32 s40, v4
	v_readfirstlane_b32 s0, v3
	s_mul_i32 s1, s20, s40
	s_mul_hi_u32 s42, s20, s0
	s_mul_i32 s41, s35, s0
	s_add_i32 s1, s42, s1
	s_add_i32 s1, s1, s41
	s_mul_i32 s43, s20, s0
	s_mul_i32 s42, s0, s1
	s_mul_hi_u32 s44, s0, s43
	s_mul_hi_u32 s41, s0, s1
	s_add_u32 s42, s44, s42
	s_addc_u32 s41, 0, s41
	s_mul_hi_u32 s45, s40, s43
	s_mul_i32 s43, s40, s43
	s_add_u32 s42, s42, s43
	s_mul_hi_u32 s44, s40, s1
	s_addc_u32 s41, s41, s45
	s_addc_u32 s42, s44, 0
	s_mul_i32 s1, s40, s1
	s_add_u32 s1, s41, s1
	s_addc_u32 s41, 0, s42
	s_add_u32 s42, s0, s1
	s_cselect_b64 s[0:1], -1, 0
	s_cmp_lg_u64 s[0:1], 0
	s_addc_u32 s40, s40, s41
	s_mul_i32 s0, s20, s40
	s_mul_hi_u32 s1, s20, s42
	s_add_i32 s0, s1, s0
	s_mul_i32 s35, s35, s42
	s_add_i32 s0, s0, s35
	s_mul_i32 s20, s20, s42
	s_mul_hi_u32 s35, s40, s20
	s_mul_i32 s41, s40, s20
	s_mul_i32 s44, s42, s0
	s_mul_hi_u32 s20, s42, s20
	s_mul_hi_u32 s43, s42, s0
	s_add_u32 s20, s20, s44
	s_addc_u32 s43, 0, s43
	s_add_u32 s20, s20, s41
	s_mul_hi_u32 s1, s40, s0
	s_addc_u32 s20, s43, s35
	s_addc_u32 s1, s1, 0
	s_mul_i32 s0, s40, s0
	s_add_u32 s0, s20, s0
	s_addc_u32 s20, 0, s1
	s_add_u32 s35, s42, s0
	s_cselect_b64 s[0:1], -1, 0
	s_cmp_lg_u64 s[0:1], 0
	v_add_co_u32_e32 v3, vcc, v0, v7
	s_addc_u32 s20, s40, s20
	v_xor_b32_e32 v8, v3, v7
	v_mad_u64_u32 v[3:4], s[0:1], v8, s20, 0
	v_mul_hi_u32 v6, v8, s35
	v_addc_co_u32_e32 v5, vcc, v1, v7, vcc
	v_xor_b32_e32 v9, v5, v7
	v_add_co_u32_e32 v10, vcc, v6, v3
	v_addc_co_u32_e32 v11, vcc, 0, v4, vcc
	v_mad_u64_u32 v[3:4], s[0:1], v9, s35, 0
	v_mad_u64_u32 v[5:6], s[0:1], v9, s20, 0
	v_add_co_u32_e32 v3, vcc, v10, v3
	v_addc_co_u32_e32 v3, vcc, v11, v4, vcc
	v_addc_co_u32_e32 v4, vcc, 0, v6, vcc
	v_add_co_u32_e32 v5, vcc, v3, v5
	v_addc_co_u32_e32 v6, vcc, 0, v4, vcc
	v_mul_lo_u32 v10, s39, v5
	v_mul_lo_u32 v11, s38, v6
	v_mad_u64_u32 v[3:4], s[0:1], s38, v5, 0
	v_add3_u32 v4, v4, v11, v10
	v_sub_u32_e32 v10, v9, v4
	v_mov_b32_e32 v11, s39
	v_sub_co_u32_e32 v3, vcc, v8, v3
	v_subb_co_u32_e64 v8, s[0:1], v10, v11, vcc
	v_subrev_co_u32_e64 v10, s[0:1], s38, v3
	v_subbrev_co_u32_e64 v8, s[0:1], 0, v8, s[0:1]
	v_cmp_le_u32_e64 s[0:1], s39, v8
	v_cndmask_b32_e64 v11, 0, -1, s[0:1]
	v_cmp_le_u32_e64 s[0:1], s38, v10
	v_cndmask_b32_e64 v10, 0, -1, s[0:1]
	v_cmp_eq_u32_e64 s[0:1], s39, v8
	v_cndmask_b32_e64 v8, v11, v10, s[0:1]
	v_add_co_u32_e64 v10, s[0:1], 2, v5
	v_subb_co_u32_e32 v4, vcc, v9, v4, vcc
	v_addc_co_u32_e64 v11, s[0:1], 0, v6, s[0:1]
	v_cmp_le_u32_e32 vcc, s39, v4
	v_add_co_u32_e64 v12, s[0:1], 1, v5
	v_cndmask_b32_e64 v9, 0, -1, vcc
	v_cmp_le_u32_e32 vcc, s38, v3
	v_addc_co_u32_e64 v13, s[0:1], 0, v6, s[0:1]
	v_cndmask_b32_e64 v3, 0, -1, vcc
	v_cmp_eq_u32_e32 vcc, s39, v4
	v_cmp_ne_u32_e64 s[0:1], 0, v8
	v_cndmask_b32_e32 v3, v9, v3, vcc
	v_cmp_ne_u32_e32 vcc, 0, v3
	v_cndmask_b32_e64 v4, v12, v10, s[0:1]
	v_cndmask_b32_e64 v8, v13, v11, s[0:1]
	v_cndmask_b32_e32 v4, v5, v4, vcc
	v_xor_b32_e32 v5, s34, v7
	v_cndmask_b32_e32 v3, v6, v8, vcc
	v_xor_b32_e32 v4, v4, v5
	v_xor_b32_e32 v3, v3, v5
	v_sub_co_u32_e32 v4, vcc, v4, v5
	v_subb_co_u32_e32 v5, vcc, v3, v5, vcc
.LBB45_5:                               ;   in Loop: Header=BB45_3 Depth=1
	s_andn2_saveexec_b64 s[0:1], s[36:37]
	s_cbranch_execz .LBB45_7
; %bb.6:                                ;   in Loop: Header=BB45_3 Depth=1
	v_cvt_f32_u32_e32 v3, s33
	s_sub_i32 s20, 0, s33
	v_rcp_iflag_f32_e32 v3, v3
	v_mul_f32_e32 v3, 0x4f7ffffe, v3
	v_cvt_u32_f32_e32 v3, v3
	v_mul_lo_u32 v4, s20, v3
	v_mul_hi_u32 v4, v3, v4
	v_add_u32_e32 v3, v3, v4
	v_mul_hi_u32 v3, v0, v3
	v_mul_lo_u32 v4, v3, s33
	v_add_u32_e32 v5, 1, v3
	v_sub_u32_e32 v4, v0, v4
	v_subrev_u32_e32 v6, s33, v4
	v_cmp_le_u32_e32 vcc, s33, v4
	v_cndmask_b32_e32 v4, v4, v6, vcc
	v_cndmask_b32_e32 v3, v3, v5, vcc
	v_add_u32_e32 v5, 1, v3
	v_cmp_le_u32_e32 vcc, s33, v4
	v_cndmask_b32_e32 v4, v3, v5, vcc
	v_mov_b32_e32 v5, v2
.LBB45_7:                               ;   in Loop: Header=BB45_3 Depth=1
	s_or_b64 exec, exec, s[0:1]
	v_or_b32_e32 v3, s49, v5
	v_cmp_ne_u64_e32 vcc, 0, v[2:3]
                                        ; implicit-def: $vgpr8_vgpr9
	s_and_saveexec_b64 s[0:1], vcc
	s_xor_b64 s[36:37], exec, s[0:1]
	s_cbranch_execz .LBB45_9
; %bb.8:                                ;   in Loop: Header=BB45_3 Depth=1
	s_ashr_i32 s38, s49, 31
	s_add_u32 s0, s6, s38
	s_mov_b32 s39, s38
	s_addc_u32 s1, s49, s38
	s_xor_b64 s[40:41], s[0:1], s[38:39]
	v_cvt_f32_u32_e32 v3, s40
	v_cvt_f32_u32_e32 v6, s41
	s_sub_u32 s20, 0, s40
	s_subb_u32 s35, 0, s41
	v_mac_f32_e32 v3, 0x4f800000, v6
	v_rcp_f32_e32 v3, v3
	v_mul_f32_e32 v3, 0x5f7ffffc, v3
	v_mul_f32_e32 v6, 0x2f800000, v3
	v_trunc_f32_e32 v6, v6
	v_mac_f32_e32 v3, 0xcf800000, v6
	v_cvt_u32_f32_e32 v6, v6
	v_cvt_u32_f32_e32 v3, v3
	v_readfirstlane_b32 s39, v6
	v_readfirstlane_b32 s0, v3
	s_mul_i32 s1, s20, s39
	s_mul_hi_u32 s43, s20, s0
	s_mul_i32 s42, s35, s0
	s_add_i32 s1, s43, s1
	s_add_i32 s1, s1, s42
	s_mul_i32 s44, s20, s0
	s_mul_i32 s43, s0, s1
	s_mul_hi_u32 s45, s0, s44
	s_mul_hi_u32 s42, s0, s1
	s_add_u32 s43, s45, s43
	s_addc_u32 s42, 0, s42
	s_mul_hi_u32 s53, s39, s44
	s_mul_i32 s44, s39, s44
	s_add_u32 s43, s43, s44
	s_mul_hi_u32 s45, s39, s1
	s_addc_u32 s42, s42, s53
	s_addc_u32 s43, s45, 0
	s_mul_i32 s1, s39, s1
	s_add_u32 s1, s42, s1
	s_addc_u32 s42, 0, s43
	s_add_u32 s43, s0, s1
	s_cselect_b64 s[0:1], -1, 0
	s_cmp_lg_u64 s[0:1], 0
	s_addc_u32 s39, s39, s42
	s_mul_i32 s0, s20, s39
	s_mul_hi_u32 s1, s20, s43
	s_add_i32 s0, s1, s0
	s_mul_i32 s35, s35, s43
	s_add_i32 s0, s0, s35
	s_mul_i32 s20, s20, s43
	s_mul_hi_u32 s35, s39, s20
	s_mul_i32 s42, s39, s20
	s_mul_i32 s45, s43, s0
	s_mul_hi_u32 s20, s43, s20
	s_mul_hi_u32 s44, s43, s0
	s_add_u32 s20, s20, s45
	s_addc_u32 s44, 0, s44
	s_add_u32 s20, s20, s42
	s_mul_hi_u32 s1, s39, s0
	s_addc_u32 s20, s44, s35
	s_addc_u32 s1, s1, 0
	s_mul_i32 s0, s39, s0
	s_add_u32 s0, s20, s0
	s_addc_u32 s20, 0, s1
	s_add_u32 s35, s43, s0
	s_cselect_b64 s[0:1], -1, 0
	v_ashrrev_i32_e32 v3, 31, v5
	s_cmp_lg_u64 s[0:1], 0
	v_add_co_u32_e32 v6, vcc, v4, v3
	s_addc_u32 s20, s39, s20
	v_xor_b32_e32 v9, v6, v3
	v_addc_co_u32_e32 v7, vcc, v5, v3, vcc
	v_mad_u64_u32 v[5:6], s[0:1], v9, s20, 0
	v_mul_hi_u32 v8, v9, s35
	v_xor_b32_e32 v10, v7, v3
	v_xor_b32_e32 v3, s38, v3
	v_add_co_u32_e32 v11, vcc, v8, v5
	v_addc_co_u32_e32 v12, vcc, 0, v6, vcc
	v_mad_u64_u32 v[5:6], s[0:1], v10, s35, 0
	v_mad_u64_u32 v[7:8], s[0:1], v10, s20, 0
	v_add_co_u32_e32 v5, vcc, v11, v5
	v_addc_co_u32_e32 v5, vcc, v12, v6, vcc
	v_addc_co_u32_e32 v6, vcc, 0, v8, vcc
	v_add_co_u32_e32 v7, vcc, v5, v7
	v_addc_co_u32_e32 v8, vcc, 0, v6, vcc
	v_mul_lo_u32 v11, s41, v7
	v_mul_lo_u32 v12, s40, v8
	v_mad_u64_u32 v[5:6], s[0:1], s40, v7, 0
	v_add3_u32 v6, v6, v12, v11
	v_sub_u32_e32 v11, v10, v6
	v_mov_b32_e32 v12, s41
	v_sub_co_u32_e32 v5, vcc, v9, v5
	v_subb_co_u32_e64 v9, s[0:1], v11, v12, vcc
	v_subrev_co_u32_e64 v11, s[0:1], s40, v5
	v_subbrev_co_u32_e64 v9, s[0:1], 0, v9, s[0:1]
	v_cmp_le_u32_e64 s[0:1], s41, v9
	v_cndmask_b32_e64 v12, 0, -1, s[0:1]
	v_cmp_le_u32_e64 s[0:1], s40, v11
	v_cndmask_b32_e64 v11, 0, -1, s[0:1]
	v_cmp_eq_u32_e64 s[0:1], s41, v9
	v_cndmask_b32_e64 v9, v12, v11, s[0:1]
	v_add_co_u32_e64 v11, s[0:1], 2, v7
	v_subb_co_u32_e32 v6, vcc, v10, v6, vcc
	v_addc_co_u32_e64 v12, s[0:1], 0, v8, s[0:1]
	v_cmp_le_u32_e32 vcc, s41, v6
	v_add_co_u32_e64 v13, s[0:1], 1, v7
	v_cndmask_b32_e64 v10, 0, -1, vcc
	v_cmp_le_u32_e32 vcc, s40, v5
	v_addc_co_u32_e64 v14, s[0:1], 0, v8, s[0:1]
	v_cndmask_b32_e64 v5, 0, -1, vcc
	v_cmp_eq_u32_e32 vcc, s41, v6
	v_cmp_ne_u32_e64 s[0:1], 0, v9
	v_cndmask_b32_e32 v5, v10, v5, vcc
	v_cmp_ne_u32_e32 vcc, 0, v5
	v_cndmask_b32_e64 v6, v13, v11, s[0:1]
	v_cndmask_b32_e64 v9, v14, v12, s[0:1]
	v_cndmask_b32_e32 v6, v7, v6, vcc
	v_cndmask_b32_e32 v5, v8, v9, vcc
	v_xor_b32_e32 v6, v6, v3
	v_xor_b32_e32 v5, v5, v3
	v_sub_co_u32_e32 v8, vcc, v6, v3
	v_subb_co_u32_e32 v9, vcc, v5, v3, vcc
.LBB45_9:                               ;   in Loop: Header=BB45_3 Depth=1
	s_andn2_saveexec_b64 s[0:1], s[36:37]
	s_cbranch_execz .LBB45_11
; %bb.10:                               ;   in Loop: Header=BB45_3 Depth=1
	v_cvt_f32_u32_e32 v3, s6
	s_sub_i32 s20, 0, s6
	v_mov_b32_e32 v9, v2
	v_rcp_iflag_f32_e32 v3, v3
	v_mul_f32_e32 v3, 0x4f7ffffe, v3
	v_cvt_u32_f32_e32 v3, v3
	v_mul_lo_u32 v5, s20, v3
	v_mul_hi_u32 v5, v3, v5
	v_add_u32_e32 v3, v3, v5
	v_mul_hi_u32 v3, v4, v3
	v_mul_lo_u32 v5, v3, s6
	v_add_u32_e32 v6, 1, v3
	v_sub_u32_e32 v5, v4, v5
	v_subrev_u32_e32 v7, s6, v5
	v_cmp_le_u32_e32 vcc, s6, v5
	v_cndmask_b32_e32 v5, v5, v7, vcc
	v_cndmask_b32_e32 v3, v3, v6, vcc
	v_add_u32_e32 v6, 1, v3
	v_cmp_le_u32_e32 vcc, s6, v5
	v_cndmask_b32_e32 v8, v3, v6, vcc
.LBB45_11:                              ;   in Loop: Header=BB45_3 Depth=1
	s_or_b64 exec, exec, s[0:1]
	v_mad_u64_u32 v[5:6], s[0:1], v4, s33, 0
	v_mad_u64_u32 v[6:7], s[0:1], v8, s6, 0
	v_sub_co_u32_e32 v18, vcc, v0, v5
	v_mul_lo_u32 v3, s26, v18
	v_sub_co_u32_e32 v19, vcc, v4, v6
	v_mul_lo_u32 v4, s28, v18
	s_andn2_b64 vcc, exec, s[12:13]
	v_mad_u64_u32 v[6:7], s[0:1], s14, v19, v[3:4]
	v_mad_u64_u32 v[4:5], s[0:1], s16, v19, v[4:5]
	s_cbranch_vccnz .LBB45_39
; %bb.12:                               ;   in Loop: Header=BB45_3 Depth=1
	s_mov_b32 s35, 1
	s_andn2_b64 vcc, exec, s[22:23]
	s_mov_b32 s20, s50
	s_mov_b32 s0, s50
	s_cbranch_vccnz .LBB45_20
.LBB45_13:                              ;   Parent Loop BB45_3 Depth=1
                                        ; =>  This Inner Loop Header: Depth=2
	s_lshl_b64 s[36:37], s[20:21], 2
	s_add_u32 s38, s46, s36
	s_addc_u32 s39, s47, s37
	s_load_dword s53, s[38:39], 0x8
                                        ; implicit-def: $vgpr10_vgpr11
	s_waitcnt lgkmcnt(0)
	s_ashr_i32 s0, s53, 31
	v_or_b32_e32 v3, s0, v9
	v_cmp_ne_u64_e32 vcc, 0, v[2:3]
	s_and_saveexec_b64 s[40:41], vcc
	s_xor_b64 s[40:41], exec, s[40:41]
	s_cbranch_execz .LBB45_15
; %bb.14:                               ;   in Loop: Header=BB45_13 Depth=2
	s_ashr_i32 s42, s0, 31
	s_add_u32 s44, s53, s42
	s_mov_b32 s43, s42
	s_addc_u32 s45, s0, s42
	s_xor_b64 s[44:45], s[44:45], s[42:43]
	v_cvt_f32_u32_e32 v3, s44
	v_cvt_f32_u32_e32 v5, s45
	s_sub_u32 s43, 0, s44
	s_subb_u32 s54, 0, s45
	v_mac_f32_e32 v3, 0x4f800000, v5
	v_rcp_f32_e32 v3, v3
	v_mul_f32_e32 v3, 0x5f7ffffc, v3
	v_mul_f32_e32 v5, 0x2f800000, v3
	v_trunc_f32_e32 v5, v5
	v_mac_f32_e32 v3, 0xcf800000, v5
	v_cvt_u32_f32_e32 v5, v5
	v_cvt_u32_f32_e32 v3, v3
	v_readfirstlane_b32 s55, v5
	v_readfirstlane_b32 s0, v3
	s_mul_i32 s1, s43, s55
	s_mul_hi_u32 s57, s43, s0
	s_mul_i32 s56, s54, s0
	s_add_i32 s1, s57, s1
	s_add_i32 s1, s1, s56
	s_mul_i32 s58, s43, s0
	s_mul_i32 s57, s0, s1
	s_mul_hi_u32 s59, s0, s58
	s_mul_hi_u32 s56, s0, s1
	s_add_u32 s57, s59, s57
	s_addc_u32 s56, 0, s56
	s_mul_hi_u32 s60, s55, s58
	s_mul_i32 s58, s55, s58
	s_add_u32 s57, s57, s58
	s_mul_hi_u32 s59, s55, s1
	s_addc_u32 s56, s56, s60
	s_addc_u32 s57, s59, 0
	s_mul_i32 s1, s55, s1
	s_add_u32 s1, s56, s1
	s_addc_u32 s56, 0, s57
	s_add_u32 s57, s0, s1
	s_cselect_b64 s[0:1], -1, 0
	s_cmp_lg_u64 s[0:1], 0
	s_addc_u32 s55, s55, s56
	s_mul_i32 s0, s43, s55
	s_mul_hi_u32 s1, s43, s57
	s_add_i32 s0, s1, s0
	s_mul_i32 s54, s54, s57
	s_add_i32 s0, s0, s54
	s_mul_i32 s43, s43, s57
	s_mul_hi_u32 s54, s55, s43
	s_mul_i32 s56, s55, s43
	s_mul_i32 s59, s57, s0
	s_mul_hi_u32 s43, s57, s43
	s_mul_hi_u32 s58, s57, s0
	s_add_u32 s43, s43, s59
	s_addc_u32 s58, 0, s58
	s_add_u32 s43, s43, s56
	s_mul_hi_u32 s1, s55, s0
	s_addc_u32 s43, s58, s54
	s_addc_u32 s1, s1, 0
	s_mul_i32 s0, s55, s0
	s_add_u32 s0, s43, s0
	s_addc_u32 s43, 0, s1
	s_add_u32 s54, s57, s0
	s_cselect_b64 s[0:1], -1, 0
	v_ashrrev_i32_e32 v3, 31, v9
	s_cmp_lg_u64 s[0:1], 0
	v_add_co_u32_e32 v5, vcc, v8, v3
	s_addc_u32 s43, s55, s43
	v_xor_b32_e32 v5, v5, v3
	v_addc_co_u32_e32 v7, vcc, v9, v3, vcc
	v_mad_u64_u32 v[9:10], s[0:1], v5, s43, 0
	v_mul_hi_u32 v11, v5, s54
	v_xor_b32_e32 v7, v7, v3
	v_xor_b32_e32 v3, s42, v3
	v_add_co_u32_e32 v13, vcc, v11, v9
	v_addc_co_u32_e32 v14, vcc, 0, v10, vcc
	v_mad_u64_u32 v[9:10], s[0:1], v7, s54, 0
	v_mad_u64_u32 v[11:12], s[0:1], v7, s43, 0
	v_add_co_u32_e32 v9, vcc, v13, v9
	v_addc_co_u32_e32 v9, vcc, v14, v10, vcc
	v_addc_co_u32_e32 v10, vcc, 0, v12, vcc
	v_add_co_u32_e32 v11, vcc, v9, v11
	v_addc_co_u32_e32 v12, vcc, 0, v10, vcc
	v_mul_lo_u32 v13, s45, v11
	v_mul_lo_u32 v14, s44, v12
	v_mad_u64_u32 v[9:10], s[0:1], s44, v11, 0
	v_add3_u32 v10, v10, v14, v13
	v_sub_u32_e32 v13, v7, v10
	v_mov_b32_e32 v14, s45
	v_sub_co_u32_e32 v5, vcc, v5, v9
	v_subb_co_u32_e64 v9, s[0:1], v13, v14, vcc
	v_subrev_co_u32_e64 v13, s[0:1], s44, v5
	v_subbrev_co_u32_e64 v9, s[0:1], 0, v9, s[0:1]
	v_cmp_le_u32_e64 s[0:1], s45, v9
	v_cndmask_b32_e64 v14, 0, -1, s[0:1]
	v_cmp_le_u32_e64 s[0:1], s44, v13
	v_cndmask_b32_e64 v13, 0, -1, s[0:1]
	v_cmp_eq_u32_e64 s[0:1], s45, v9
	v_cndmask_b32_e64 v9, v14, v13, s[0:1]
	v_add_co_u32_e64 v13, s[0:1], 2, v11
	v_subb_co_u32_e32 v7, vcc, v7, v10, vcc
	v_addc_co_u32_e64 v14, s[0:1], 0, v12, s[0:1]
	v_cmp_le_u32_e32 vcc, s45, v7
	v_add_co_u32_e64 v15, s[0:1], 1, v11
	v_cndmask_b32_e64 v10, 0, -1, vcc
	v_cmp_le_u32_e32 vcc, s44, v5
	v_addc_co_u32_e64 v16, s[0:1], 0, v12, s[0:1]
	v_cndmask_b32_e64 v5, 0, -1, vcc
	v_cmp_eq_u32_e32 vcc, s45, v7
	v_cmp_ne_u32_e64 s[0:1], 0, v9
	v_cndmask_b32_e32 v5, v10, v5, vcc
	v_cmp_ne_u32_e32 vcc, 0, v5
	v_cndmask_b32_e64 v7, v15, v13, s[0:1]
	v_cndmask_b32_e64 v9, v16, v14, s[0:1]
	v_cndmask_b32_e32 v7, v11, v7, vcc
	v_cndmask_b32_e32 v5, v12, v9, vcc
	v_xor_b32_e32 v7, v7, v3
	v_xor_b32_e32 v5, v5, v3
	v_sub_co_u32_e32 v10, vcc, v7, v3
	v_subb_co_u32_e32 v11, vcc, v5, v3, vcc
.LBB45_15:                              ;   in Loop: Header=BB45_13 Depth=2
	s_andn2_saveexec_b64 s[0:1], s[40:41]
	s_cbranch_execz .LBB45_17
; %bb.16:                               ;   in Loop: Header=BB45_13 Depth=2
	v_cvt_f32_u32_e32 v3, s53
	s_sub_i32 s40, 0, s53
	v_mov_b32_e32 v11, v2
	v_rcp_iflag_f32_e32 v3, v3
	v_mul_f32_e32 v3, 0x4f7ffffe, v3
	v_cvt_u32_f32_e32 v3, v3
	v_mul_lo_u32 v5, s40, v3
	v_mul_hi_u32 v5, v3, v5
	v_add_u32_e32 v3, v3, v5
	v_mul_hi_u32 v3, v8, v3
	v_mul_lo_u32 v5, v3, s53
	v_add_u32_e32 v7, 1, v3
	v_sub_u32_e32 v5, v8, v5
	v_subrev_u32_e32 v9, s53, v5
	v_cmp_le_u32_e32 vcc, s53, v5
	v_cndmask_b32_e32 v5, v5, v9, vcc
	v_cndmask_b32_e32 v3, v3, v7, vcc
	v_add_u32_e32 v7, 1, v3
	v_cmp_le_u32_e32 vcc, s53, v5
	v_cndmask_b32_e32 v10, v3, v7, vcc
.LBB45_17:                              ;   in Loop: Header=BB45_13 Depth=2
	s_or_b64 exec, exec, s[0:1]
	s_add_u32 s0, s4, s36
	s_addc_u32 s1, s5, s37
	v_mul_lo_u32 v3, v10, s53
	s_load_dword s38, s[38:39], 0x6c
	s_add_i32 s20, s20, -1
	s_load_dword s36, s[0:1], 0x6c
	v_sub_u32_e32 v3, v8, v3
	s_waitcnt lgkmcnt(0)
	v_mad_u64_u32 v[6:7], s[0:1], s38, v3, v[6:7]
	v_mad_u64_u32 v[4:5], s[0:1], s36, v3, v[4:5]
	s_xor_b32 s0, s52, s35
	s_add_i32 s35, s35, 1
	s_cmp_lg_u32 s0, 2
	s_cbranch_scc0 .LBB45_19
; %bb.18:                               ;   in Loop: Header=BB45_13 Depth=2
	v_mov_b32_e32 v8, v10
	v_mov_b32_e32 v9, v11
	s_branch .LBB45_13
.LBB45_19:                              ;   in Loop: Header=BB45_3 Depth=1
	v_mov_b32_e32 v8, v10
	s_mov_b32 s0, s20
	v_mov_b32_e32 v9, v11
.LBB45_20:                              ;   in Loop: Header=BB45_3 Depth=1
	s_and_b64 vcc, exec, s[24:25]
	s_mov_b32 s20, s0
	s_cbranch_vccz .LBB45_39
.LBB45_21:                              ;   Parent Loop BB45_3 Depth=1
                                        ; =>  This Inner Loop Header: Depth=2
	s_lshl_b64 s[36:37], s[20:21], 2
	s_add_u32 s38, s46, s36
	s_addc_u32 s39, s47, s37
	s_load_dword s35, s[38:39], 0x8
                                        ; implicit-def: $vgpr10_vgpr11
	s_waitcnt lgkmcnt(0)
	s_ashr_i32 s0, s35, 31
	v_or_b32_e32 v3, s0, v9
	v_cmp_ne_u64_e32 vcc, 0, v[2:3]
	s_and_saveexec_b64 s[40:41], vcc
	s_xor_b64 s[40:41], exec, s[40:41]
	s_cbranch_execz .LBB45_23
; %bb.22:                               ;   in Loop: Header=BB45_21 Depth=2
	s_ashr_i32 s42, s0, 31
	s_add_u32 s44, s35, s42
	s_mov_b32 s43, s42
	s_addc_u32 s45, s0, s42
	s_xor_b64 s[44:45], s[44:45], s[42:43]
	v_cvt_f32_u32_e32 v3, s44
	v_cvt_f32_u32_e32 v5, s45
	s_sub_u32 s43, 0, s44
	s_subb_u32 s53, 0, s45
	v_mac_f32_e32 v3, 0x4f800000, v5
	v_rcp_f32_e32 v3, v3
	v_mul_f32_e32 v3, 0x5f7ffffc, v3
	v_mul_f32_e32 v5, 0x2f800000, v3
	v_trunc_f32_e32 v5, v5
	v_mac_f32_e32 v3, 0xcf800000, v5
	v_cvt_u32_f32_e32 v5, v5
	v_cvt_u32_f32_e32 v3, v3
	v_readfirstlane_b32 s54, v5
	v_readfirstlane_b32 s0, v3
	s_mul_i32 s1, s43, s54
	s_mul_hi_u32 s56, s43, s0
	s_mul_i32 s55, s53, s0
	s_add_i32 s1, s56, s1
	s_add_i32 s1, s1, s55
	s_mul_i32 s57, s43, s0
	s_mul_i32 s56, s0, s1
	s_mul_hi_u32 s58, s0, s57
	s_mul_hi_u32 s55, s0, s1
	s_add_u32 s56, s58, s56
	s_addc_u32 s55, 0, s55
	s_mul_hi_u32 s59, s54, s57
	s_mul_i32 s57, s54, s57
	s_add_u32 s56, s56, s57
	s_mul_hi_u32 s58, s54, s1
	s_addc_u32 s55, s55, s59
	s_addc_u32 s56, s58, 0
	s_mul_i32 s1, s54, s1
	s_add_u32 s1, s55, s1
	s_addc_u32 s55, 0, s56
	s_add_u32 s56, s0, s1
	s_cselect_b64 s[0:1], -1, 0
	s_cmp_lg_u64 s[0:1], 0
	s_addc_u32 s54, s54, s55
	s_mul_i32 s0, s43, s54
	s_mul_hi_u32 s1, s43, s56
	s_add_i32 s0, s1, s0
	s_mul_i32 s53, s53, s56
	s_add_i32 s0, s0, s53
	s_mul_i32 s43, s43, s56
	s_mul_hi_u32 s53, s54, s43
	s_mul_i32 s55, s54, s43
	s_mul_i32 s58, s56, s0
	s_mul_hi_u32 s43, s56, s43
	s_mul_hi_u32 s57, s56, s0
	s_add_u32 s43, s43, s58
	s_addc_u32 s57, 0, s57
	s_add_u32 s43, s43, s55
	s_mul_hi_u32 s1, s54, s0
	s_addc_u32 s43, s57, s53
	s_addc_u32 s1, s1, 0
	s_mul_i32 s0, s54, s0
	s_add_u32 s0, s43, s0
	s_addc_u32 s43, 0, s1
	s_add_u32 s53, s56, s0
	s_cselect_b64 s[0:1], -1, 0
	v_ashrrev_i32_e32 v3, 31, v9
	s_cmp_lg_u64 s[0:1], 0
	v_add_co_u32_e32 v5, vcc, v8, v3
	s_addc_u32 s43, s54, s43
	v_xor_b32_e32 v5, v5, v3
	v_addc_co_u32_e32 v7, vcc, v9, v3, vcc
	v_mad_u64_u32 v[9:10], s[0:1], v5, s43, 0
	v_mul_hi_u32 v11, v5, s53
	v_xor_b32_e32 v7, v7, v3
	v_xor_b32_e32 v3, s42, v3
	v_add_co_u32_e32 v13, vcc, v11, v9
	v_addc_co_u32_e32 v14, vcc, 0, v10, vcc
	v_mad_u64_u32 v[9:10], s[0:1], v7, s53, 0
	v_mad_u64_u32 v[11:12], s[0:1], v7, s43, 0
	v_add_co_u32_e32 v9, vcc, v13, v9
	v_addc_co_u32_e32 v9, vcc, v14, v10, vcc
	v_addc_co_u32_e32 v10, vcc, 0, v12, vcc
	v_add_co_u32_e32 v11, vcc, v9, v11
	v_addc_co_u32_e32 v12, vcc, 0, v10, vcc
	v_mul_lo_u32 v13, s45, v11
	v_mul_lo_u32 v14, s44, v12
	v_mad_u64_u32 v[9:10], s[0:1], s44, v11, 0
	v_add3_u32 v10, v10, v14, v13
	v_sub_u32_e32 v13, v7, v10
	v_mov_b32_e32 v14, s45
	v_sub_co_u32_e32 v5, vcc, v5, v9
	v_subb_co_u32_e64 v9, s[0:1], v13, v14, vcc
	v_subrev_co_u32_e64 v13, s[0:1], s44, v5
	v_subbrev_co_u32_e64 v9, s[0:1], 0, v9, s[0:1]
	v_cmp_le_u32_e64 s[0:1], s45, v9
	v_cndmask_b32_e64 v14, 0, -1, s[0:1]
	v_cmp_le_u32_e64 s[0:1], s44, v13
	v_cndmask_b32_e64 v13, 0, -1, s[0:1]
	v_cmp_eq_u32_e64 s[0:1], s45, v9
	v_cndmask_b32_e64 v9, v14, v13, s[0:1]
	v_add_co_u32_e64 v13, s[0:1], 2, v11
	v_subb_co_u32_e32 v7, vcc, v7, v10, vcc
	v_addc_co_u32_e64 v14, s[0:1], 0, v12, s[0:1]
	v_cmp_le_u32_e32 vcc, s45, v7
	v_add_co_u32_e64 v15, s[0:1], 1, v11
	v_cndmask_b32_e64 v10, 0, -1, vcc
	v_cmp_le_u32_e32 vcc, s44, v5
	v_addc_co_u32_e64 v16, s[0:1], 0, v12, s[0:1]
	v_cndmask_b32_e64 v5, 0, -1, vcc
	v_cmp_eq_u32_e32 vcc, s45, v7
	v_cmp_ne_u32_e64 s[0:1], 0, v9
	v_cndmask_b32_e32 v5, v10, v5, vcc
	v_cmp_ne_u32_e32 vcc, 0, v5
	v_cndmask_b32_e64 v7, v15, v13, s[0:1]
	v_cndmask_b32_e64 v9, v16, v14, s[0:1]
	v_cndmask_b32_e32 v7, v11, v7, vcc
	v_cndmask_b32_e32 v5, v12, v9, vcc
	v_xor_b32_e32 v7, v7, v3
	v_xor_b32_e32 v5, v5, v3
	v_sub_co_u32_e32 v10, vcc, v7, v3
	v_subb_co_u32_e32 v11, vcc, v5, v3, vcc
.LBB45_23:                              ;   in Loop: Header=BB45_21 Depth=2
	s_andn2_saveexec_b64 s[0:1], s[40:41]
	s_cbranch_execz .LBB45_25
; %bb.24:                               ;   in Loop: Header=BB45_21 Depth=2
	v_cvt_f32_u32_e32 v3, s35
	s_sub_i32 s40, 0, s35
	v_mov_b32_e32 v11, v2
	v_rcp_iflag_f32_e32 v3, v3
	v_mul_f32_e32 v3, 0x4f7ffffe, v3
	v_cvt_u32_f32_e32 v3, v3
	v_mul_lo_u32 v5, s40, v3
	v_mul_hi_u32 v5, v3, v5
	v_add_u32_e32 v3, v3, v5
	v_mul_hi_u32 v3, v8, v3
	v_mul_lo_u32 v5, v3, s35
	v_add_u32_e32 v7, 1, v3
	v_sub_u32_e32 v5, v8, v5
	v_subrev_u32_e32 v9, s35, v5
	v_cmp_le_u32_e32 vcc, s35, v5
	v_cndmask_b32_e32 v5, v5, v9, vcc
	v_cndmask_b32_e32 v3, v3, v7, vcc
	v_add_u32_e32 v7, 1, v3
	v_cmp_le_u32_e32 vcc, s35, v5
	v_cndmask_b32_e32 v10, v3, v7, vcc
.LBB45_25:                              ;   in Loop: Header=BB45_21 Depth=2
	s_or_b64 exec, exec, s[0:1]
	s_add_u32 s0, s4, s36
	s_addc_u32 s1, s5, s37
	s_add_i32 s36, s20, -1
	s_mov_b32 s37, s21
	s_lshl_b64 s[40:41], s[36:37], 2
	s_add_u32 s36, s46, s40
	s_addc_u32 s37, s47, s41
	s_load_dword s55, s[36:37], 0x8
	s_load_dword s54, s[38:39], 0x6c
	;; [unrolled: 1-line block ×3, first 2 shown]
                                        ; implicit-def: $vgpr12_vgpr13
	s_waitcnt lgkmcnt(0)
	s_ashr_i32 s0, s55, 31
	v_or_b32_e32 v3, s0, v11
	v_cmp_ne_u64_e32 vcc, 0, v[2:3]
	s_and_saveexec_b64 s[38:39], vcc
	s_xor_b64 s[38:39], exec, s[38:39]
	s_cbranch_execz .LBB45_27
; %bb.26:                               ;   in Loop: Header=BB45_21 Depth=2
	s_ashr_i32 s42, s0, 31
	s_add_u32 s44, s55, s42
	s_mov_b32 s43, s42
	s_addc_u32 s45, s0, s42
	s_xor_b64 s[44:45], s[44:45], s[42:43]
	v_cvt_f32_u32_e32 v3, s44
	v_cvt_f32_u32_e32 v5, s45
	s_sub_u32 s43, 0, s44
	s_subb_u32 s56, 0, s45
	v_mac_f32_e32 v3, 0x4f800000, v5
	v_rcp_f32_e32 v3, v3
	v_mul_f32_e32 v3, 0x5f7ffffc, v3
	v_mul_f32_e32 v5, 0x2f800000, v3
	v_trunc_f32_e32 v5, v5
	v_mac_f32_e32 v3, 0xcf800000, v5
	v_cvt_u32_f32_e32 v5, v5
	v_cvt_u32_f32_e32 v3, v3
	v_readfirstlane_b32 s57, v5
	v_readfirstlane_b32 s0, v3
	s_mul_i32 s1, s43, s57
	s_mul_hi_u32 s59, s43, s0
	s_mul_i32 s58, s56, s0
	s_add_i32 s1, s59, s1
	s_add_i32 s1, s1, s58
	s_mul_i32 s60, s43, s0
	s_mul_i32 s59, s0, s1
	s_mul_hi_u32 s61, s0, s60
	s_mul_hi_u32 s58, s0, s1
	s_add_u32 s59, s61, s59
	s_addc_u32 s58, 0, s58
	s_mul_hi_u32 s62, s57, s60
	s_mul_i32 s60, s57, s60
	s_add_u32 s59, s59, s60
	s_mul_hi_u32 s61, s57, s1
	s_addc_u32 s58, s58, s62
	s_addc_u32 s59, s61, 0
	s_mul_i32 s1, s57, s1
	s_add_u32 s1, s58, s1
	s_addc_u32 s58, 0, s59
	s_add_u32 s59, s0, s1
	s_cselect_b64 s[0:1], -1, 0
	s_cmp_lg_u64 s[0:1], 0
	s_addc_u32 s57, s57, s58
	s_mul_i32 s0, s43, s57
	s_mul_hi_u32 s1, s43, s59
	s_add_i32 s0, s1, s0
	s_mul_i32 s56, s56, s59
	s_add_i32 s0, s0, s56
	s_mul_i32 s43, s43, s59
	s_mul_hi_u32 s56, s57, s43
	s_mul_i32 s58, s57, s43
	s_mul_i32 s61, s59, s0
	s_mul_hi_u32 s43, s59, s43
	s_mul_hi_u32 s60, s59, s0
	s_add_u32 s43, s43, s61
	s_addc_u32 s60, 0, s60
	s_add_u32 s43, s43, s58
	s_mul_hi_u32 s1, s57, s0
	s_addc_u32 s43, s60, s56
	s_addc_u32 s1, s1, 0
	s_mul_i32 s0, s57, s0
	s_add_u32 s0, s43, s0
	s_addc_u32 s43, 0, s1
	s_add_u32 s56, s59, s0
	s_cselect_b64 s[0:1], -1, 0
	v_ashrrev_i32_e32 v3, 31, v11
	s_cmp_lg_u64 s[0:1], 0
	v_add_co_u32_e32 v5, vcc, v10, v3
	s_addc_u32 s43, s57, s43
	v_xor_b32_e32 v5, v5, v3
	v_addc_co_u32_e32 v7, vcc, v11, v3, vcc
	v_mad_u64_u32 v[11:12], s[0:1], v5, s43, 0
	v_mul_hi_u32 v9, v5, s56
	v_xor_b32_e32 v7, v7, v3
	v_mad_u64_u32 v[13:14], s[0:1], v7, s43, 0
	v_add_co_u32_e32 v9, vcc, v9, v11
	v_addc_co_u32_e32 v15, vcc, 0, v12, vcc
	v_mad_u64_u32 v[11:12], s[0:1], v7, s56, 0
	v_xor_b32_e32 v3, s42, v3
	v_add_co_u32_e32 v9, vcc, v9, v11
	v_addc_co_u32_e32 v9, vcc, v15, v12, vcc
	v_addc_co_u32_e32 v11, vcc, 0, v14, vcc
	v_add_co_u32_e32 v9, vcc, v9, v13
	v_addc_co_u32_e32 v13, vcc, 0, v11, vcc
	v_mul_lo_u32 v14, s45, v9
	v_mul_lo_u32 v15, s44, v13
	v_mad_u64_u32 v[11:12], s[0:1], s44, v9, 0
	v_add3_u32 v12, v12, v15, v14
	v_sub_u32_e32 v14, v7, v12
	v_mov_b32_e32 v15, s45
	v_sub_co_u32_e32 v5, vcc, v5, v11
	v_subb_co_u32_e64 v11, s[0:1], v14, v15, vcc
	v_subrev_co_u32_e64 v14, s[0:1], s44, v5
	v_subbrev_co_u32_e64 v11, s[0:1], 0, v11, s[0:1]
	v_cmp_le_u32_e64 s[0:1], s45, v11
	v_cndmask_b32_e64 v15, 0, -1, s[0:1]
	v_cmp_le_u32_e64 s[0:1], s44, v14
	v_cndmask_b32_e64 v14, 0, -1, s[0:1]
	v_cmp_eq_u32_e64 s[0:1], s45, v11
	v_cndmask_b32_e64 v11, v15, v14, s[0:1]
	v_add_co_u32_e64 v14, s[0:1], 2, v9
	v_subb_co_u32_e32 v7, vcc, v7, v12, vcc
	v_addc_co_u32_e64 v15, s[0:1], 0, v13, s[0:1]
	v_cmp_le_u32_e32 vcc, s45, v7
	v_add_co_u32_e64 v16, s[0:1], 1, v9
	v_cndmask_b32_e64 v12, 0, -1, vcc
	v_cmp_le_u32_e32 vcc, s44, v5
	v_addc_co_u32_e64 v17, s[0:1], 0, v13, s[0:1]
	v_cndmask_b32_e64 v5, 0, -1, vcc
	v_cmp_eq_u32_e32 vcc, s45, v7
	v_cmp_ne_u32_e64 s[0:1], 0, v11
	v_cndmask_b32_e32 v5, v12, v5, vcc
	v_cmp_ne_u32_e32 vcc, 0, v5
	v_cndmask_b32_e64 v7, v16, v14, s[0:1]
	v_cndmask_b32_e64 v11, v17, v15, s[0:1]
	v_cndmask_b32_e32 v7, v9, v7, vcc
	v_cndmask_b32_e32 v5, v13, v11, vcc
	v_xor_b32_e32 v7, v7, v3
	v_xor_b32_e32 v5, v5, v3
	v_sub_co_u32_e32 v12, vcc, v7, v3
	v_subb_co_u32_e32 v13, vcc, v5, v3, vcc
.LBB45_27:                              ;   in Loop: Header=BB45_21 Depth=2
	s_andn2_saveexec_b64 s[0:1], s[38:39]
	s_cbranch_execz .LBB45_29
; %bb.28:                               ;   in Loop: Header=BB45_21 Depth=2
	v_cvt_f32_u32_e32 v3, s55
	s_sub_i32 s38, 0, s55
	v_mov_b32_e32 v13, v2
	v_rcp_iflag_f32_e32 v3, v3
	v_mul_f32_e32 v3, 0x4f7ffffe, v3
	v_cvt_u32_f32_e32 v3, v3
	v_mul_lo_u32 v5, s38, v3
	v_mul_hi_u32 v5, v3, v5
	v_add_u32_e32 v3, v3, v5
	v_mul_hi_u32 v3, v10, v3
	v_mul_lo_u32 v5, v3, s55
	v_add_u32_e32 v7, 1, v3
	v_sub_u32_e32 v5, v10, v5
	v_subrev_u32_e32 v9, s55, v5
	v_cmp_le_u32_e32 vcc, s55, v5
	v_cndmask_b32_e32 v5, v5, v9, vcc
	v_cndmask_b32_e32 v3, v3, v7, vcc
	v_add_u32_e32 v7, 1, v3
	v_cmp_le_u32_e32 vcc, s55, v5
	v_cndmask_b32_e32 v12, v3, v7, vcc
.LBB45_29:                              ;   in Loop: Header=BB45_21 Depth=2
	s_or_b64 exec, exec, s[0:1]
	s_add_u32 s0, s4, s40
	s_addc_u32 s1, s5, s41
	s_add_i32 s38, s20, -2
	s_mov_b32 s39, s21
	s_lshl_b64 s[38:39], s[38:39], 2
	s_add_u32 s40, s46, s38
	s_addc_u32 s41, s47, s39
	s_load_dword s57, s[40:41], 0x8
	s_load_dword s58, s[36:37], 0x6c
	;; [unrolled: 1-line block ×3, first 2 shown]
                                        ; implicit-def: $vgpr14_vgpr15
	s_waitcnt lgkmcnt(0)
	s_ashr_i32 s0, s57, 31
	v_or_b32_e32 v3, s0, v13
	v_cmp_ne_u64_e32 vcc, 0, v[2:3]
	s_and_saveexec_b64 s[36:37], vcc
	s_xor_b64 s[36:37], exec, s[36:37]
	s_cbranch_execz .LBB45_31
; %bb.30:                               ;   in Loop: Header=BB45_21 Depth=2
	s_ashr_i32 s42, s0, 31
	s_add_u32 s44, s57, s42
	s_mov_b32 s43, s42
	s_addc_u32 s45, s0, s42
	s_xor_b64 s[44:45], s[44:45], s[42:43]
	v_cvt_f32_u32_e32 v3, s44
	v_cvt_f32_u32_e32 v5, s45
	s_sub_u32 s43, 0, s44
	s_subb_u32 s59, 0, s45
	v_mac_f32_e32 v3, 0x4f800000, v5
	v_rcp_f32_e32 v3, v3
	v_mul_f32_e32 v3, 0x5f7ffffc, v3
	v_mul_f32_e32 v5, 0x2f800000, v3
	v_trunc_f32_e32 v5, v5
	v_mac_f32_e32 v3, 0xcf800000, v5
	v_cvt_u32_f32_e32 v5, v5
	v_cvt_u32_f32_e32 v3, v3
	v_readfirstlane_b32 s60, v5
	v_readfirstlane_b32 s0, v3
	s_mul_i32 s1, s43, s60
	s_mul_hi_u32 s62, s43, s0
	s_mul_i32 s61, s59, s0
	s_add_i32 s1, s62, s1
	s_add_i32 s1, s1, s61
	s_mul_i32 s63, s43, s0
	s_mul_i32 s62, s0, s1
	s_mul_hi_u32 s64, s0, s63
	s_mul_hi_u32 s61, s0, s1
	s_add_u32 s62, s64, s62
	s_addc_u32 s61, 0, s61
	s_mul_hi_u32 s65, s60, s63
	s_mul_i32 s63, s60, s63
	s_add_u32 s62, s62, s63
	s_mul_hi_u32 s64, s60, s1
	s_addc_u32 s61, s61, s65
	s_addc_u32 s62, s64, 0
	s_mul_i32 s1, s60, s1
	s_add_u32 s1, s61, s1
	s_addc_u32 s61, 0, s62
	s_add_u32 s62, s0, s1
	s_cselect_b64 s[0:1], -1, 0
	s_cmp_lg_u64 s[0:1], 0
	s_addc_u32 s60, s60, s61
	s_mul_i32 s0, s43, s60
	s_mul_hi_u32 s1, s43, s62
	s_add_i32 s0, s1, s0
	s_mul_i32 s59, s59, s62
	s_add_i32 s0, s0, s59
	s_mul_i32 s43, s43, s62
	s_mul_hi_u32 s59, s60, s43
	s_mul_i32 s61, s60, s43
	s_mul_i32 s64, s62, s0
	s_mul_hi_u32 s43, s62, s43
	s_mul_hi_u32 s63, s62, s0
	s_add_u32 s43, s43, s64
	s_addc_u32 s63, 0, s63
	s_add_u32 s43, s43, s61
	s_mul_hi_u32 s1, s60, s0
	s_addc_u32 s43, s63, s59
	s_addc_u32 s1, s1, 0
	s_mul_i32 s0, s60, s0
	s_add_u32 s0, s43, s0
	s_addc_u32 s43, 0, s1
	s_add_u32 s59, s62, s0
	s_cselect_b64 s[0:1], -1, 0
	v_ashrrev_i32_e32 v3, 31, v13
	s_cmp_lg_u64 s[0:1], 0
	v_add_co_u32_e32 v5, vcc, v12, v3
	s_addc_u32 s43, s60, s43
	v_xor_b32_e32 v5, v5, v3
	v_addc_co_u32_e32 v7, vcc, v13, v3, vcc
	v_mad_u64_u32 v[13:14], s[0:1], v5, s43, 0
	v_mul_hi_u32 v9, v5, s59
	v_xor_b32_e32 v7, v7, v3
	v_mad_u64_u32 v[15:16], s[0:1], v7, s43, 0
	v_add_co_u32_e32 v9, vcc, v9, v13
	v_addc_co_u32_e32 v11, vcc, 0, v14, vcc
	v_mad_u64_u32 v[13:14], s[0:1], v7, s59, 0
	v_xor_b32_e32 v3, s42, v3
	v_add_co_u32_e32 v9, vcc, v9, v13
	v_addc_co_u32_e32 v9, vcc, v11, v14, vcc
	v_addc_co_u32_e32 v11, vcc, 0, v16, vcc
	v_add_co_u32_e32 v9, vcc, v9, v15
	v_addc_co_u32_e32 v11, vcc, 0, v11, vcc
	v_mul_lo_u32 v15, s45, v9
	v_mul_lo_u32 v16, s44, v11
	v_mad_u64_u32 v[13:14], s[0:1], s44, v9, 0
	v_add3_u32 v14, v14, v16, v15
	v_sub_u32_e32 v15, v7, v14
	v_mov_b32_e32 v16, s45
	v_sub_co_u32_e32 v5, vcc, v5, v13
	v_subb_co_u32_e64 v13, s[0:1], v15, v16, vcc
	v_subrev_co_u32_e64 v15, s[0:1], s44, v5
	v_subbrev_co_u32_e64 v13, s[0:1], 0, v13, s[0:1]
	v_cmp_le_u32_e64 s[0:1], s45, v13
	v_cndmask_b32_e64 v16, 0, -1, s[0:1]
	v_cmp_le_u32_e64 s[0:1], s44, v15
	v_cndmask_b32_e64 v15, 0, -1, s[0:1]
	v_cmp_eq_u32_e64 s[0:1], s45, v13
	v_cndmask_b32_e64 v13, v16, v15, s[0:1]
	v_add_co_u32_e64 v15, s[0:1], 2, v9
	v_subb_co_u32_e32 v7, vcc, v7, v14, vcc
	v_addc_co_u32_e64 v16, s[0:1], 0, v11, s[0:1]
	v_cmp_le_u32_e32 vcc, s45, v7
	v_add_co_u32_e64 v17, s[0:1], 1, v9
	v_cndmask_b32_e64 v14, 0, -1, vcc
	v_cmp_le_u32_e32 vcc, s44, v5
	v_addc_co_u32_e64 v20, s[0:1], 0, v11, s[0:1]
	v_cndmask_b32_e64 v5, 0, -1, vcc
	v_cmp_eq_u32_e32 vcc, s45, v7
	v_cmp_ne_u32_e64 s[0:1], 0, v13
	v_cndmask_b32_e32 v5, v14, v5, vcc
	v_cmp_ne_u32_e32 vcc, 0, v5
	v_cndmask_b32_e64 v7, v17, v15, s[0:1]
	v_cndmask_b32_e64 v13, v20, v16, s[0:1]
	v_cndmask_b32_e32 v7, v9, v7, vcc
	v_cndmask_b32_e32 v5, v11, v13, vcc
	v_xor_b32_e32 v7, v7, v3
	v_xor_b32_e32 v5, v5, v3
	v_sub_co_u32_e32 v14, vcc, v7, v3
	v_subb_co_u32_e32 v15, vcc, v5, v3, vcc
.LBB45_31:                              ;   in Loop: Header=BB45_21 Depth=2
	s_andn2_saveexec_b64 s[0:1], s[36:37]
	s_cbranch_execz .LBB45_33
; %bb.32:                               ;   in Loop: Header=BB45_21 Depth=2
	v_cvt_f32_u32_e32 v3, s57
	s_sub_i32 s36, 0, s57
	v_mov_b32_e32 v15, v2
	v_rcp_iflag_f32_e32 v3, v3
	v_mul_f32_e32 v3, 0x4f7ffffe, v3
	v_cvt_u32_f32_e32 v3, v3
	v_mul_lo_u32 v5, s36, v3
	v_mul_hi_u32 v5, v3, v5
	v_add_u32_e32 v3, v3, v5
	v_mul_hi_u32 v3, v12, v3
	v_mul_lo_u32 v5, v3, s57
	v_add_u32_e32 v7, 1, v3
	v_sub_u32_e32 v5, v12, v5
	v_subrev_u32_e32 v9, s57, v5
	v_cmp_le_u32_e32 vcc, s57, v5
	v_cndmask_b32_e32 v5, v5, v9, vcc
	v_cndmask_b32_e32 v3, v3, v7, vcc
	v_add_u32_e32 v7, 1, v3
	v_cmp_le_u32_e32 vcc, s57, v5
	v_cndmask_b32_e32 v14, v3, v7, vcc
.LBB45_33:                              ;   in Loop: Header=BB45_21 Depth=2
	s_or_b64 exec, exec, s[0:1]
	s_add_u32 s0, s4, s38
	s_addc_u32 s1, s5, s39
	s_add_i32 s36, s20, -3
	s_mov_b32 s37, s21
	s_lshl_b64 s[36:37], s[36:37], 2
	s_add_u32 s38, s46, s36
	s_addc_u32 s39, s47, s37
	s_load_dword s60, s[38:39], 0x8
	s_load_dword s61, s[40:41], 0x6c
	;; [unrolled: 1-line block ×3, first 2 shown]
                                        ; implicit-def: $vgpr16_vgpr17
	s_waitcnt lgkmcnt(0)
	s_ashr_i32 s0, s60, 31
	v_or_b32_e32 v3, s0, v15
	v_cmp_ne_u64_e32 vcc, 0, v[2:3]
	s_and_saveexec_b64 s[40:41], vcc
	s_xor_b64 s[40:41], exec, s[40:41]
	s_cbranch_execz .LBB45_35
; %bb.34:                               ;   in Loop: Header=BB45_21 Depth=2
	s_ashr_i32 s42, s0, 31
	s_add_u32 s44, s60, s42
	s_mov_b32 s43, s42
	s_addc_u32 s45, s0, s42
	s_xor_b64 s[44:45], s[44:45], s[42:43]
	v_cvt_f32_u32_e32 v3, s44
	v_cvt_f32_u32_e32 v5, s45
	s_sub_u32 s43, 0, s44
	s_subb_u32 s62, 0, s45
	v_mac_f32_e32 v3, 0x4f800000, v5
	v_rcp_f32_e32 v3, v3
	v_mul_f32_e32 v3, 0x5f7ffffc, v3
	v_mul_f32_e32 v5, 0x2f800000, v3
	v_trunc_f32_e32 v5, v5
	v_mac_f32_e32 v3, 0xcf800000, v5
	v_cvt_u32_f32_e32 v5, v5
	v_cvt_u32_f32_e32 v3, v3
	v_readfirstlane_b32 s63, v5
	v_readfirstlane_b32 s0, v3
	s_mul_i32 s1, s43, s63
	s_mul_hi_u32 s65, s43, s0
	s_mul_i32 s64, s62, s0
	s_add_i32 s1, s65, s1
	s_add_i32 s1, s1, s64
	s_mul_i32 s66, s43, s0
	s_mul_i32 s65, s0, s1
	s_mul_hi_u32 s67, s0, s66
	s_mul_hi_u32 s64, s0, s1
	s_add_u32 s65, s67, s65
	s_addc_u32 s64, 0, s64
	s_mul_hi_u32 s68, s63, s66
	s_mul_i32 s66, s63, s66
	s_add_u32 s65, s65, s66
	s_mul_hi_u32 s67, s63, s1
	s_addc_u32 s64, s64, s68
	s_addc_u32 s65, s67, 0
	s_mul_i32 s1, s63, s1
	s_add_u32 s1, s64, s1
	s_addc_u32 s64, 0, s65
	s_add_u32 s65, s0, s1
	s_cselect_b64 s[0:1], -1, 0
	s_cmp_lg_u64 s[0:1], 0
	s_addc_u32 s63, s63, s64
	s_mul_i32 s0, s43, s63
	s_mul_hi_u32 s1, s43, s65
	s_add_i32 s0, s1, s0
	s_mul_i32 s62, s62, s65
	s_add_i32 s0, s0, s62
	s_mul_i32 s43, s43, s65
	s_mul_hi_u32 s62, s63, s43
	s_mul_i32 s64, s63, s43
	s_mul_i32 s67, s65, s0
	s_mul_hi_u32 s43, s65, s43
	s_mul_hi_u32 s66, s65, s0
	s_add_u32 s43, s43, s67
	s_addc_u32 s66, 0, s66
	s_add_u32 s43, s43, s64
	s_mul_hi_u32 s1, s63, s0
	s_addc_u32 s43, s66, s62
	s_addc_u32 s1, s1, 0
	s_mul_i32 s0, s63, s0
	s_add_u32 s0, s43, s0
	s_addc_u32 s43, 0, s1
	s_add_u32 s62, s65, s0
	s_cselect_b64 s[0:1], -1, 0
	v_ashrrev_i32_e32 v3, 31, v15
	s_cmp_lg_u64 s[0:1], 0
	v_add_co_u32_e32 v5, vcc, v14, v3
	s_addc_u32 s43, s63, s43
	v_xor_b32_e32 v5, v5, v3
	v_addc_co_u32_e32 v7, vcc, v15, v3, vcc
	v_mad_u64_u32 v[15:16], s[0:1], v5, s43, 0
	v_mul_hi_u32 v9, v5, s62
	v_xor_b32_e32 v7, v7, v3
	v_mad_u64_u32 v[20:21], s[0:1], v7, s43, 0
	v_add_co_u32_e32 v9, vcc, v9, v15
	v_addc_co_u32_e32 v11, vcc, 0, v16, vcc
	v_mad_u64_u32 v[15:16], s[0:1], v7, s62, 0
	v_xor_b32_e32 v3, s42, v3
	v_add_co_u32_e32 v9, vcc, v9, v15
	v_addc_co_u32_e32 v9, vcc, v11, v16, vcc
	v_addc_co_u32_e32 v11, vcc, 0, v21, vcc
	v_add_co_u32_e32 v9, vcc, v9, v20
	v_addc_co_u32_e32 v11, vcc, 0, v11, vcc
	v_mul_lo_u32 v13, s45, v9
	v_mul_lo_u32 v17, s44, v11
	v_mad_u64_u32 v[15:16], s[0:1], s44, v9, 0
	v_add3_u32 v13, v16, v17, v13
	v_sub_u32_e32 v16, v7, v13
	v_mov_b32_e32 v17, s45
	v_sub_co_u32_e32 v5, vcc, v5, v15
	v_subb_co_u32_e64 v15, s[0:1], v16, v17, vcc
	v_subrev_co_u32_e64 v16, s[0:1], s44, v5
	v_subbrev_co_u32_e64 v15, s[0:1], 0, v15, s[0:1]
	v_cmp_le_u32_e64 s[0:1], s45, v15
	v_cndmask_b32_e64 v17, 0, -1, s[0:1]
	v_cmp_le_u32_e64 s[0:1], s44, v16
	v_cndmask_b32_e64 v16, 0, -1, s[0:1]
	v_cmp_eq_u32_e64 s[0:1], s45, v15
	v_cndmask_b32_e64 v15, v17, v16, s[0:1]
	v_add_co_u32_e64 v16, s[0:1], 2, v9
	v_subb_co_u32_e32 v7, vcc, v7, v13, vcc
	v_addc_co_u32_e64 v17, s[0:1], 0, v11, s[0:1]
	v_cmp_le_u32_e32 vcc, s45, v7
	v_add_co_u32_e64 v20, s[0:1], 1, v9
	v_cndmask_b32_e64 v13, 0, -1, vcc
	v_cmp_le_u32_e32 vcc, s44, v5
	v_addc_co_u32_e64 v21, s[0:1], 0, v11, s[0:1]
	v_cndmask_b32_e64 v5, 0, -1, vcc
	v_cmp_eq_u32_e32 vcc, s45, v7
	v_cmp_ne_u32_e64 s[0:1], 0, v15
	v_cndmask_b32_e32 v5, v13, v5, vcc
	v_cmp_ne_u32_e32 vcc, 0, v5
	v_cndmask_b32_e64 v7, v20, v16, s[0:1]
	v_cndmask_b32_e64 v15, v21, v17, s[0:1]
	v_cndmask_b32_e32 v7, v9, v7, vcc
	v_cndmask_b32_e32 v5, v11, v15, vcc
	v_xor_b32_e32 v7, v7, v3
	v_xor_b32_e32 v5, v5, v3
	v_sub_co_u32_e32 v16, vcc, v7, v3
	v_subb_co_u32_e32 v17, vcc, v5, v3, vcc
.LBB45_35:                              ;   in Loop: Header=BB45_21 Depth=2
	s_andn2_saveexec_b64 s[0:1], s[40:41]
	s_cbranch_execz .LBB45_37
; %bb.36:                               ;   in Loop: Header=BB45_21 Depth=2
	v_cvt_f32_u32_e32 v3, s60
	s_sub_i32 s40, 0, s60
	v_mov_b32_e32 v17, v2
	v_rcp_iflag_f32_e32 v3, v3
	v_mul_f32_e32 v3, 0x4f7ffffe, v3
	v_cvt_u32_f32_e32 v3, v3
	v_mul_lo_u32 v5, s40, v3
	v_mul_hi_u32 v5, v3, v5
	v_add_u32_e32 v3, v3, v5
	v_mul_hi_u32 v3, v14, v3
	v_mul_lo_u32 v5, v3, s60
	v_add_u32_e32 v7, 1, v3
	v_sub_u32_e32 v5, v14, v5
	v_subrev_u32_e32 v9, s60, v5
	v_cmp_le_u32_e32 vcc, s60, v5
	v_cndmask_b32_e32 v5, v5, v9, vcc
	v_cndmask_b32_e32 v3, v3, v7, vcc
	v_add_u32_e32 v7, 1, v3
	v_cmp_le_u32_e32 vcc, s60, v5
	v_cndmask_b32_e32 v16, v3, v7, vcc
.LBB45_37:                              ;   in Loop: Header=BB45_21 Depth=2
	s_or_b64 exec, exec, s[0:1]
	v_mul_lo_u32 v3, v10, s35
	v_mul_lo_u32 v5, v12, s55
	;; [unrolled: 1-line block ×3, first 2 shown]
	s_add_u32 s0, s4, s36
	v_sub_u32_e32 v3, v8, v3
	v_sub_u32_e32 v5, v10, v5
	v_mul_lo_u32 v7, s54, v3
	v_mul_lo_u32 v8, s58, v5
	s_addc_u32 s1, s5, s37
	s_load_dword s35, s[38:39], 0x6c
	v_mul_lo_u32 v3, s53, v3
	v_add3_u32 v6, v7, v6, v8
	v_sub_u32_e32 v7, v12, v9
	v_mul_lo_u32 v9, v16, s60
	s_load_dword s0, s[0:1], 0x6c
	v_mul_lo_u32 v5, s56, v5
	v_mul_lo_u32 v8, s61, v7
	v_sub_u32_e32 v9, v14, v9
	s_waitcnt lgkmcnt(0)
	v_mul_lo_u32 v10, s35, v9
	v_add3_u32 v3, v3, v4, v5
	v_mul_lo_u32 v4, s59, v7
	v_mul_lo_u32 v5, s0, v9
	s_add_i32 s20, s20, -4
	v_add3_u32 v6, v8, v6, v10
	s_cmp_eq_u32 s20, -1
	v_add3_u32 v4, v4, v3, v5
	s_cbranch_scc1 .LBB45_39
; %bb.38:                               ;   in Loop: Header=BB45_21 Depth=2
	v_mov_b32_e32 v8, v16
	v_mov_b32_e32 v9, v17
	s_branch .LBB45_21
.LBB45_39:                              ;   in Loop: Header=BB45_3 Depth=1
	v_sub_u32_e32 v8, v18, v19
	v_ashrrev_i32_e32 v9, 31, v8
	v_cmp_ge_i64_e32 vcc, s[8:9], v[8:9]
	v_mov_b32_e32 v11, 0
	v_mov_b32_e32 v3, 0
	;; [unrolled: 1-line block ×4, first 2 shown]
	s_and_saveexec_b64 s[0:1], vcc
	s_cbranch_execz .LBB45_49
; %bb.40:                               ;   in Loop: Header=BB45_3 Depth=1
	v_cmp_gt_i32_e32 vcc, s7, v18
	v_mov_b32_e32 v13, 0
	v_mov_b32_e32 v12, 0
	;; [unrolled: 1-line block ×4, first 2 shown]
	s_and_saveexec_b64 s[36:37], vcc
	s_cbranch_execz .LBB45_48
; %bb.41:                               ;   in Loop: Header=BB45_3 Depth=1
	v_ashrrev_i32_e32 v7, 31, v6
	v_lshlrev_b64 v[10:11], 1, v[6:7]
	v_mov_b32_e32 v3, s3
	v_add_co_u32_e32 v10, vcc, s2, v10
	v_addc_co_u32_e32 v11, vcc, v3, v11, vcc
	global_load_ushort v3, v[10:11], off
	v_add_u32_e32 v5, 1, v18
	v_cmp_gt_i32_e32 vcc, s7, v5
	v_mov_b32_e32 v7, 0
	v_mov_b32_e32 v12, 0
	;; [unrolled: 1-line block ×3, first 2 shown]
	s_and_saveexec_b64 s[38:39], vcc
	s_xor_b64 s[38:39], exec, s[38:39]
	s_cbranch_execz .LBB45_47
; %bb.42:                               ;   in Loop: Header=BB45_3 Depth=1
	s_lshl_b64 s[40:41], s[26:27], 1
	v_mov_b32_e32 v5, s41
	v_add_co_u32_e32 v10, vcc, s40, v10
	v_addc_co_u32_e32 v11, vcc, v11, v5, vcc
	global_load_ushort v7, v[10:11], off
	v_add_u32_e32 v5, 2, v18
	v_cmp_gt_i32_e32 vcc, s7, v5
	v_mov_b32_e32 v12, 0
	v_mov_b32_e32 v13, 0
	s_and_saveexec_b64 s[40:41], vcc
	s_xor_b64 s[40:41], exec, s[40:41]
	s_cbranch_execz .LBB45_46
; %bb.43:                               ;   in Loop: Header=BB45_3 Depth=1
	v_add_u32_e32 v5, s15, v6
	v_ashrrev_i32_e32 v6, 31, v5
	v_lshlrev_b64 v[10:11], 1, v[5:6]
	v_mov_b32_e32 v6, s3
	v_add_co_u32_e32 v10, vcc, s2, v10
	v_addc_co_u32_e32 v11, vcc, v6, v11, vcc
	global_load_ushort v12, v[10:11], off
	v_add_u32_e32 v6, 3, v18
	v_cmp_gt_i32_e32 vcc, s7, v6
	v_mov_b32_e32 v13, 0
	s_and_saveexec_b64 s[42:43], vcc
	s_xor_b64 s[42:43], exec, s[42:43]
	s_cbranch_execz .LBB45_45
; %bb.44:                               ;   in Loop: Header=BB45_3 Depth=1
	v_add_u32_e32 v5, s26, v5
	v_ashrrev_i32_e32 v6, 31, v5
	v_lshlrev_b64 v[5:6], 1, v[5:6]
	v_mov_b32_e32 v10, s3
	v_add_co_u32_e32 v5, vcc, s2, v5
	v_addc_co_u32_e32 v6, vcc, v10, v6, vcc
	global_load_ushort v13, v[5:6], off
.LBB45_45:                              ;   in Loop: Header=BB45_3 Depth=1
	s_or_b64 exec, exec, s[42:43]
.LBB45_46:                              ;   in Loop: Header=BB45_3 Depth=1
	s_or_b64 exec, exec, s[40:41]
.LBB45_47:                              ;   in Loop: Header=BB45_3 Depth=1
	s_or_b64 exec, exec, s[38:39]
.LBB45_48:                              ;   in Loop: Header=BB45_3 Depth=1
	s_or_b64 exec, exec, s[36:37]
	v_cmp_ge_i64_e32 vcc, s[8:9], v[8:9]
	v_add_u32_e32 v5, 1, v8
	v_ashrrev_i32_e32 v6, 31, v5
	s_waitcnt vmcnt(0)
	v_cndmask_b32_e32 v11, 0, v3, vcc
	v_cmp_ge_i64_e32 vcc, s[8:9], v[5:6]
	v_add_u32_e32 v5, 2, v8
	v_ashrrev_i32_e32 v6, 31, v5
	v_cndmask_b32_e32 v3, 0, v7, vcc
	v_cmp_ge_i64_e32 vcc, s[8:9], v[5:6]
	v_add_u32_e32 v5, 3, v8
	v_ashrrev_i32_e32 v6, 31, v5
	v_cndmask_b32_e32 v10, 0, v12, vcc
	v_cmp_ge_i64_e32 vcc, s[8:9], v[5:6]
	v_cndmask_b32_e32 v7, 0, v13, vcc
.LBB45_49:                              ;   in Loop: Header=BB45_3 Depth=1
	s_or_b64 exec, exec, s[0:1]
	v_cmp_gt_i32_e32 vcc, s7, v18
	s_and_saveexec_b64 s[0:1], vcc
	s_cbranch_execz .LBB45_2
; %bb.50:                               ;   in Loop: Header=BB45_3 Depth=1
	v_ashrrev_i32_e32 v5, 31, v4
	v_lshlrev_b64 v[5:6], 1, v[4:5]
	v_mov_b32_e32 v8, s19
	v_add_co_u32_e32 v5, vcc, s18, v5
	v_addc_co_u32_e32 v6, vcc, v8, v6, vcc
	v_add_u32_e32 v8, 1, v18
	v_cmp_gt_i32_e32 vcc, s7, v8
	global_store_short v[5:6], v11, off
	s_and_saveexec_b64 s[36:37], vcc
	s_xor_b64 s[36:37], exec, s[36:37]
	s_cbranch_execz .LBB45_2
; %bb.51:                               ;   in Loop: Header=BB45_3 Depth=1
	s_lshl_b64 s[36:37], s[28:29], 1
	v_mov_b32_e32 v8, s37
	v_add_co_u32_e32 v5, vcc, s36, v5
	v_addc_co_u32_e32 v6, vcc, v6, v8, vcc
	global_store_short v[5:6], v3, off
	v_add_u32_e32 v3, 2, v18
	v_cmp_gt_i32_e32 vcc, s7, v3
	s_and_saveexec_b64 s[36:37], vcc
	s_xor_b64 s[36:37], exec, s[36:37]
	s_cbranch_execz .LBB45_2
; %bb.52:                               ;   in Loop: Header=BB45_3 Depth=1
	v_add_u32_e32 v3, s17, v4
	v_ashrrev_i32_e32 v4, 31, v3
	v_lshlrev_b64 v[4:5], 1, v[3:4]
	v_mov_b32_e32 v6, s19
	v_add_co_u32_e32 v4, vcc, s18, v4
	v_addc_co_u32_e32 v5, vcc, v6, v5, vcc
	global_store_short v[4:5], v10, off
	v_add_u32_e32 v4, 3, v18
	v_cmp_gt_i32_e32 vcc, s7, v4
	s_and_saveexec_b64 s[36:37], vcc
	s_xor_b64 s[36:37], exec, s[36:37]
	s_cbranch_execz .LBB45_2
; %bb.53:                               ;   in Loop: Header=BB45_3 Depth=1
	v_add_u32_e32 v3, s28, v3
	v_ashrrev_i32_e32 v4, 31, v3
	v_lshlrev_b64 v[3:4], 1, v[3:4]
	v_mov_b32_e32 v5, s19
	v_add_co_u32_e32 v3, vcc, s18, v3
	v_addc_co_u32_e32 v4, vcc, v5, v4, vcc
	global_store_short v[3:4], v7, off
	s_branch .LBB45_2
.LBB45_54:
	s_endpgm
	.section	.rodata,"a",@progbits
	.p2align	6, 0x0
	.amdhsa_kernel _ZN2at6native16triu_tril_kernelIN3c108BFloat16EiLb0ELi4ELb0EEEvNS_4cuda6detail10TensorInfoIT_T0_EENS6_IKS7_S8_EEllS8_
		.amdhsa_group_segment_fixed_size 0
		.amdhsa_private_segment_fixed_size 0
		.amdhsa_kernarg_size 712
		.amdhsa_user_sgpr_count 6
		.amdhsa_user_sgpr_private_segment_buffer 1
		.amdhsa_user_sgpr_dispatch_ptr 0
		.amdhsa_user_sgpr_queue_ptr 0
		.amdhsa_user_sgpr_kernarg_segment_ptr 1
		.amdhsa_user_sgpr_dispatch_id 0
		.amdhsa_user_sgpr_flat_scratch_init 0
		.amdhsa_user_sgpr_private_segment_size 0
		.amdhsa_uses_dynamic_stack 0
		.amdhsa_system_sgpr_private_segment_wavefront_offset 0
		.amdhsa_system_sgpr_workgroup_id_x 1
		.amdhsa_system_sgpr_workgroup_id_y 0
		.amdhsa_system_sgpr_workgroup_id_z 0
		.amdhsa_system_sgpr_workgroup_info 0
		.amdhsa_system_vgpr_workitem_id 0
		.amdhsa_next_free_vgpr 22
		.amdhsa_next_free_sgpr 69
		.amdhsa_reserve_vcc 1
		.amdhsa_reserve_flat_scratch 0
		.amdhsa_float_round_mode_32 0
		.amdhsa_float_round_mode_16_64 0
		.amdhsa_float_denorm_mode_32 3
		.amdhsa_float_denorm_mode_16_64 3
		.amdhsa_dx10_clamp 1
		.amdhsa_ieee_mode 1
		.amdhsa_fp16_overflow 0
		.amdhsa_exception_fp_ieee_invalid_op 0
		.amdhsa_exception_fp_denorm_src 0
		.amdhsa_exception_fp_ieee_div_zero 0
		.amdhsa_exception_fp_ieee_overflow 0
		.amdhsa_exception_fp_ieee_underflow 0
		.amdhsa_exception_fp_ieee_inexact 0
		.amdhsa_exception_int_div_zero 0
	.end_amdhsa_kernel
	.section	.text._ZN2at6native16triu_tril_kernelIN3c108BFloat16EiLb0ELi4ELb0EEEvNS_4cuda6detail10TensorInfoIT_T0_EENS6_IKS7_S8_EEllS8_,"axG",@progbits,_ZN2at6native16triu_tril_kernelIN3c108BFloat16EiLb0ELi4ELb0EEEvNS_4cuda6detail10TensorInfoIT_T0_EENS6_IKS7_S8_EEllS8_,comdat
.Lfunc_end45:
	.size	_ZN2at6native16triu_tril_kernelIN3c108BFloat16EiLb0ELi4ELb0EEEvNS_4cuda6detail10TensorInfoIT_T0_EENS6_IKS7_S8_EEllS8_, .Lfunc_end45-_ZN2at6native16triu_tril_kernelIN3c108BFloat16EiLb0ELi4ELb0EEEvNS_4cuda6detail10TensorInfoIT_T0_EENS6_IKS7_S8_EEllS8_
                                        ; -- End function
	.set _ZN2at6native16triu_tril_kernelIN3c108BFloat16EiLb0ELi4ELb0EEEvNS_4cuda6detail10TensorInfoIT_T0_EENS6_IKS7_S8_EEllS8_.num_vgpr, 22
	.set _ZN2at6native16triu_tril_kernelIN3c108BFloat16EiLb0ELi4ELb0EEEvNS_4cuda6detail10TensorInfoIT_T0_EENS6_IKS7_S8_EEllS8_.num_agpr, 0
	.set _ZN2at6native16triu_tril_kernelIN3c108BFloat16EiLb0ELi4ELb0EEEvNS_4cuda6detail10TensorInfoIT_T0_EENS6_IKS7_S8_EEllS8_.numbered_sgpr, 69
	.set _ZN2at6native16triu_tril_kernelIN3c108BFloat16EiLb0ELi4ELb0EEEvNS_4cuda6detail10TensorInfoIT_T0_EENS6_IKS7_S8_EEllS8_.num_named_barrier, 0
	.set _ZN2at6native16triu_tril_kernelIN3c108BFloat16EiLb0ELi4ELb0EEEvNS_4cuda6detail10TensorInfoIT_T0_EENS6_IKS7_S8_EEllS8_.private_seg_size, 0
	.set _ZN2at6native16triu_tril_kernelIN3c108BFloat16EiLb0ELi4ELb0EEEvNS_4cuda6detail10TensorInfoIT_T0_EENS6_IKS7_S8_EEllS8_.uses_vcc, 1
	.set _ZN2at6native16triu_tril_kernelIN3c108BFloat16EiLb0ELi4ELb0EEEvNS_4cuda6detail10TensorInfoIT_T0_EENS6_IKS7_S8_EEllS8_.uses_flat_scratch, 0
	.set _ZN2at6native16triu_tril_kernelIN3c108BFloat16EiLb0ELi4ELb0EEEvNS_4cuda6detail10TensorInfoIT_T0_EENS6_IKS7_S8_EEllS8_.has_dyn_sized_stack, 0
	.set _ZN2at6native16triu_tril_kernelIN3c108BFloat16EiLb0ELi4ELb0EEEvNS_4cuda6detail10TensorInfoIT_T0_EENS6_IKS7_S8_EEllS8_.has_recursion, 0
	.set _ZN2at6native16triu_tril_kernelIN3c108BFloat16EiLb0ELi4ELb0EEEvNS_4cuda6detail10TensorInfoIT_T0_EENS6_IKS7_S8_EEllS8_.has_indirect_call, 0
	.section	.AMDGPU.csdata,"",@progbits
; Kernel info:
; codeLenInByte = 6648
; TotalNumSgprs: 73
; NumVgprs: 22
; ScratchSize: 0
; MemoryBound: 0
; FloatMode: 240
; IeeeMode: 1
; LDSByteSize: 0 bytes/workgroup (compile time only)
; SGPRBlocks: 9
; VGPRBlocks: 5
; NumSGPRsForWavesPerEU: 73
; NumVGPRsForWavesPerEU: 22
; Occupancy: 10
; WaveLimiterHint : 1
; COMPUTE_PGM_RSRC2:SCRATCH_EN: 0
; COMPUTE_PGM_RSRC2:USER_SGPR: 6
; COMPUTE_PGM_RSRC2:TRAP_HANDLER: 0
; COMPUTE_PGM_RSRC2:TGID_X_EN: 1
; COMPUTE_PGM_RSRC2:TGID_Y_EN: 0
; COMPUTE_PGM_RSRC2:TGID_Z_EN: 0
; COMPUTE_PGM_RSRC2:TIDIG_COMP_CNT: 0
	.section	.text._ZN2at6native16triu_tril_kernelIN3c108BFloat16ElLb0ELi4ELb1EEEvNS_4cuda6detail10TensorInfoIT_T0_EENS6_IKS7_S8_EEllS8_,"axG",@progbits,_ZN2at6native16triu_tril_kernelIN3c108BFloat16ElLb0ELi4ELb1EEEvNS_4cuda6detail10TensorInfoIT_T0_EENS6_IKS7_S8_EEllS8_,comdat
	.protected	_ZN2at6native16triu_tril_kernelIN3c108BFloat16ElLb0ELi4ELb1EEEvNS_4cuda6detail10TensorInfoIT_T0_EENS6_IKS7_S8_EEllS8_ ; -- Begin function _ZN2at6native16triu_tril_kernelIN3c108BFloat16ElLb0ELi4ELb1EEEvNS_4cuda6detail10TensorInfoIT_T0_EENS6_IKS7_S8_EEllS8_
	.globl	_ZN2at6native16triu_tril_kernelIN3c108BFloat16ElLb0ELi4ELb1EEEvNS_4cuda6detail10TensorInfoIT_T0_EENS6_IKS7_S8_EEllS8_
	.p2align	8
	.type	_ZN2at6native16triu_tril_kernelIN3c108BFloat16ElLb0ELi4ELb1EEEvNS_4cuda6detail10TensorInfoIT_T0_EENS6_IKS7_S8_EEllS8_,@function
_ZN2at6native16triu_tril_kernelIN3c108BFloat16ElLb0ELi4ELb1EEEvNS_4cuda6detail10TensorInfoIT_T0_EENS6_IKS7_S8_EEllS8_: ; @_ZN2at6native16triu_tril_kernelIN3c108BFloat16ElLb0ELi4ELb1EEEvNS_4cuda6detail10TensorInfoIT_T0_EENS6_IKS7_S8_EEllS8_
; %bb.0:
	s_load_dword s2, s[4:5], 0x364
	s_load_dwordx4 s[8:11], s[4:5], 0x340
	s_add_u32 s0, s4, 0x358
	v_mov_b32_e32 v2, 0
	s_addc_u32 s1, s5, 0
	s_waitcnt lgkmcnt(0)
	s_and_b32 s2, s2, 0xffff
	v_mov_b32_e32 v1, v2
	v_mov_b32_e32 v3, s6
	v_mad_u64_u32 v[0:1], s[6:7], s2, v3, v[0:1]
	v_lshlrev_b64 v[0:1], 2, v[0:1]
	v_cmp_gt_i64_e32 vcc, s[10:11], v[0:1]
	s_and_saveexec_b64 s[6:7], vcc
	s_cbranch_execz .LBB46_49
; %bb.1:
	s_load_dword s1, s[0:1], 0x0
	s_add_u32 s34, s4, 0x1a0
	s_load_dword s0, s[4:5], 0x338
	s_addc_u32 s35, s5, 0
	s_load_dwordx2 s[6:7], s[4:5], 0x350
	s_load_dwordx2 s[12:13], s[4:5], 0x0
	s_waitcnt lgkmcnt(0)
	s_mul_i32 s24, s1, s2
	s_mov_b32 s25, 0
	s_add_i32 s2, s0, -2
	s_ashr_i32 s3, s2, 31
	s_ashr_i32 s1, s0, 31
	s_lshl_b64 s[16:17], s[2:3], 3
	s_add_u32 s16, s34, s16
	s_addc_u32 s17, s35, s17
	s_lshl_b64 s[22:23], s[0:1], 3
	s_add_u32 s18, s4, s22
	s_addc_u32 s19, s5, s23
	s_add_i32 s20, s0, -3
	s_ashr_i32 s21, s20, 31
	s_add_u32 s22, s34, s22
	v_cmp_gt_i64_e64 s[14:15], s[0:1], 2
	s_addc_u32 s23, s35, s23
	s_lshl_b32 s33, s24, 2
	s_and_b32 s24, s2, 3
	s_and_b32 s0, s20, 3
	s_cmp_lg_u32 s0, 3
	s_cselect_b64 s[26:27], -1, 0
	s_cmp_gt_u32 s20, 2
	s_cselect_b64 s[28:29], -1, 0
	s_lshl_b64 s[0:1], s[20:21], 3
	s_add_u32 s2, s4, s0
	s_addc_u32 s3, s5, s1
	s_add_u32 s30, s2, 0xd0
	s_addc_u32 s31, s3, 0
	;; [unrolled: 2-line block ×3, first 2 shown]
	s_add_u32 s34, s0, 8
	s_load_dwordx2 s[16:17], s[16:17], 0x8
	s_addc_u32 s35, s1, 0
	s_add_u32 s64, s4, 0xb8
	s_addc_u32 s65, s5, 0
	s_add_u32 s66, s4, 0x190
	s_addc_u32 s67, s5, 0
	s_mov_b64 s[4:5], 0
	s_branch .LBB46_3
.LBB46_2:                               ;   in Loop: Header=BB46_3 Depth=1
	s_or_b64 exec, exec, s[36:37]
	v_add_co_u32_e32 v0, vcc, s33, v0
	v_addc_co_u32_e32 v1, vcc, 0, v1, vcc
	v_cmp_le_i64_e32 vcc, s[10:11], v[0:1]
	s_or_b64 s[4:5], vcc, s[4:5]
	s_andn2_b64 exec, exec, s[4:5]
	s_cbranch_execz .LBB46_49
.LBB46_3:                               ; =>This Loop Header: Depth=1
                                        ;     Child Loop BB46_17 Depth 2
                                        ;     Child Loop BB46_22 Depth 2
	v_or_b32_e32 v3, s7, v1
	v_cmp_ne_u64_e32 vcc, 0, v[2:3]
                                        ; implicit-def: $vgpr6_vgpr7
	s_and_saveexec_b64 s[0:1], vcc
	s_xor_b64 s[2:3], exec, s[0:1]
	s_cbranch_execz .LBB46_5
; %bb.4:                                ;   in Loop: Header=BB46_3 Depth=1
	s_ashr_i32 s36, s7, 31
	s_add_u32 s0, s6, s36
	s_mov_b32 s37, s36
	s_addc_u32 s1, s7, s36
	s_xor_b64 s[38:39], s[0:1], s[36:37]
	v_cvt_f32_u32_e32 v3, s38
	v_cvt_f32_u32_e32 v4, s39
	s_sub_u32 s37, 0, s38
	s_subb_u32 s40, 0, s39
	v_ashrrev_i32_e32 v7, 31, v1
	v_mac_f32_e32 v3, 0x4f800000, v4
	v_rcp_f32_e32 v3, v3
	v_mul_f32_e32 v3, 0x5f7ffffc, v3
	v_mul_f32_e32 v4, 0x2f800000, v3
	v_trunc_f32_e32 v4, v4
	v_mac_f32_e32 v3, 0xcf800000, v4
	v_cvt_u32_f32_e32 v4, v4
	v_cvt_u32_f32_e32 v3, v3
	v_readfirstlane_b32 s41, v4
	v_readfirstlane_b32 s0, v3
	s_mul_i32 s1, s37, s41
	s_mul_hi_u32 s43, s37, s0
	s_mul_i32 s42, s40, s0
	s_add_i32 s1, s43, s1
	s_add_i32 s1, s1, s42
	s_mul_i32 s44, s37, s0
	s_mul_i32 s43, s0, s1
	s_mul_hi_u32 s45, s0, s44
	s_mul_hi_u32 s42, s0, s1
	s_add_u32 s43, s45, s43
	s_addc_u32 s42, 0, s42
	s_mul_hi_u32 s46, s41, s44
	s_mul_i32 s44, s41, s44
	s_add_u32 s43, s43, s44
	s_mul_hi_u32 s45, s41, s1
	s_addc_u32 s42, s42, s46
	s_addc_u32 s43, s45, 0
	s_mul_i32 s1, s41, s1
	s_add_u32 s1, s42, s1
	s_addc_u32 s42, 0, s43
	s_add_u32 s43, s0, s1
	s_cselect_b64 s[0:1], -1, 0
	s_cmp_lg_u64 s[0:1], 0
	s_addc_u32 s41, s41, s42
	s_mul_i32 s0, s37, s41
	s_mul_hi_u32 s1, s37, s43
	s_add_i32 s0, s1, s0
	s_mul_i32 s40, s40, s43
	s_add_i32 s0, s0, s40
	s_mul_i32 s37, s37, s43
	s_mul_hi_u32 s40, s41, s37
	s_mul_i32 s42, s41, s37
	s_mul_i32 s45, s43, s0
	s_mul_hi_u32 s37, s43, s37
	s_mul_hi_u32 s44, s43, s0
	s_add_u32 s37, s37, s45
	s_addc_u32 s44, 0, s44
	s_add_u32 s37, s37, s42
	s_mul_hi_u32 s1, s41, s0
	s_addc_u32 s37, s44, s40
	s_addc_u32 s1, s1, 0
	s_mul_i32 s0, s41, s0
	s_add_u32 s0, s37, s0
	s_addc_u32 s37, 0, s1
	s_add_u32 s40, s43, s0
	s_cselect_b64 s[0:1], -1, 0
	s_cmp_lg_u64 s[0:1], 0
	v_add_co_u32_e32 v3, vcc, v0, v7
	s_addc_u32 s37, s41, s37
	v_xor_b32_e32 v8, v3, v7
	v_mad_u64_u32 v[3:4], s[0:1], v8, s37, 0
	v_mul_hi_u32 v6, v8, s40
	v_addc_co_u32_e32 v5, vcc, v1, v7, vcc
	v_xor_b32_e32 v9, v5, v7
	v_add_co_u32_e32 v10, vcc, v6, v3
	v_addc_co_u32_e32 v11, vcc, 0, v4, vcc
	v_mad_u64_u32 v[3:4], s[0:1], v9, s40, 0
	v_mad_u64_u32 v[5:6], s[0:1], v9, s37, 0
	v_add_co_u32_e32 v3, vcc, v10, v3
	v_addc_co_u32_e32 v3, vcc, v11, v4, vcc
	v_addc_co_u32_e32 v4, vcc, 0, v6, vcc
	v_add_co_u32_e32 v5, vcc, v3, v5
	v_addc_co_u32_e32 v6, vcc, 0, v4, vcc
	v_mul_lo_u32 v10, s39, v5
	v_mul_lo_u32 v11, s38, v6
	v_mad_u64_u32 v[3:4], s[0:1], s38, v5, 0
	v_add3_u32 v4, v4, v11, v10
	v_sub_u32_e32 v10, v9, v4
	v_mov_b32_e32 v11, s39
	v_sub_co_u32_e32 v3, vcc, v8, v3
	v_subb_co_u32_e64 v8, s[0:1], v10, v11, vcc
	v_subrev_co_u32_e64 v10, s[0:1], s38, v3
	v_subbrev_co_u32_e64 v8, s[0:1], 0, v8, s[0:1]
	v_cmp_le_u32_e64 s[0:1], s39, v8
	v_cndmask_b32_e64 v11, 0, -1, s[0:1]
	v_cmp_le_u32_e64 s[0:1], s38, v10
	v_cndmask_b32_e64 v10, 0, -1, s[0:1]
	v_cmp_eq_u32_e64 s[0:1], s39, v8
	v_cndmask_b32_e64 v8, v11, v10, s[0:1]
	v_add_co_u32_e64 v10, s[0:1], 2, v5
	v_subb_co_u32_e32 v4, vcc, v9, v4, vcc
	v_addc_co_u32_e64 v11, s[0:1], 0, v6, s[0:1]
	v_cmp_le_u32_e32 vcc, s39, v4
	v_add_co_u32_e64 v12, s[0:1], 1, v5
	v_cndmask_b32_e64 v9, 0, -1, vcc
	v_cmp_le_u32_e32 vcc, s38, v3
	v_addc_co_u32_e64 v13, s[0:1], 0, v6, s[0:1]
	v_cndmask_b32_e64 v3, 0, -1, vcc
	v_cmp_eq_u32_e32 vcc, s39, v4
	v_cmp_ne_u32_e64 s[0:1], 0, v8
	v_cndmask_b32_e32 v3, v9, v3, vcc
	v_cmp_ne_u32_e32 vcc, 0, v3
	v_cndmask_b32_e64 v4, v12, v10, s[0:1]
	v_cndmask_b32_e64 v8, v13, v11, s[0:1]
	v_cndmask_b32_e32 v4, v5, v4, vcc
	v_xor_b32_e32 v5, s36, v7
	v_cndmask_b32_e32 v3, v6, v8, vcc
	v_xor_b32_e32 v4, v4, v5
	v_xor_b32_e32 v3, v3, v5
	v_sub_co_u32_e32 v6, vcc, v4, v5
	v_subb_co_u32_e32 v7, vcc, v3, v5, vcc
.LBB46_5:                               ;   in Loop: Header=BB46_3 Depth=1
	s_andn2_saveexec_b64 s[0:1], s[2:3]
	s_cbranch_execz .LBB46_7
; %bb.6:                                ;   in Loop: Header=BB46_3 Depth=1
	v_cvt_f32_u32_e32 v3, s6
	s_sub_i32 s2, 0, s6
	v_mov_b32_e32 v7, v2
	v_rcp_iflag_f32_e32 v3, v3
	v_mul_f32_e32 v3, 0x4f7ffffe, v3
	v_cvt_u32_f32_e32 v3, v3
	v_mul_lo_u32 v4, s2, v3
	v_mul_hi_u32 v4, v3, v4
	v_add_u32_e32 v3, v3, v4
	v_mul_hi_u32 v3, v0, v3
	v_mul_lo_u32 v4, v3, s6
	v_add_u32_e32 v5, 1, v3
	v_sub_u32_e32 v4, v0, v4
	v_subrev_u32_e32 v6, s6, v4
	v_cmp_le_u32_e32 vcc, s6, v4
	v_cndmask_b32_e32 v4, v4, v6, vcc
	v_cndmask_b32_e32 v3, v3, v5, vcc
	v_add_u32_e32 v5, 1, v3
	v_cmp_le_u32_e32 vcc, s6, v4
	v_cndmask_b32_e32 v6, v3, v5, vcc
.LBB46_7:                               ;   in Loop: Header=BB46_3 Depth=1
	s_or_b64 exec, exec, s[0:1]
	s_waitcnt lgkmcnt(0)
	v_or_b32_e32 v3, s17, v7
	v_cmp_ne_u64_e32 vcc, 0, v[2:3]
                                        ; implicit-def: $vgpr10_vgpr11
	s_and_saveexec_b64 s[0:1], vcc
	s_xor_b64 s[2:3], exec, s[0:1]
	s_cbranch_execz .LBB46_9
; %bb.8:                                ;   in Loop: Header=BB46_3 Depth=1
	s_ashr_i32 s36, s17, 31
	s_add_u32 s0, s16, s36
	s_mov_b32 s37, s36
	s_addc_u32 s1, s17, s36
	s_xor_b64 s[38:39], s[0:1], s[36:37]
	v_cvt_f32_u32_e32 v3, s38
	v_cvt_f32_u32_e32 v4, s39
	s_sub_u32 s37, 0, s38
	s_subb_u32 s40, 0, s39
	v_ashrrev_i32_e32 v5, 31, v7
	v_mac_f32_e32 v3, 0x4f800000, v4
	v_rcp_f32_e32 v3, v3
	v_mul_f32_e32 v3, 0x5f7ffffc, v3
	v_mul_f32_e32 v4, 0x2f800000, v3
	v_trunc_f32_e32 v4, v4
	v_mac_f32_e32 v3, 0xcf800000, v4
	v_cvt_u32_f32_e32 v4, v4
	v_cvt_u32_f32_e32 v3, v3
	v_readfirstlane_b32 s41, v4
	v_readfirstlane_b32 s0, v3
	s_mul_i32 s1, s37, s41
	s_mul_hi_u32 s43, s37, s0
	s_mul_i32 s42, s40, s0
	s_add_i32 s1, s43, s1
	s_add_i32 s1, s1, s42
	s_mul_i32 s44, s37, s0
	s_mul_i32 s43, s0, s1
	s_mul_hi_u32 s45, s0, s44
	s_mul_hi_u32 s42, s0, s1
	s_add_u32 s43, s45, s43
	s_addc_u32 s42, 0, s42
	s_mul_hi_u32 s46, s41, s44
	s_mul_i32 s44, s41, s44
	s_add_u32 s43, s43, s44
	s_mul_hi_u32 s45, s41, s1
	s_addc_u32 s42, s42, s46
	s_addc_u32 s43, s45, 0
	s_mul_i32 s1, s41, s1
	s_add_u32 s1, s42, s1
	s_addc_u32 s42, 0, s43
	s_add_u32 s43, s0, s1
	s_cselect_b64 s[0:1], -1, 0
	s_cmp_lg_u64 s[0:1], 0
	s_addc_u32 s41, s41, s42
	s_mul_i32 s0, s37, s41
	s_mul_hi_u32 s1, s37, s43
	s_add_i32 s0, s1, s0
	s_mul_i32 s40, s40, s43
	s_add_i32 s0, s0, s40
	s_mul_i32 s37, s37, s43
	s_mul_hi_u32 s40, s41, s37
	s_mul_i32 s42, s41, s37
	s_mul_i32 s45, s43, s0
	s_mul_hi_u32 s37, s43, s37
	s_mul_hi_u32 s44, s43, s0
	s_add_u32 s37, s37, s45
	s_addc_u32 s44, 0, s44
	s_add_u32 s37, s37, s42
	s_mul_hi_u32 s1, s41, s0
	s_addc_u32 s37, s44, s40
	s_addc_u32 s1, s1, 0
	s_mul_i32 s0, s41, s0
	s_add_u32 s0, s37, s0
	s_addc_u32 s37, 0, s1
	s_add_u32 s40, s43, s0
	s_cselect_b64 s[0:1], -1, 0
	s_cmp_lg_u64 s[0:1], 0
	v_add_co_u32_e32 v3, vcc, v6, v5
	s_addc_u32 s37, s41, s37
	v_xor_b32_e32 v10, v3, v5
	v_mad_u64_u32 v[3:4], s[0:1], v10, s37, 0
	v_mul_hi_u32 v9, v10, s40
	v_addc_co_u32_e32 v8, vcc, v7, v5, vcc
	v_xor_b32_e32 v11, v8, v5
	v_add_co_u32_e32 v12, vcc, v9, v3
	v_addc_co_u32_e32 v13, vcc, 0, v4, vcc
	v_mad_u64_u32 v[3:4], s[0:1], v11, s40, 0
	v_mad_u64_u32 v[8:9], s[0:1], v11, s37, 0
	v_add_co_u32_e32 v3, vcc, v12, v3
	v_addc_co_u32_e32 v3, vcc, v13, v4, vcc
	v_addc_co_u32_e32 v4, vcc, 0, v9, vcc
	v_add_co_u32_e32 v8, vcc, v3, v8
	v_addc_co_u32_e32 v9, vcc, 0, v4, vcc
	v_mul_lo_u32 v12, s39, v8
	v_mul_lo_u32 v13, s38, v9
	v_mad_u64_u32 v[3:4], s[0:1], s38, v8, 0
	v_xor_b32_e32 v5, s36, v5
	v_add3_u32 v4, v4, v13, v12
	v_sub_u32_e32 v12, v11, v4
	v_mov_b32_e32 v13, s39
	v_sub_co_u32_e32 v3, vcc, v10, v3
	v_subb_co_u32_e64 v10, s[0:1], v12, v13, vcc
	v_subrev_co_u32_e64 v12, s[0:1], s38, v3
	v_subbrev_co_u32_e64 v10, s[0:1], 0, v10, s[0:1]
	v_cmp_le_u32_e64 s[0:1], s39, v10
	v_cndmask_b32_e64 v13, 0, -1, s[0:1]
	v_cmp_le_u32_e64 s[0:1], s38, v12
	v_cndmask_b32_e64 v12, 0, -1, s[0:1]
	v_cmp_eq_u32_e64 s[0:1], s39, v10
	v_cndmask_b32_e64 v10, v13, v12, s[0:1]
	v_add_co_u32_e64 v12, s[0:1], 2, v8
	v_subb_co_u32_e32 v4, vcc, v11, v4, vcc
	v_addc_co_u32_e64 v13, s[0:1], 0, v9, s[0:1]
	v_cmp_le_u32_e32 vcc, s39, v4
	v_add_co_u32_e64 v14, s[0:1], 1, v8
	v_cndmask_b32_e64 v11, 0, -1, vcc
	v_cmp_le_u32_e32 vcc, s38, v3
	v_addc_co_u32_e64 v15, s[0:1], 0, v9, s[0:1]
	v_cndmask_b32_e64 v3, 0, -1, vcc
	v_cmp_eq_u32_e32 vcc, s39, v4
	v_cmp_ne_u32_e64 s[0:1], 0, v10
	v_cndmask_b32_e32 v3, v11, v3, vcc
	v_cmp_ne_u32_e32 vcc, 0, v3
	v_cndmask_b32_e64 v4, v14, v12, s[0:1]
	v_cndmask_b32_e64 v10, v15, v13, s[0:1]
	v_cndmask_b32_e32 v4, v8, v4, vcc
	v_cndmask_b32_e32 v3, v9, v10, vcc
	v_xor_b32_e32 v4, v4, v5
	v_xor_b32_e32 v3, v3, v5
	v_sub_co_u32_e32 v10, vcc, v4, v5
	v_subb_co_u32_e32 v11, vcc, v3, v5, vcc
.LBB46_9:                               ;   in Loop: Header=BB46_3 Depth=1
	s_andn2_saveexec_b64 s[0:1], s[2:3]
	s_cbranch_execz .LBB46_11
; %bb.10:                               ;   in Loop: Header=BB46_3 Depth=1
	v_cvt_f32_u32_e32 v3, s16
	s_sub_i32 s2, 0, s16
	v_mov_b32_e32 v11, v2
	v_rcp_iflag_f32_e32 v3, v3
	v_mul_f32_e32 v3, 0x4f7ffffe, v3
	v_cvt_u32_f32_e32 v3, v3
	v_mul_lo_u32 v4, s2, v3
	v_mul_hi_u32 v4, v3, v4
	v_add_u32_e32 v3, v3, v4
	v_mul_hi_u32 v3, v6, v3
	v_mul_lo_u32 v4, v3, s16
	v_add_u32_e32 v5, 1, v3
	v_sub_u32_e32 v4, v6, v4
	v_subrev_u32_e32 v8, s16, v4
	v_cmp_le_u32_e32 vcc, s16, v4
	v_cndmask_b32_e32 v4, v4, v8, vcc
	v_cndmask_b32_e32 v3, v3, v5, vcc
	v_add_u32_e32 v5, 1, v3
	v_cmp_le_u32_e32 vcc, s16, v4
	v_cndmask_b32_e32 v10, v3, v5, vcc
.LBB46_11:                              ;   in Loop: Header=BB46_3 Depth=1
	s_or_b64 exec, exec, s[0:1]
	v_mul_lo_u32 v5, v7, s6
	v_mul_lo_u32 v8, v6, s7
	v_mad_u64_u32 v[3:4], s[0:1], v6, s6, 0
	v_mul_lo_u32 v12, v11, s16
	v_mul_lo_u32 v13, v10, s17
	v_add3_u32 v5, v4, v8, v5
	v_mad_u64_u32 v[8:9], s[0:1], v10, s16, 0
	v_sub_co_u32_e32 v4, vcc, v0, v3
	v_subb_co_u32_e32 v5, vcc, v1, v5, vcc
	v_add3_u32 v3, v9, v13, v12
	v_sub_co_u32_e32 v20, vcc, v6, v8
	v_subb_co_u32_e32 v21, vcc, v7, v3, vcc
	v_sub_co_u32_e32 v6, vcc, v4, v20
	v_subb_co_u32_e32 v7, vcc, v5, v21, vcc
	v_add_co_u32_e32 v8, vcc, 4, v6
	v_addc_co_u32_e32 v9, vcc, 0, v7, vcc
	v_cmp_lt_i64_e32 vcc, s[8:9], v[8:9]
	s_and_saveexec_b64 s[36:37], vcc
	s_cbranch_execz .LBB46_2
; %bb.12:                               ;   in Loop: Header=BB46_3 Depth=1
	s_load_dwordx4 s[0:3], s[18:19], 0xc0
	s_andn2_b64 vcc, exec, s[14:15]
	s_waitcnt lgkmcnt(0)
	v_mul_lo_u32 v3, s3, v4
	v_mul_lo_u32 v12, s2, v5
	v_mad_u64_u32 v[8:9], s[38:39], s2, v4, 0
	v_mul_lo_u32 v13, s0, v21
	v_add3_u32 v9, v9, v12, v3
	v_mad_u64_u32 v[8:9], s[38:39], s0, v20, v[8:9]
	v_mul_lo_u32 v3, s1, v20
	v_add3_u32 v9, v3, v9, v13
	s_cbranch_vccnz .LBB46_38
; %bb.13:                               ;   in Loop: Header=BB46_3 Depth=1
	s_andn2_b64 vcc, exec, s[26:27]
	s_mov_b64 s[38:39], s[24:25]
	s_mov_b64 s[40:41], s[34:35]
	;; [unrolled: 1-line block ×4, first 2 shown]
	s_cbranch_vccz .LBB46_17
.LBB46_14:                              ;   in Loop: Header=BB46_3 Depth=1
	s_andn2_b64 vcc, exec, s[28:29]
	s_cbranch_vccnz .LBB46_38
; %bb.15:                               ;   in Loop: Header=BB46_3 Depth=1
	s_lshl_b64 s[0:1], s[42:43], 3
	s_add_u32 s38, s64, s0
	s_addc_u32 s39, s65, s1
	s_add_u32 s40, s66, s0
	s_addc_u32 s41, s67, s1
	;; [unrolled: 2-line block ×3, first 2 shown]
	s_branch .LBB46_22
.LBB46_16:                              ;   in Loop: Header=BB46_17 Depth=2
	s_or_b64 exec, exec, s[0:1]
	v_mul_lo_u32 v3, v13, s46
	v_mul_lo_u32 v16, v12, s47
	v_mad_u64_u32 v[14:15], s[0:1], v12, s46, 0
	s_load_dwordx2 s[0:1], s[44:45], 0x0
	s_add_u32 s42, s42, -1
	v_add3_u32 v3, v15, v16, v3
	v_sub_co_u32_e32 v10, vcc, v10, v14
	s_addc_u32 s43, s43, -1
	v_subb_co_u32_e32 v3, vcc, v11, v3, vcc
	s_add_u32 s44, s44, -8
	s_waitcnt lgkmcnt(0)
	v_mul_lo_u32 v3, s0, v3
	v_mul_lo_u32 v11, s1, v10
	v_mad_u64_u32 v[8:9], s[0:1], s0, v10, v[8:9]
	s_addc_u32 s45, s45, -1
	s_add_u32 s40, s40, -8
	s_addc_u32 s41, s41, -1
	s_add_u32 s38, s38, -1
	s_addc_u32 s39, s39, -1
	v_add3_u32 v9, v11, v9, v3
	v_mov_b32_e32 v10, v12
	s_cmp_lg_u64 s[38:39], 0
	v_mov_b32_e32 v11, v13
	s_cbranch_scc0 .LBB46_14
.LBB46_17:                              ;   Parent Loop BB46_3 Depth=1
                                        ; =>  This Inner Loop Header: Depth=2
	s_load_dwordx2 s[46:47], s[40:41], 0x0
                                        ; implicit-def: $vgpr12_vgpr13
	s_waitcnt lgkmcnt(0)
	v_or_b32_e32 v3, s47, v11
	v_cmp_ne_u64_e32 vcc, 0, v[2:3]
	s_and_saveexec_b64 s[0:1], vcc
	s_xor_b64 s[48:49], exec, s[0:1]
	s_cbranch_execz .LBB46_19
; %bb.18:                               ;   in Loop: Header=BB46_17 Depth=2
	s_ashr_i32 s50, s47, 31
	s_add_u32 s0, s46, s50
	s_mov_b32 s51, s50
	s_addc_u32 s1, s47, s50
	s_xor_b64 s[52:53], s[0:1], s[50:51]
	v_cvt_f32_u32_e32 v3, s52
	v_cvt_f32_u32_e32 v12, s53
	s_sub_u32 s51, 0, s52
	s_subb_u32 s54, 0, s53
	v_mac_f32_e32 v3, 0x4f800000, v12
	v_rcp_f32_e32 v3, v3
	v_mul_f32_e32 v3, 0x5f7ffffc, v3
	v_mul_f32_e32 v12, 0x2f800000, v3
	v_trunc_f32_e32 v12, v12
	v_mac_f32_e32 v3, 0xcf800000, v12
	v_cvt_u32_f32_e32 v12, v12
	v_cvt_u32_f32_e32 v3, v3
	v_readfirstlane_b32 s55, v12
	v_readfirstlane_b32 s0, v3
	s_mul_i32 s1, s51, s55
	s_mul_hi_u32 s57, s51, s0
	s_mul_i32 s56, s54, s0
	s_add_i32 s1, s57, s1
	s_add_i32 s1, s1, s56
	s_mul_i32 s58, s51, s0
	s_mul_i32 s57, s0, s1
	s_mul_hi_u32 s59, s0, s58
	s_mul_hi_u32 s56, s0, s1
	s_add_u32 s57, s59, s57
	s_addc_u32 s56, 0, s56
	s_mul_hi_u32 s60, s55, s58
	s_mul_i32 s58, s55, s58
	s_add_u32 s57, s57, s58
	s_mul_hi_u32 s59, s55, s1
	s_addc_u32 s56, s56, s60
	s_addc_u32 s57, s59, 0
	s_mul_i32 s1, s55, s1
	s_add_u32 s1, s56, s1
	s_addc_u32 s56, 0, s57
	s_add_u32 s57, s0, s1
	s_cselect_b64 s[0:1], -1, 0
	s_cmp_lg_u64 s[0:1], 0
	s_addc_u32 s55, s55, s56
	s_mul_i32 s0, s51, s55
	s_mul_hi_u32 s1, s51, s57
	s_add_i32 s0, s1, s0
	s_mul_i32 s54, s54, s57
	s_add_i32 s0, s0, s54
	s_mul_i32 s51, s51, s57
	s_mul_hi_u32 s54, s55, s51
	s_mul_i32 s56, s55, s51
	s_mul_i32 s59, s57, s0
	s_mul_hi_u32 s51, s57, s51
	s_mul_hi_u32 s58, s57, s0
	s_add_u32 s51, s51, s59
	s_addc_u32 s58, 0, s58
	s_add_u32 s51, s51, s56
	s_mul_hi_u32 s1, s55, s0
	s_addc_u32 s51, s58, s54
	s_addc_u32 s1, s1, 0
	s_mul_i32 s0, s55, s0
	s_add_u32 s0, s51, s0
	s_addc_u32 s51, 0, s1
	s_add_u32 s54, s57, s0
	s_cselect_b64 s[0:1], -1, 0
	v_ashrrev_i32_e32 v3, 31, v11
	s_cmp_lg_u64 s[0:1], 0
	v_add_co_u32_e32 v12, vcc, v10, v3
	s_addc_u32 s51, s55, s51
	v_xor_b32_e32 v16, v12, v3
	v_mad_u64_u32 v[12:13], s[0:1], v16, s51, 0
	v_mul_hi_u32 v15, v16, s54
	v_addc_co_u32_e32 v14, vcc, v11, v3, vcc
	v_xor_b32_e32 v17, v14, v3
	v_add_co_u32_e32 v18, vcc, v15, v12
	v_addc_co_u32_e32 v19, vcc, 0, v13, vcc
	v_mad_u64_u32 v[12:13], s[0:1], v17, s54, 0
	v_mad_u64_u32 v[14:15], s[0:1], v17, s51, 0
	v_add_co_u32_e32 v12, vcc, v18, v12
	v_addc_co_u32_e32 v12, vcc, v19, v13, vcc
	v_addc_co_u32_e32 v13, vcc, 0, v15, vcc
	v_add_co_u32_e32 v14, vcc, v12, v14
	v_addc_co_u32_e32 v15, vcc, 0, v13, vcc
	v_mul_lo_u32 v18, s53, v14
	v_mul_lo_u32 v19, s52, v15
	v_mad_u64_u32 v[12:13], s[0:1], s52, v14, 0
	v_xor_b32_e32 v3, s50, v3
	v_add3_u32 v13, v13, v19, v18
	v_sub_u32_e32 v18, v17, v13
	v_mov_b32_e32 v19, s53
	v_sub_co_u32_e32 v12, vcc, v16, v12
	v_subb_co_u32_e64 v16, s[0:1], v18, v19, vcc
	v_subrev_co_u32_e64 v18, s[0:1], s52, v12
	v_subbrev_co_u32_e64 v16, s[0:1], 0, v16, s[0:1]
	v_cmp_le_u32_e64 s[0:1], s53, v16
	v_cndmask_b32_e64 v19, 0, -1, s[0:1]
	v_cmp_le_u32_e64 s[0:1], s52, v18
	v_cndmask_b32_e64 v18, 0, -1, s[0:1]
	v_cmp_eq_u32_e64 s[0:1], s53, v16
	v_cndmask_b32_e64 v16, v19, v18, s[0:1]
	v_add_co_u32_e64 v18, s[0:1], 2, v14
	v_subb_co_u32_e32 v13, vcc, v17, v13, vcc
	v_addc_co_u32_e64 v19, s[0:1], 0, v15, s[0:1]
	v_cmp_le_u32_e32 vcc, s53, v13
	v_add_co_u32_e64 v22, s[0:1], 1, v14
	v_cndmask_b32_e64 v17, 0, -1, vcc
	v_cmp_le_u32_e32 vcc, s52, v12
	v_addc_co_u32_e64 v23, s[0:1], 0, v15, s[0:1]
	v_cndmask_b32_e64 v12, 0, -1, vcc
	v_cmp_eq_u32_e32 vcc, s53, v13
	v_cmp_ne_u32_e64 s[0:1], 0, v16
	v_cndmask_b32_e32 v12, v17, v12, vcc
	v_cndmask_b32_e64 v16, v23, v19, s[0:1]
	v_cmp_ne_u32_e32 vcc, 0, v12
	v_cndmask_b32_e64 v13, v22, v18, s[0:1]
	v_cndmask_b32_e32 v12, v15, v16, vcc
	v_cndmask_b32_e32 v13, v14, v13, vcc
	v_xor_b32_e32 v14, v12, v3
	v_xor_b32_e32 v12, v13, v3
	v_sub_co_u32_e32 v12, vcc, v12, v3
	v_subb_co_u32_e32 v13, vcc, v14, v3, vcc
.LBB46_19:                              ;   in Loop: Header=BB46_17 Depth=2
	s_andn2_saveexec_b64 s[0:1], s[48:49]
	s_cbranch_execz .LBB46_16
; %bb.20:                               ;   in Loop: Header=BB46_17 Depth=2
	v_cvt_f32_u32_e32 v3, s46
	s_sub_i32 s48, 0, s46
	v_rcp_iflag_f32_e32 v3, v3
	v_mul_f32_e32 v3, 0x4f7ffffe, v3
	v_cvt_u32_f32_e32 v3, v3
	v_mul_lo_u32 v12, s48, v3
	v_mul_hi_u32 v12, v3, v12
	v_add_u32_e32 v3, v3, v12
	v_mul_hi_u32 v3, v10, v3
	v_mul_lo_u32 v12, v3, s46
	v_add_u32_e32 v13, 1, v3
	v_sub_u32_e32 v12, v10, v12
	v_subrev_u32_e32 v14, s46, v12
	v_cmp_le_u32_e32 vcc, s46, v12
	v_cndmask_b32_e32 v12, v12, v14, vcc
	v_cndmask_b32_e32 v3, v3, v13, vcc
	v_add_u32_e32 v13, 1, v3
	v_cmp_le_u32_e32 vcc, s46, v12
	v_cndmask_b32_e32 v12, v3, v13, vcc
	v_mov_b32_e32 v13, v2
	s_branch .LBB46_16
.LBB46_21:                              ;   in Loop: Header=BB46_22 Depth=2
	s_or_b64 exec, exec, s[0:1]
	v_mul_lo_u32 v3, v13, s44
	v_mul_lo_u32 v24, v12, s45
	v_mad_u64_u32 v[22:23], s[0:1], v12, s44, 0
	v_add3_u32 v3, v23, v24, v3
	v_sub_co_u32_e32 v10, vcc, v10, v22
	v_subb_co_u32_e32 v3, vcc, v11, v3, vcc
	v_mul_lo_u32 v3, s48, v3
	v_mul_lo_u32 v22, s49, v10
	v_mad_u64_u32 v[8:9], s[0:1], s48, v10, v[8:9]
	v_mul_lo_u32 v23, v15, s46
	v_mul_lo_u32 v24, v14, s47
	v_mad_u64_u32 v[10:11], s[0:1], v14, s46, 0
	v_add3_u32 v9, v22, v9, v3
	v_mul_lo_u32 v22, v16, s51
	v_add3_u32 v3, v11, v24, v23
	v_sub_co_u32_e32 v10, vcc, v12, v10
	v_subb_co_u32_e32 v3, vcc, v13, v3, vcc
	v_mad_u64_u32 v[8:9], s[0:1], s52, v10, v[8:9]
	v_mul_lo_u32 v3, s52, v3
	v_mul_lo_u32 v12, s53, v10
	;; [unrolled: 1-line block ×3, first 2 shown]
	v_mad_u64_u32 v[10:11], s[0:1], v16, s50, 0
	v_add3_u32 v9, v12, v9, v3
	v_add3_u32 v3, v11, v22, v13
	v_sub_co_u32_e32 v10, vcc, v14, v10
	v_subb_co_u32_e32 v3, vcc, v15, v3, vcc
	v_mad_u64_u32 v[8:9], s[0:1], s56, v10, v[8:9]
	v_mul_lo_u32 v3, s56, v3
	v_mul_lo_u32 v12, s57, v10
	;; [unrolled: 1-line block ×4, first 2 shown]
	v_mad_u64_u32 v[10:11], s[0:1], v18, s54, 0
	s_load_dwordx2 s[0:1], s[38:39], 0x0
	v_add3_u32 v9, v12, v9, v3
	v_add3_u32 v3, v11, v14, v13
	v_sub_co_u32_e32 v10, vcc, v16, v10
	v_subb_co_u32_e32 v3, vcc, v17, v3, vcc
	s_add_u32 s38, s38, 0xffffffe0
	s_waitcnt lgkmcnt(0)
	v_mad_u64_u32 v[8:9], s[44:45], s0, v10, v[8:9]
	v_mul_lo_u32 v3, s0, v3
	v_mul_lo_u32 v10, s1, v10
	s_addc_u32 s39, s39, -1
	s_add_u32 s40, s40, 0xffffffe0
	s_addc_u32 s41, s41, -1
	s_add_u32 s42, s42, -4
	v_add3_u32 v9, v10, v9, v3
	s_addc_u32 s43, s43, -1
	v_mov_b32_e32 v10, v18
	s_cmp_eq_u64 s[42:43], 0
	v_mov_b32_e32 v11, v19
	s_cbranch_scc1 .LBB46_38
.LBB46_22:                              ;   Parent Loop BB46_3 Depth=1
                                        ; =>  This Inner Loop Header: Depth=2
	s_load_dwordx2 s[44:45], s[40:41], 0x18
                                        ; implicit-def: $vgpr12_vgpr13
	s_waitcnt lgkmcnt(0)
	v_or_b32_e32 v3, s45, v11
	v_cmp_ne_u64_e32 vcc, 0, v[2:3]
	s_and_saveexec_b64 s[0:1], vcc
	s_xor_b64 s[46:47], exec, s[0:1]
	s_cbranch_execz .LBB46_24
; %bb.23:                               ;   in Loop: Header=BB46_22 Depth=2
	s_ashr_i32 s48, s45, 31
	s_add_u32 s0, s44, s48
	s_mov_b32 s49, s48
	s_addc_u32 s1, s45, s48
	s_xor_b64 s[50:51], s[0:1], s[48:49]
	v_cvt_f32_u32_e32 v3, s50
	v_cvt_f32_u32_e32 v12, s51
	s_sub_u32 s49, 0, s50
	s_subb_u32 s52, 0, s51
	v_mac_f32_e32 v3, 0x4f800000, v12
	v_rcp_f32_e32 v3, v3
	v_mul_f32_e32 v3, 0x5f7ffffc, v3
	v_mul_f32_e32 v12, 0x2f800000, v3
	v_trunc_f32_e32 v12, v12
	v_mac_f32_e32 v3, 0xcf800000, v12
	v_cvt_u32_f32_e32 v12, v12
	v_cvt_u32_f32_e32 v3, v3
	v_readfirstlane_b32 s53, v12
	v_readfirstlane_b32 s0, v3
	s_mul_i32 s1, s49, s53
	s_mul_hi_u32 s55, s49, s0
	s_mul_i32 s54, s52, s0
	s_add_i32 s1, s55, s1
	s_add_i32 s1, s1, s54
	s_mul_i32 s56, s49, s0
	s_mul_i32 s55, s0, s1
	s_mul_hi_u32 s57, s0, s56
	s_mul_hi_u32 s54, s0, s1
	s_add_u32 s55, s57, s55
	s_addc_u32 s54, 0, s54
	s_mul_hi_u32 s58, s53, s56
	s_mul_i32 s56, s53, s56
	s_add_u32 s55, s55, s56
	s_mul_hi_u32 s57, s53, s1
	s_addc_u32 s54, s54, s58
	s_addc_u32 s55, s57, 0
	s_mul_i32 s1, s53, s1
	s_add_u32 s1, s54, s1
	s_addc_u32 s54, 0, s55
	s_add_u32 s55, s0, s1
	s_cselect_b64 s[0:1], -1, 0
	s_cmp_lg_u64 s[0:1], 0
	s_addc_u32 s53, s53, s54
	s_mul_i32 s0, s49, s53
	s_mul_hi_u32 s1, s49, s55
	s_add_i32 s0, s1, s0
	s_mul_i32 s52, s52, s55
	s_add_i32 s0, s0, s52
	s_mul_i32 s49, s49, s55
	s_mul_hi_u32 s52, s53, s49
	s_mul_i32 s54, s53, s49
	s_mul_i32 s57, s55, s0
	s_mul_hi_u32 s49, s55, s49
	s_mul_hi_u32 s56, s55, s0
	s_add_u32 s49, s49, s57
	s_addc_u32 s56, 0, s56
	s_add_u32 s49, s49, s54
	s_mul_hi_u32 s1, s53, s0
	s_addc_u32 s49, s56, s52
	s_addc_u32 s1, s1, 0
	s_mul_i32 s0, s53, s0
	s_add_u32 s0, s49, s0
	s_addc_u32 s49, 0, s1
	s_add_u32 s52, s55, s0
	s_cselect_b64 s[0:1], -1, 0
	v_ashrrev_i32_e32 v3, 31, v11
	s_cmp_lg_u64 s[0:1], 0
	v_add_co_u32_e32 v12, vcc, v10, v3
	s_addc_u32 s49, s53, s49
	v_xor_b32_e32 v16, v12, v3
	v_mad_u64_u32 v[12:13], s[0:1], v16, s49, 0
	v_mul_hi_u32 v15, v16, s52
	v_addc_co_u32_e32 v14, vcc, v11, v3, vcc
	v_xor_b32_e32 v17, v14, v3
	v_add_co_u32_e32 v18, vcc, v15, v12
	v_addc_co_u32_e32 v19, vcc, 0, v13, vcc
	v_mad_u64_u32 v[12:13], s[0:1], v17, s52, 0
	v_mad_u64_u32 v[14:15], s[0:1], v17, s49, 0
	v_add_co_u32_e32 v12, vcc, v18, v12
	v_addc_co_u32_e32 v12, vcc, v19, v13, vcc
	v_addc_co_u32_e32 v13, vcc, 0, v15, vcc
	v_add_co_u32_e32 v14, vcc, v12, v14
	v_addc_co_u32_e32 v15, vcc, 0, v13, vcc
	v_mul_lo_u32 v18, s51, v14
	v_mul_lo_u32 v19, s50, v15
	v_mad_u64_u32 v[12:13], s[0:1], s50, v14, 0
	v_xor_b32_e32 v3, s48, v3
	v_add3_u32 v13, v13, v19, v18
	v_sub_u32_e32 v18, v17, v13
	v_mov_b32_e32 v19, s51
	v_sub_co_u32_e32 v12, vcc, v16, v12
	v_subb_co_u32_e64 v16, s[0:1], v18, v19, vcc
	v_subrev_co_u32_e64 v18, s[0:1], s50, v12
	v_subbrev_co_u32_e64 v16, s[0:1], 0, v16, s[0:1]
	v_cmp_le_u32_e64 s[0:1], s51, v16
	v_cndmask_b32_e64 v19, 0, -1, s[0:1]
	v_cmp_le_u32_e64 s[0:1], s50, v18
	v_cndmask_b32_e64 v18, 0, -1, s[0:1]
	v_cmp_eq_u32_e64 s[0:1], s51, v16
	v_cndmask_b32_e64 v16, v19, v18, s[0:1]
	v_add_co_u32_e64 v18, s[0:1], 2, v14
	v_subb_co_u32_e32 v13, vcc, v17, v13, vcc
	v_addc_co_u32_e64 v19, s[0:1], 0, v15, s[0:1]
	v_cmp_le_u32_e32 vcc, s51, v13
	v_add_co_u32_e64 v22, s[0:1], 1, v14
	v_cndmask_b32_e64 v17, 0, -1, vcc
	v_cmp_le_u32_e32 vcc, s50, v12
	v_addc_co_u32_e64 v23, s[0:1], 0, v15, s[0:1]
	v_cndmask_b32_e64 v12, 0, -1, vcc
	v_cmp_eq_u32_e32 vcc, s51, v13
	v_cmp_ne_u32_e64 s[0:1], 0, v16
	v_cndmask_b32_e32 v12, v17, v12, vcc
	v_cndmask_b32_e64 v16, v23, v19, s[0:1]
	v_cmp_ne_u32_e32 vcc, 0, v12
	v_cndmask_b32_e64 v13, v22, v18, s[0:1]
	v_cndmask_b32_e32 v12, v15, v16, vcc
	v_cndmask_b32_e32 v13, v14, v13, vcc
	v_xor_b32_e32 v14, v12, v3
	v_xor_b32_e32 v12, v13, v3
	v_sub_co_u32_e32 v12, vcc, v12, v3
	v_subb_co_u32_e32 v13, vcc, v14, v3, vcc
.LBB46_24:                              ;   in Loop: Header=BB46_22 Depth=2
	s_andn2_saveexec_b64 s[0:1], s[46:47]
	s_cbranch_execz .LBB46_26
; %bb.25:                               ;   in Loop: Header=BB46_22 Depth=2
	v_cvt_f32_u32_e32 v3, s44
	s_sub_i32 s46, 0, s44
	v_rcp_iflag_f32_e32 v3, v3
	v_mul_f32_e32 v3, 0x4f7ffffe, v3
	v_cvt_u32_f32_e32 v3, v3
	v_mul_lo_u32 v12, s46, v3
	v_mul_hi_u32 v12, v3, v12
	v_add_u32_e32 v3, v3, v12
	v_mul_hi_u32 v3, v10, v3
	v_mul_lo_u32 v12, v3, s44
	v_add_u32_e32 v13, 1, v3
	v_sub_u32_e32 v12, v10, v12
	v_subrev_u32_e32 v14, s44, v12
	v_cmp_le_u32_e32 vcc, s44, v12
	v_cndmask_b32_e32 v12, v12, v14, vcc
	v_cndmask_b32_e32 v3, v3, v13, vcc
	v_add_u32_e32 v13, 1, v3
	v_cmp_le_u32_e32 vcc, s44, v12
	v_cndmask_b32_e32 v12, v3, v13, vcc
	v_mov_b32_e32 v13, v2
.LBB46_26:                              ;   in Loop: Header=BB46_22 Depth=2
	s_or_b64 exec, exec, s[0:1]
	s_load_dwordx2 s[46:47], s[40:41], 0x10
	s_load_dwordx2 s[48:49], s[38:39], 0x18
                                        ; implicit-def: $vgpr14_vgpr15
	s_waitcnt lgkmcnt(0)
	v_or_b32_e32 v3, s47, v13
	v_cmp_ne_u64_e32 vcc, 0, v[2:3]
	s_and_saveexec_b64 s[0:1], vcc
	s_xor_b64 s[50:51], exec, s[0:1]
	s_cbranch_execz .LBB46_28
; %bb.27:                               ;   in Loop: Header=BB46_22 Depth=2
	s_ashr_i32 s52, s47, 31
	s_add_u32 s0, s46, s52
	s_mov_b32 s53, s52
	s_addc_u32 s1, s47, s52
	s_xor_b64 s[54:55], s[0:1], s[52:53]
	v_cvt_f32_u32_e32 v3, s54
	v_cvt_f32_u32_e32 v14, s55
	s_sub_u32 s53, 0, s54
	s_subb_u32 s56, 0, s55
	v_mac_f32_e32 v3, 0x4f800000, v14
	v_rcp_f32_e32 v3, v3
	v_mul_f32_e32 v3, 0x5f7ffffc, v3
	v_mul_f32_e32 v14, 0x2f800000, v3
	v_trunc_f32_e32 v14, v14
	v_mac_f32_e32 v3, 0xcf800000, v14
	v_cvt_u32_f32_e32 v14, v14
	v_cvt_u32_f32_e32 v3, v3
	v_readfirstlane_b32 s57, v14
	v_readfirstlane_b32 s0, v3
	s_mul_i32 s1, s53, s57
	s_mul_hi_u32 s59, s53, s0
	s_mul_i32 s58, s56, s0
	s_add_i32 s1, s59, s1
	s_add_i32 s1, s1, s58
	s_mul_i32 s60, s53, s0
	s_mul_i32 s59, s0, s1
	s_mul_hi_u32 s61, s0, s60
	s_mul_hi_u32 s58, s0, s1
	s_add_u32 s59, s61, s59
	s_addc_u32 s58, 0, s58
	s_mul_hi_u32 s62, s57, s60
	s_mul_i32 s60, s57, s60
	s_add_u32 s59, s59, s60
	s_mul_hi_u32 s61, s57, s1
	s_addc_u32 s58, s58, s62
	s_addc_u32 s59, s61, 0
	s_mul_i32 s1, s57, s1
	s_add_u32 s1, s58, s1
	s_addc_u32 s58, 0, s59
	s_add_u32 s59, s0, s1
	s_cselect_b64 s[0:1], -1, 0
	s_cmp_lg_u64 s[0:1], 0
	s_addc_u32 s57, s57, s58
	s_mul_i32 s0, s53, s57
	s_mul_hi_u32 s1, s53, s59
	s_add_i32 s0, s1, s0
	s_mul_i32 s56, s56, s59
	s_add_i32 s0, s0, s56
	s_mul_i32 s53, s53, s59
	s_mul_hi_u32 s56, s57, s53
	s_mul_i32 s58, s57, s53
	s_mul_i32 s61, s59, s0
	s_mul_hi_u32 s53, s59, s53
	s_mul_hi_u32 s60, s59, s0
	s_add_u32 s53, s53, s61
	s_addc_u32 s60, 0, s60
	s_add_u32 s53, s53, s58
	s_mul_hi_u32 s1, s57, s0
	s_addc_u32 s53, s60, s56
	s_addc_u32 s1, s1, 0
	s_mul_i32 s0, s57, s0
	s_add_u32 s0, s53, s0
	s_addc_u32 s53, 0, s1
	s_add_u32 s56, s59, s0
	s_cselect_b64 s[0:1], -1, 0
	v_ashrrev_i32_e32 v3, 31, v13
	s_cmp_lg_u64 s[0:1], 0
	v_add_co_u32_e32 v14, vcc, v12, v3
	s_addc_u32 s53, s57, s53
	v_xor_b32_e32 v18, v14, v3
	v_mad_u64_u32 v[14:15], s[0:1], v18, s53, 0
	v_mul_hi_u32 v17, v18, s56
	v_addc_co_u32_e32 v16, vcc, v13, v3, vcc
	v_xor_b32_e32 v19, v16, v3
	v_add_co_u32_e32 v22, vcc, v17, v14
	v_addc_co_u32_e32 v23, vcc, 0, v15, vcc
	v_mad_u64_u32 v[14:15], s[0:1], v19, s56, 0
	v_mad_u64_u32 v[16:17], s[0:1], v19, s53, 0
	v_add_co_u32_e32 v14, vcc, v22, v14
	v_addc_co_u32_e32 v14, vcc, v23, v15, vcc
	v_addc_co_u32_e32 v15, vcc, 0, v17, vcc
	v_add_co_u32_e32 v16, vcc, v14, v16
	v_addc_co_u32_e32 v17, vcc, 0, v15, vcc
	v_mul_lo_u32 v22, s55, v16
	v_mul_lo_u32 v23, s54, v17
	v_mad_u64_u32 v[14:15], s[0:1], s54, v16, 0
	v_xor_b32_e32 v3, s52, v3
	v_add3_u32 v15, v15, v23, v22
	v_sub_u32_e32 v22, v19, v15
	v_mov_b32_e32 v23, s55
	v_sub_co_u32_e32 v14, vcc, v18, v14
	v_subb_co_u32_e64 v18, s[0:1], v22, v23, vcc
	v_subrev_co_u32_e64 v22, s[0:1], s54, v14
	v_subbrev_co_u32_e64 v18, s[0:1], 0, v18, s[0:1]
	v_cmp_le_u32_e64 s[0:1], s55, v18
	v_cndmask_b32_e64 v23, 0, -1, s[0:1]
	v_cmp_le_u32_e64 s[0:1], s54, v22
	v_cndmask_b32_e64 v22, 0, -1, s[0:1]
	v_cmp_eq_u32_e64 s[0:1], s55, v18
	v_cndmask_b32_e64 v18, v23, v22, s[0:1]
	v_add_co_u32_e64 v22, s[0:1], 2, v16
	v_subb_co_u32_e32 v15, vcc, v19, v15, vcc
	v_addc_co_u32_e64 v23, s[0:1], 0, v17, s[0:1]
	v_cmp_le_u32_e32 vcc, s55, v15
	v_add_co_u32_e64 v24, s[0:1], 1, v16
	v_cndmask_b32_e64 v19, 0, -1, vcc
	v_cmp_le_u32_e32 vcc, s54, v14
	v_addc_co_u32_e64 v25, s[0:1], 0, v17, s[0:1]
	v_cndmask_b32_e64 v14, 0, -1, vcc
	v_cmp_eq_u32_e32 vcc, s55, v15
	v_cmp_ne_u32_e64 s[0:1], 0, v18
	v_cndmask_b32_e32 v14, v19, v14, vcc
	v_cndmask_b32_e64 v18, v25, v23, s[0:1]
	v_cmp_ne_u32_e32 vcc, 0, v14
	v_cndmask_b32_e64 v15, v24, v22, s[0:1]
	v_cndmask_b32_e32 v14, v17, v18, vcc
	v_cndmask_b32_e32 v15, v16, v15, vcc
	v_xor_b32_e32 v16, v14, v3
	v_xor_b32_e32 v14, v15, v3
	v_sub_co_u32_e32 v14, vcc, v14, v3
	v_subb_co_u32_e32 v15, vcc, v16, v3, vcc
.LBB46_28:                              ;   in Loop: Header=BB46_22 Depth=2
	s_andn2_saveexec_b64 s[0:1], s[50:51]
	s_cbranch_execz .LBB46_30
; %bb.29:                               ;   in Loop: Header=BB46_22 Depth=2
	v_cvt_f32_u32_e32 v3, s46
	s_sub_i32 s50, 0, s46
	v_rcp_iflag_f32_e32 v3, v3
	v_mul_f32_e32 v3, 0x4f7ffffe, v3
	v_cvt_u32_f32_e32 v3, v3
	v_mul_lo_u32 v14, s50, v3
	v_mul_hi_u32 v14, v3, v14
	v_add_u32_e32 v3, v3, v14
	v_mul_hi_u32 v3, v12, v3
	v_mul_lo_u32 v14, v3, s46
	v_add_u32_e32 v15, 1, v3
	v_sub_u32_e32 v14, v12, v14
	v_subrev_u32_e32 v16, s46, v14
	v_cmp_le_u32_e32 vcc, s46, v14
	v_cndmask_b32_e32 v14, v14, v16, vcc
	v_cndmask_b32_e32 v3, v3, v15, vcc
	v_add_u32_e32 v15, 1, v3
	v_cmp_le_u32_e32 vcc, s46, v14
	v_cndmask_b32_e32 v14, v3, v15, vcc
	v_mov_b32_e32 v15, v2
.LBB46_30:                              ;   in Loop: Header=BB46_22 Depth=2
	s_or_b64 exec, exec, s[0:1]
	s_load_dwordx2 s[50:51], s[40:41], 0x8
	s_load_dwordx2 s[52:53], s[38:39], 0x10
                                        ; implicit-def: $vgpr16_vgpr17
	s_waitcnt lgkmcnt(0)
	v_or_b32_e32 v3, s51, v15
	v_cmp_ne_u64_e32 vcc, 0, v[2:3]
	s_and_saveexec_b64 s[0:1], vcc
	s_xor_b64 s[54:55], exec, s[0:1]
	s_cbranch_execz .LBB46_32
; %bb.31:                               ;   in Loop: Header=BB46_22 Depth=2
	s_ashr_i32 s56, s51, 31
	s_add_u32 s0, s50, s56
	s_mov_b32 s57, s56
	s_addc_u32 s1, s51, s56
	s_xor_b64 s[58:59], s[0:1], s[56:57]
	v_cvt_f32_u32_e32 v3, s58
	v_cvt_f32_u32_e32 v16, s59
	s_sub_u32 s57, 0, s58
	s_subb_u32 s60, 0, s59
	v_mac_f32_e32 v3, 0x4f800000, v16
	v_rcp_f32_e32 v3, v3
	v_mul_f32_e32 v3, 0x5f7ffffc, v3
	v_mul_f32_e32 v16, 0x2f800000, v3
	v_trunc_f32_e32 v16, v16
	v_mac_f32_e32 v3, 0xcf800000, v16
	v_cvt_u32_f32_e32 v16, v16
	v_cvt_u32_f32_e32 v3, v3
	v_readfirstlane_b32 s61, v16
	v_readfirstlane_b32 s0, v3
	s_mul_i32 s1, s57, s61
	s_mul_hi_u32 s63, s57, s0
	s_mul_i32 s62, s60, s0
	s_add_i32 s1, s63, s1
	s_add_i32 s1, s1, s62
	s_mul_i32 s68, s57, s0
	s_mul_i32 s63, s0, s1
	s_mul_hi_u32 s69, s0, s68
	s_mul_hi_u32 s62, s0, s1
	s_add_u32 s63, s69, s63
	s_addc_u32 s62, 0, s62
	s_mul_hi_u32 s70, s61, s68
	s_mul_i32 s68, s61, s68
	s_add_u32 s63, s63, s68
	s_mul_hi_u32 s69, s61, s1
	s_addc_u32 s62, s62, s70
	s_addc_u32 s63, s69, 0
	s_mul_i32 s1, s61, s1
	s_add_u32 s1, s62, s1
	s_addc_u32 s62, 0, s63
	s_add_u32 s63, s0, s1
	s_cselect_b64 s[0:1], -1, 0
	s_cmp_lg_u64 s[0:1], 0
	s_addc_u32 s61, s61, s62
	s_mul_i32 s0, s57, s61
	s_mul_hi_u32 s1, s57, s63
	s_add_i32 s0, s1, s0
	s_mul_i32 s60, s60, s63
	s_add_i32 s0, s0, s60
	s_mul_i32 s57, s57, s63
	s_mul_hi_u32 s60, s61, s57
	s_mul_i32 s62, s61, s57
	s_mul_i32 s69, s63, s0
	s_mul_hi_u32 s57, s63, s57
	s_mul_hi_u32 s68, s63, s0
	s_add_u32 s57, s57, s69
	s_addc_u32 s68, 0, s68
	s_add_u32 s57, s57, s62
	s_mul_hi_u32 s1, s61, s0
	s_addc_u32 s57, s68, s60
	s_addc_u32 s1, s1, 0
	s_mul_i32 s0, s61, s0
	s_add_u32 s0, s57, s0
	s_addc_u32 s57, 0, s1
	s_add_u32 s60, s63, s0
	s_cselect_b64 s[0:1], -1, 0
	v_ashrrev_i32_e32 v3, 31, v15
	s_cmp_lg_u64 s[0:1], 0
	v_add_co_u32_e32 v16, vcc, v14, v3
	s_addc_u32 s57, s61, s57
	v_xor_b32_e32 v22, v16, v3
	v_mad_u64_u32 v[16:17], s[0:1], v22, s57, 0
	v_mul_hi_u32 v19, v22, s60
	v_addc_co_u32_e32 v18, vcc, v15, v3, vcc
	v_xor_b32_e32 v23, v18, v3
	v_add_co_u32_e32 v24, vcc, v19, v16
	v_addc_co_u32_e32 v25, vcc, 0, v17, vcc
	v_mad_u64_u32 v[16:17], s[0:1], v23, s60, 0
	v_mad_u64_u32 v[18:19], s[0:1], v23, s57, 0
	v_add_co_u32_e32 v16, vcc, v24, v16
	v_addc_co_u32_e32 v16, vcc, v25, v17, vcc
	v_addc_co_u32_e32 v17, vcc, 0, v19, vcc
	v_add_co_u32_e32 v18, vcc, v16, v18
	v_addc_co_u32_e32 v19, vcc, 0, v17, vcc
	v_mul_lo_u32 v24, s59, v18
	v_mul_lo_u32 v25, s58, v19
	v_mad_u64_u32 v[16:17], s[0:1], s58, v18, 0
	v_xor_b32_e32 v3, s56, v3
	v_add3_u32 v17, v17, v25, v24
	v_sub_u32_e32 v24, v23, v17
	v_mov_b32_e32 v25, s59
	v_sub_co_u32_e32 v16, vcc, v22, v16
	v_subb_co_u32_e64 v22, s[0:1], v24, v25, vcc
	v_subrev_co_u32_e64 v24, s[0:1], s58, v16
	v_subbrev_co_u32_e64 v22, s[0:1], 0, v22, s[0:1]
	v_cmp_le_u32_e64 s[0:1], s59, v22
	v_cndmask_b32_e64 v25, 0, -1, s[0:1]
	v_cmp_le_u32_e64 s[0:1], s58, v24
	v_cndmask_b32_e64 v24, 0, -1, s[0:1]
	v_cmp_eq_u32_e64 s[0:1], s59, v22
	v_cndmask_b32_e64 v22, v25, v24, s[0:1]
	v_add_co_u32_e64 v24, s[0:1], 2, v18
	v_subb_co_u32_e32 v17, vcc, v23, v17, vcc
	v_addc_co_u32_e64 v25, s[0:1], 0, v19, s[0:1]
	v_cmp_le_u32_e32 vcc, s59, v17
	v_add_co_u32_e64 v26, s[0:1], 1, v18
	v_cndmask_b32_e64 v23, 0, -1, vcc
	v_cmp_le_u32_e32 vcc, s58, v16
	v_addc_co_u32_e64 v27, s[0:1], 0, v19, s[0:1]
	v_cndmask_b32_e64 v16, 0, -1, vcc
	v_cmp_eq_u32_e32 vcc, s59, v17
	v_cmp_ne_u32_e64 s[0:1], 0, v22
	v_cndmask_b32_e32 v16, v23, v16, vcc
	v_cndmask_b32_e64 v22, v27, v25, s[0:1]
	v_cmp_ne_u32_e32 vcc, 0, v16
	v_cndmask_b32_e64 v17, v26, v24, s[0:1]
	v_cndmask_b32_e32 v16, v19, v22, vcc
	v_cndmask_b32_e32 v17, v18, v17, vcc
	v_xor_b32_e32 v18, v16, v3
	v_xor_b32_e32 v16, v17, v3
	v_sub_co_u32_e32 v16, vcc, v16, v3
	v_subb_co_u32_e32 v17, vcc, v18, v3, vcc
.LBB46_32:                              ;   in Loop: Header=BB46_22 Depth=2
	s_andn2_saveexec_b64 s[0:1], s[54:55]
	s_cbranch_execz .LBB46_34
; %bb.33:                               ;   in Loop: Header=BB46_22 Depth=2
	v_cvt_f32_u32_e32 v3, s50
	s_sub_i32 s54, 0, s50
	v_rcp_iflag_f32_e32 v3, v3
	v_mul_f32_e32 v3, 0x4f7ffffe, v3
	v_cvt_u32_f32_e32 v3, v3
	v_mul_lo_u32 v16, s54, v3
	v_mul_hi_u32 v16, v3, v16
	v_add_u32_e32 v3, v3, v16
	v_mul_hi_u32 v3, v14, v3
	v_mul_lo_u32 v16, v3, s50
	v_add_u32_e32 v17, 1, v3
	v_sub_u32_e32 v16, v14, v16
	v_subrev_u32_e32 v18, s50, v16
	v_cmp_le_u32_e32 vcc, s50, v16
	v_cndmask_b32_e32 v16, v16, v18, vcc
	v_cndmask_b32_e32 v3, v3, v17, vcc
	v_add_u32_e32 v17, 1, v3
	v_cmp_le_u32_e32 vcc, s50, v16
	v_cndmask_b32_e32 v16, v3, v17, vcc
	v_mov_b32_e32 v17, v2
.LBB46_34:                              ;   in Loop: Header=BB46_22 Depth=2
	s_or_b64 exec, exec, s[0:1]
	s_load_dwordx2 s[54:55], s[40:41], 0x0
	s_load_dwordx2 s[56:57], s[38:39], 0x8
                                        ; implicit-def: $vgpr18_vgpr19
	s_waitcnt lgkmcnt(0)
	v_or_b32_e32 v3, s55, v17
	v_cmp_ne_u64_e32 vcc, 0, v[2:3]
	s_and_saveexec_b64 s[0:1], vcc
	s_xor_b64 s[58:59], exec, s[0:1]
	s_cbranch_execz .LBB46_36
; %bb.35:                               ;   in Loop: Header=BB46_22 Depth=2
	s_ashr_i32 s60, s55, 31
	s_add_u32 s0, s54, s60
	s_mov_b32 s61, s60
	s_addc_u32 s1, s55, s60
	s_xor_b64 s[62:63], s[0:1], s[60:61]
	v_cvt_f32_u32_e32 v3, s62
	v_cvt_f32_u32_e32 v18, s63
	s_sub_u32 s61, 0, s62
	s_subb_u32 s68, 0, s63
	v_mac_f32_e32 v3, 0x4f800000, v18
	v_rcp_f32_e32 v3, v3
	v_mul_f32_e32 v3, 0x5f7ffffc, v3
	v_mul_f32_e32 v18, 0x2f800000, v3
	v_trunc_f32_e32 v18, v18
	v_mac_f32_e32 v3, 0xcf800000, v18
	v_cvt_u32_f32_e32 v18, v18
	v_cvt_u32_f32_e32 v3, v3
	v_readfirstlane_b32 s69, v18
	v_readfirstlane_b32 s0, v3
	s_mul_i32 s1, s61, s69
	s_mul_hi_u32 s71, s61, s0
	s_mul_i32 s70, s68, s0
	s_add_i32 s1, s71, s1
	s_add_i32 s1, s1, s70
	s_mul_i32 s72, s61, s0
	s_mul_i32 s71, s0, s1
	s_mul_hi_u32 s73, s0, s72
	s_mul_hi_u32 s70, s0, s1
	s_add_u32 s71, s73, s71
	s_addc_u32 s70, 0, s70
	s_mul_hi_u32 s74, s69, s72
	s_mul_i32 s72, s69, s72
	s_add_u32 s71, s71, s72
	s_mul_hi_u32 s73, s69, s1
	s_addc_u32 s70, s70, s74
	s_addc_u32 s71, s73, 0
	s_mul_i32 s1, s69, s1
	s_add_u32 s1, s70, s1
	s_addc_u32 s70, 0, s71
	s_add_u32 s71, s0, s1
	s_cselect_b64 s[0:1], -1, 0
	s_cmp_lg_u64 s[0:1], 0
	s_addc_u32 s69, s69, s70
	s_mul_i32 s0, s61, s69
	s_mul_hi_u32 s1, s61, s71
	s_add_i32 s0, s1, s0
	s_mul_i32 s68, s68, s71
	s_add_i32 s0, s0, s68
	s_mul_i32 s61, s61, s71
	s_mul_hi_u32 s68, s69, s61
	s_mul_i32 s70, s69, s61
	s_mul_i32 s73, s71, s0
	s_mul_hi_u32 s61, s71, s61
	s_mul_hi_u32 s72, s71, s0
	s_add_u32 s61, s61, s73
	s_addc_u32 s72, 0, s72
	s_add_u32 s61, s61, s70
	s_mul_hi_u32 s1, s69, s0
	s_addc_u32 s61, s72, s68
	s_addc_u32 s1, s1, 0
	s_mul_i32 s0, s69, s0
	s_add_u32 s0, s61, s0
	s_addc_u32 s61, 0, s1
	s_add_u32 s68, s71, s0
	s_cselect_b64 s[0:1], -1, 0
	v_ashrrev_i32_e32 v3, 31, v17
	s_cmp_lg_u64 s[0:1], 0
	v_add_co_u32_e32 v18, vcc, v16, v3
	s_addc_u32 s61, s69, s61
	v_xor_b32_e32 v24, v18, v3
	v_mad_u64_u32 v[18:19], s[0:1], v24, s61, 0
	v_mul_hi_u32 v23, v24, s68
	v_addc_co_u32_e32 v22, vcc, v17, v3, vcc
	v_xor_b32_e32 v25, v22, v3
	v_add_co_u32_e32 v26, vcc, v23, v18
	v_addc_co_u32_e32 v27, vcc, 0, v19, vcc
	v_mad_u64_u32 v[18:19], s[0:1], v25, s68, 0
	v_mad_u64_u32 v[22:23], s[0:1], v25, s61, 0
	v_add_co_u32_e32 v18, vcc, v26, v18
	v_addc_co_u32_e32 v18, vcc, v27, v19, vcc
	v_addc_co_u32_e32 v19, vcc, 0, v23, vcc
	v_add_co_u32_e32 v22, vcc, v18, v22
	v_addc_co_u32_e32 v23, vcc, 0, v19, vcc
	v_mul_lo_u32 v26, s63, v22
	v_mul_lo_u32 v27, s62, v23
	v_mad_u64_u32 v[18:19], s[0:1], s62, v22, 0
	v_xor_b32_e32 v3, s60, v3
	v_add3_u32 v19, v19, v27, v26
	v_sub_u32_e32 v26, v25, v19
	v_mov_b32_e32 v27, s63
	v_sub_co_u32_e32 v18, vcc, v24, v18
	v_subb_co_u32_e64 v24, s[0:1], v26, v27, vcc
	v_subrev_co_u32_e64 v26, s[0:1], s62, v18
	v_subbrev_co_u32_e64 v24, s[0:1], 0, v24, s[0:1]
	v_cmp_le_u32_e64 s[0:1], s63, v24
	v_cndmask_b32_e64 v27, 0, -1, s[0:1]
	v_cmp_le_u32_e64 s[0:1], s62, v26
	v_cndmask_b32_e64 v26, 0, -1, s[0:1]
	v_cmp_eq_u32_e64 s[0:1], s63, v24
	v_cndmask_b32_e64 v24, v27, v26, s[0:1]
	v_add_co_u32_e64 v26, s[0:1], 2, v22
	v_subb_co_u32_e32 v19, vcc, v25, v19, vcc
	v_addc_co_u32_e64 v27, s[0:1], 0, v23, s[0:1]
	v_cmp_le_u32_e32 vcc, s63, v19
	v_add_co_u32_e64 v28, s[0:1], 1, v22
	v_cndmask_b32_e64 v25, 0, -1, vcc
	v_cmp_le_u32_e32 vcc, s62, v18
	v_addc_co_u32_e64 v29, s[0:1], 0, v23, s[0:1]
	v_cndmask_b32_e64 v18, 0, -1, vcc
	v_cmp_eq_u32_e32 vcc, s63, v19
	v_cmp_ne_u32_e64 s[0:1], 0, v24
	v_cndmask_b32_e32 v18, v25, v18, vcc
	v_cndmask_b32_e64 v24, v29, v27, s[0:1]
	v_cmp_ne_u32_e32 vcc, 0, v18
	v_cndmask_b32_e64 v19, v28, v26, s[0:1]
	v_cndmask_b32_e32 v18, v23, v24, vcc
	v_cndmask_b32_e32 v19, v22, v19, vcc
	v_xor_b32_e32 v22, v18, v3
	v_xor_b32_e32 v18, v19, v3
	v_sub_co_u32_e32 v18, vcc, v18, v3
	v_subb_co_u32_e32 v19, vcc, v22, v3, vcc
.LBB46_36:                              ;   in Loop: Header=BB46_22 Depth=2
	s_andn2_saveexec_b64 s[0:1], s[58:59]
	s_cbranch_execz .LBB46_21
; %bb.37:                               ;   in Loop: Header=BB46_22 Depth=2
	v_cvt_f32_u32_e32 v3, s54
	s_sub_i32 s58, 0, s54
	v_rcp_iflag_f32_e32 v3, v3
	v_mul_f32_e32 v3, 0x4f7ffffe, v3
	v_cvt_u32_f32_e32 v3, v3
	v_mul_lo_u32 v18, s58, v3
	v_mul_hi_u32 v18, v3, v18
	v_add_u32_e32 v3, v3, v18
	v_mul_hi_u32 v3, v16, v3
	v_mul_lo_u32 v18, v3, s54
	v_add_u32_e32 v19, 1, v3
	v_sub_u32_e32 v18, v16, v18
	v_subrev_u32_e32 v22, s54, v18
	v_cmp_le_u32_e32 vcc, s54, v18
	v_cndmask_b32_e32 v18, v18, v22, vcc
	v_cndmask_b32_e32 v3, v3, v19, vcc
	v_add_u32_e32 v19, 1, v3
	v_cmp_le_u32_e32 vcc, s54, v18
	v_cndmask_b32_e32 v18, v3, v19, vcc
	v_mov_b32_e32 v19, v2
	s_branch .LBB46_21
.LBB46_38:                              ;   in Loop: Header=BB46_3 Depth=1
	s_load_dwordx2 s[38:39], s[22:23], 0x0
	s_waitcnt lgkmcnt(0)
	v_cmp_gt_i64_e32 vcc, s[38:39], v[4:5]
	s_and_b64 exec, exec, vcc
	s_cbranch_execz .LBB46_2
; %bb.39:                               ;   in Loop: Header=BB46_3 Depth=1
	v_lshlrev_b64 v[8:9], 1, v[8:9]
	v_mov_b32_e32 v3, s13
	v_cmp_lt_i64_e32 vcc, s[8:9], v[6:7]
	v_add_co_u32_e64 v6, s[0:1], s12, v8
	v_addc_co_u32_e64 v7, s[0:1], v3, v9, s[0:1]
	s_and_saveexec_b64 s[0:1], vcc
	s_cbranch_execz .LBB46_41
; %bb.40:                               ;   in Loop: Header=BB46_3 Depth=1
	global_store_short v[6:7], v2, off
.LBB46_41:                              ;   in Loop: Header=BB46_3 Depth=1
	s_or_b64 exec, exec, s[0:1]
	v_add_co_u32_e32 v8, vcc, 1, v4
	v_addc_co_u32_e32 v9, vcc, 0, v5, vcc
	v_cmp_gt_i64_e32 vcc, s[38:39], v[8:9]
	s_and_b64 exec, exec, vcc
	s_cbranch_execz .LBB46_2
; %bb.42:                               ;   in Loop: Header=BB46_3 Depth=1
	v_sub_co_u32_e32 v8, vcc, v8, v20
	v_subb_co_u32_e32 v9, vcc, v9, v21, vcc
	v_cmp_lt_i64_e32 vcc, s[8:9], v[8:9]
	s_and_saveexec_b64 s[0:1], vcc
	s_cbranch_execz .LBB46_44
; %bb.43:                               ;   in Loop: Header=BB46_3 Depth=1
	s_lshl_b64 s[40:41], s[2:3], 1
	v_mov_b32_e32 v3, s41
	v_add_co_u32_e32 v8, vcc, s40, v6
	v_addc_co_u32_e32 v9, vcc, v7, v3, vcc
	global_store_short v[8:9], v2, off
.LBB46_44:                              ;   in Loop: Header=BB46_3 Depth=1
	s_or_b64 exec, exec, s[0:1]
	v_add_co_u32_e32 v8, vcc, 2, v4
	v_addc_co_u32_e32 v9, vcc, 0, v5, vcc
	v_cmp_gt_i64_e32 vcc, s[38:39], v[8:9]
	s_and_b64 exec, exec, vcc
	s_cbranch_execz .LBB46_2
; %bb.45:                               ;   in Loop: Header=BB46_3 Depth=1
	v_sub_co_u32_e32 v8, vcc, v8, v20
	v_subb_co_u32_e32 v9, vcc, v9, v21, vcc
	v_cmp_lt_i64_e32 vcc, s[8:9], v[8:9]
	s_and_saveexec_b64 s[0:1], vcc
	s_cbranch_execz .LBB46_47
; %bb.46:                               ;   in Loop: Header=BB46_3 Depth=1
	s_lshl_b64 s[40:41], s[2:3], 2
	v_mov_b32_e32 v3, s41
	v_add_co_u32_e32 v8, vcc, s40, v6
	v_addc_co_u32_e32 v9, vcc, v7, v3, vcc
	global_store_short v[8:9], v2, off
.LBB46_47:                              ;   in Loop: Header=BB46_3 Depth=1
	s_or_b64 exec, exec, s[0:1]
	v_add_co_u32_e32 v3, vcc, 3, v4
	v_addc_co_u32_e32 v4, vcc, 0, v5, vcc
	v_cmp_gt_i64_e32 vcc, s[38:39], v[3:4]
	v_sub_co_u32_e64 v3, s[0:1], v3, v20
	v_subb_co_u32_e64 v4, s[0:1], v4, v21, s[0:1]
	v_cmp_lt_i64_e64 s[0:1], s[8:9], v[3:4]
	s_and_b64 s[0:1], vcc, s[0:1]
	s_and_b64 exec, exec, s[0:1]
	s_cbranch_execz .LBB46_2
; %bb.48:                               ;   in Loop: Header=BB46_3 Depth=1
	v_mad_u64_u32 v[3:4], s[0:1], s2, 6, v[6:7]
	v_mad_u64_u32 v[4:5], s[0:1], s3, 6, v[4:5]
	global_store_short v[3:4], v2, off
	s_branch .LBB46_2
.LBB46_49:
	s_endpgm
	.section	.rodata,"a",@progbits
	.p2align	6, 0x0
	.amdhsa_kernel _ZN2at6native16triu_tril_kernelIN3c108BFloat16ElLb0ELi4ELb1EEEvNS_4cuda6detail10TensorInfoIT_T0_EENS6_IKS7_S8_EEllS8_
		.amdhsa_group_segment_fixed_size 0
		.amdhsa_private_segment_fixed_size 0
		.amdhsa_kernarg_size 1112
		.amdhsa_user_sgpr_count 6
		.amdhsa_user_sgpr_private_segment_buffer 1
		.amdhsa_user_sgpr_dispatch_ptr 0
		.amdhsa_user_sgpr_queue_ptr 0
		.amdhsa_user_sgpr_kernarg_segment_ptr 1
		.amdhsa_user_sgpr_dispatch_id 0
		.amdhsa_user_sgpr_flat_scratch_init 0
		.amdhsa_user_sgpr_private_segment_size 0
		.amdhsa_uses_dynamic_stack 0
		.amdhsa_system_sgpr_private_segment_wavefront_offset 0
		.amdhsa_system_sgpr_workgroup_id_x 1
		.amdhsa_system_sgpr_workgroup_id_y 0
		.amdhsa_system_sgpr_workgroup_id_z 0
		.amdhsa_system_sgpr_workgroup_info 0
		.amdhsa_system_vgpr_workitem_id 0
		.amdhsa_next_free_vgpr 30
		.amdhsa_next_free_sgpr 75
		.amdhsa_reserve_vcc 1
		.amdhsa_reserve_flat_scratch 0
		.amdhsa_float_round_mode_32 0
		.amdhsa_float_round_mode_16_64 0
		.amdhsa_float_denorm_mode_32 3
		.amdhsa_float_denorm_mode_16_64 3
		.amdhsa_dx10_clamp 1
		.amdhsa_ieee_mode 1
		.amdhsa_fp16_overflow 0
		.amdhsa_exception_fp_ieee_invalid_op 0
		.amdhsa_exception_fp_denorm_src 0
		.amdhsa_exception_fp_ieee_div_zero 0
		.amdhsa_exception_fp_ieee_overflow 0
		.amdhsa_exception_fp_ieee_underflow 0
		.amdhsa_exception_fp_ieee_inexact 0
		.amdhsa_exception_int_div_zero 0
	.end_amdhsa_kernel
	.section	.text._ZN2at6native16triu_tril_kernelIN3c108BFloat16ElLb0ELi4ELb1EEEvNS_4cuda6detail10TensorInfoIT_T0_EENS6_IKS7_S8_EEllS8_,"axG",@progbits,_ZN2at6native16triu_tril_kernelIN3c108BFloat16ElLb0ELi4ELb1EEEvNS_4cuda6detail10TensorInfoIT_T0_EENS6_IKS7_S8_EEllS8_,comdat
.Lfunc_end46:
	.size	_ZN2at6native16triu_tril_kernelIN3c108BFloat16ElLb0ELi4ELb1EEEvNS_4cuda6detail10TensorInfoIT_T0_EENS6_IKS7_S8_EEllS8_, .Lfunc_end46-_ZN2at6native16triu_tril_kernelIN3c108BFloat16ElLb0ELi4ELb1EEEvNS_4cuda6detail10TensorInfoIT_T0_EENS6_IKS7_S8_EEllS8_
                                        ; -- End function
	.set _ZN2at6native16triu_tril_kernelIN3c108BFloat16ElLb0ELi4ELb1EEEvNS_4cuda6detail10TensorInfoIT_T0_EENS6_IKS7_S8_EEllS8_.num_vgpr, 30
	.set _ZN2at6native16triu_tril_kernelIN3c108BFloat16ElLb0ELi4ELb1EEEvNS_4cuda6detail10TensorInfoIT_T0_EENS6_IKS7_S8_EEllS8_.num_agpr, 0
	.set _ZN2at6native16triu_tril_kernelIN3c108BFloat16ElLb0ELi4ELb1EEEvNS_4cuda6detail10TensorInfoIT_T0_EENS6_IKS7_S8_EEllS8_.numbered_sgpr, 75
	.set _ZN2at6native16triu_tril_kernelIN3c108BFloat16ElLb0ELi4ELb1EEEvNS_4cuda6detail10TensorInfoIT_T0_EENS6_IKS7_S8_EEllS8_.num_named_barrier, 0
	.set _ZN2at6native16triu_tril_kernelIN3c108BFloat16ElLb0ELi4ELb1EEEvNS_4cuda6detail10TensorInfoIT_T0_EENS6_IKS7_S8_EEllS8_.private_seg_size, 0
	.set _ZN2at6native16triu_tril_kernelIN3c108BFloat16ElLb0ELi4ELb1EEEvNS_4cuda6detail10TensorInfoIT_T0_EENS6_IKS7_S8_EEllS8_.uses_vcc, 1
	.set _ZN2at6native16triu_tril_kernelIN3c108BFloat16ElLb0ELi4ELb1EEEvNS_4cuda6detail10TensorInfoIT_T0_EENS6_IKS7_S8_EEllS8_.uses_flat_scratch, 0
	.set _ZN2at6native16triu_tril_kernelIN3c108BFloat16ElLb0ELi4ELb1EEEvNS_4cuda6detail10TensorInfoIT_T0_EENS6_IKS7_S8_EEllS8_.has_dyn_sized_stack, 0
	.set _ZN2at6native16triu_tril_kernelIN3c108BFloat16ElLb0ELi4ELb1EEEvNS_4cuda6detail10TensorInfoIT_T0_EENS6_IKS7_S8_EEllS8_.has_recursion, 0
	.set _ZN2at6native16triu_tril_kernelIN3c108BFloat16ElLb0ELi4ELb1EEEvNS_4cuda6detail10TensorInfoIT_T0_EENS6_IKS7_S8_EEllS8_.has_indirect_call, 0
	.section	.AMDGPU.csdata,"",@progbits
; Kernel info:
; codeLenInByte = 6608
; TotalNumSgprs: 79
; NumVgprs: 30
; ScratchSize: 0
; MemoryBound: 0
; FloatMode: 240
; IeeeMode: 1
; LDSByteSize: 0 bytes/workgroup (compile time only)
; SGPRBlocks: 9
; VGPRBlocks: 7
; NumSGPRsForWavesPerEU: 79
; NumVGPRsForWavesPerEU: 30
; Occupancy: 8
; WaveLimiterHint : 0
; COMPUTE_PGM_RSRC2:SCRATCH_EN: 0
; COMPUTE_PGM_RSRC2:USER_SGPR: 6
; COMPUTE_PGM_RSRC2:TRAP_HANDLER: 0
; COMPUTE_PGM_RSRC2:TGID_X_EN: 1
; COMPUTE_PGM_RSRC2:TGID_Y_EN: 0
; COMPUTE_PGM_RSRC2:TGID_Z_EN: 0
; COMPUTE_PGM_RSRC2:TIDIG_COMP_CNT: 0
	.section	.text._ZN2at6native16triu_tril_kernelIN3c108BFloat16ElLb0ELi4ELb0EEEvNS_4cuda6detail10TensorInfoIT_T0_EENS6_IKS7_S8_EEllS8_,"axG",@progbits,_ZN2at6native16triu_tril_kernelIN3c108BFloat16ElLb0ELi4ELb0EEEvNS_4cuda6detail10TensorInfoIT_T0_EENS6_IKS7_S8_EEllS8_,comdat
	.protected	_ZN2at6native16triu_tril_kernelIN3c108BFloat16ElLb0ELi4ELb0EEEvNS_4cuda6detail10TensorInfoIT_T0_EENS6_IKS7_S8_EEllS8_ ; -- Begin function _ZN2at6native16triu_tril_kernelIN3c108BFloat16ElLb0ELi4ELb0EEEvNS_4cuda6detail10TensorInfoIT_T0_EENS6_IKS7_S8_EEllS8_
	.globl	_ZN2at6native16triu_tril_kernelIN3c108BFloat16ElLb0ELi4ELb0EEEvNS_4cuda6detail10TensorInfoIT_T0_EENS6_IKS7_S8_EEllS8_
	.p2align	8
	.type	_ZN2at6native16triu_tril_kernelIN3c108BFloat16ElLb0ELi4ELb0EEEvNS_4cuda6detail10TensorInfoIT_T0_EENS6_IKS7_S8_EEllS8_,@function
_ZN2at6native16triu_tril_kernelIN3c108BFloat16ElLb0ELi4ELb0EEEvNS_4cuda6detail10TensorInfoIT_T0_EENS6_IKS7_S8_EEllS8_: ; @_ZN2at6native16triu_tril_kernelIN3c108BFloat16ElLb0ELi4ELb0EEEvNS_4cuda6detail10TensorInfoIT_T0_EENS6_IKS7_S8_EEllS8_
; %bb.0:
	s_load_dword s2, s[4:5], 0x364
	s_load_dwordx4 s[8:11], s[4:5], 0x340
	s_add_u32 s0, s4, 0x358
	v_mov_b32_e32 v2, 0
	s_addc_u32 s1, s5, 0
	s_waitcnt lgkmcnt(0)
	s_and_b32 s7, s2, 0xffff
	v_mov_b32_e32 v1, v2
	v_mov_b32_e32 v3, s6
	v_mad_u64_u32 v[0:1], s[2:3], s7, v3, v[0:1]
	v_lshlrev_b64 v[0:1], 2, v[0:1]
	v_cmp_gt_i64_e32 vcc, s[10:11], v[0:1]
	s_and_saveexec_b64 s[2:3], vcc
	s_cbranch_execz .LBB47_44
; %bb.1:
	s_load_dword s6, s[0:1], 0x0
	s_load_dword s24, s[4:5], 0x338
	s_add_u32 s33, s4, 0x1a0
	s_addc_u32 s66, s5, 0
	s_load_dwordx2 s[2:3], s[4:5], 0x1a0
	s_waitcnt lgkmcnt(0)
	s_mul_i32 s30, s6, s7
	s_ashr_i32 s25, s24, 31
	s_lshl_b64 s[0:1], s[24:25], 3
	s_add_u32 s20, s33, s0
	s_addc_u32 s21, s66, s1
	s_add_u32 s22, s20, -8
	s_addc_u32 s23, s21, -1
	s_add_u32 s0, s4, s0
	s_load_dwordx4 s[12:15], s[22:23], 0x0
	s_load_dwordx4 s[16:19], s[20:21], 0xc0
	s_addc_u32 s1, s5, s1
	s_load_dwordx4 s[20:23], s[0:1], 0xc0
	v_cmp_gt_i64_e64 s[6:7], s[24:25], 2
	s_add_i32 s24, s24, -3
	s_waitcnt lgkmcnt(0)
	s_mul_i32 s0, s19, 6
	s_mul_hi_u32 s1, s18, 6
	s_add_i32 s68, s1, s0
	s_mul_i32 s0, s23, 6
	s_mul_hi_u32 s1, s22, 6
	s_ashr_i32 s25, s24, 31
	s_lshl_b32 s67, s30, 2
	s_lshl_b64 s[30:31], s[18:19], 2
	s_lshl_b64 s[34:35], s[22:23], 2
	s_add_i32 s70, s1, s0
	s_bitcmp0_b32 s24, 0
	s_cselect_b64 s[36:37], -1, 0
	s_lshl_b64 s[0:1], s[24:25], 3
	s_add_u32 s38, s33, s0
	s_addc_u32 s39, s66, s1
	s_add_u32 s40, s4, s0
	s_addc_u32 s41, s5, s1
	s_load_dwordx2 s[26:27], s[4:5], 0x350
	s_load_dwordx2 s[28:29], s[4:5], 0x0
	s_add_u32 s42, s24, -1
	s_addc_u32 s43, s25, -1
	s_cmp_lg_u32 s24, 0
	s_cselect_b64 s[44:45], -1, 0
	s_add_u32 s72, s4, 0xc8
	s_mul_i32 s69, s18, 6
	s_mul_i32 s71, s22, 6
	s_addc_u32 s73, s5, 0
	s_mov_b64 s[4:5], 0
	s_branch .LBB47_3
.LBB47_2:                               ;   in Loop: Header=BB47_3 Depth=1
	s_or_b64 exec, exec, s[0:1]
	v_add_co_u32_e32 v0, vcc, s67, v0
	v_addc_co_u32_e32 v1, vcc, 0, v1, vcc
	v_cmp_le_i64_e32 vcc, s[10:11], v[0:1]
	s_or_b64 s[4:5], vcc, s[4:5]
	s_andn2_b64 exec, exec, s[4:5]
	s_cbranch_execz .LBB47_44
.LBB47_3:                               ; =>This Loop Header: Depth=1
                                        ;     Child Loop BB47_21 Depth 2
	s_waitcnt lgkmcnt(0)
	v_or_b32_e32 v3, s27, v1
	v_cmp_ne_u64_e32 vcc, 0, v[2:3]
                                        ; implicit-def: $vgpr6_vgpr7
	s_and_saveexec_b64 s[0:1], vcc
	s_xor_b64 s[46:47], exec, s[0:1]
	s_cbranch_execz .LBB47_5
; %bb.4:                                ;   in Loop: Header=BB47_3 Depth=1
	s_ashr_i32 s48, s27, 31
	s_add_u32 s0, s26, s48
	s_mov_b32 s49, s48
	s_addc_u32 s1, s27, s48
	s_xor_b64 s[50:51], s[0:1], s[48:49]
	v_cvt_f32_u32_e32 v3, s50
	v_cvt_f32_u32_e32 v4, s51
	s_sub_u32 s49, 0, s50
	s_subb_u32 s52, 0, s51
	v_ashrrev_i32_e32 v7, 31, v1
	v_mac_f32_e32 v3, 0x4f800000, v4
	v_rcp_f32_e32 v3, v3
	v_mul_f32_e32 v3, 0x5f7ffffc, v3
	v_mul_f32_e32 v4, 0x2f800000, v3
	v_trunc_f32_e32 v4, v4
	v_mac_f32_e32 v3, 0xcf800000, v4
	v_cvt_u32_f32_e32 v4, v4
	v_cvt_u32_f32_e32 v3, v3
	v_readfirstlane_b32 s53, v4
	v_readfirstlane_b32 s0, v3
	s_mul_i32 s1, s49, s53
	s_mul_hi_u32 s55, s49, s0
	s_mul_i32 s54, s52, s0
	s_add_i32 s1, s55, s1
	s_add_i32 s1, s1, s54
	s_mul_i32 s56, s49, s0
	s_mul_i32 s55, s0, s1
	s_mul_hi_u32 s57, s0, s56
	s_mul_hi_u32 s54, s0, s1
	s_add_u32 s55, s57, s55
	s_addc_u32 s54, 0, s54
	s_mul_hi_u32 s58, s53, s56
	s_mul_i32 s56, s53, s56
	s_add_u32 s55, s55, s56
	s_mul_hi_u32 s57, s53, s1
	s_addc_u32 s54, s54, s58
	s_addc_u32 s55, s57, 0
	s_mul_i32 s1, s53, s1
	s_add_u32 s1, s54, s1
	s_addc_u32 s54, 0, s55
	s_add_u32 s55, s0, s1
	s_cselect_b64 s[0:1], -1, 0
	s_cmp_lg_u64 s[0:1], 0
	s_addc_u32 s53, s53, s54
	s_mul_i32 s0, s49, s53
	s_mul_hi_u32 s1, s49, s55
	s_add_i32 s0, s1, s0
	s_mul_i32 s52, s52, s55
	s_add_i32 s0, s0, s52
	s_mul_i32 s49, s49, s55
	s_mul_hi_u32 s52, s53, s49
	s_mul_i32 s54, s53, s49
	s_mul_i32 s57, s55, s0
	s_mul_hi_u32 s49, s55, s49
	s_mul_hi_u32 s56, s55, s0
	s_add_u32 s49, s49, s57
	s_addc_u32 s56, 0, s56
	s_add_u32 s49, s49, s54
	s_mul_hi_u32 s1, s53, s0
	s_addc_u32 s49, s56, s52
	s_addc_u32 s1, s1, 0
	s_mul_i32 s0, s53, s0
	s_add_u32 s0, s49, s0
	s_addc_u32 s49, 0, s1
	s_add_u32 s52, s55, s0
	s_cselect_b64 s[0:1], -1, 0
	s_cmp_lg_u64 s[0:1], 0
	v_add_co_u32_e32 v3, vcc, v0, v7
	s_addc_u32 s49, s53, s49
	v_xor_b32_e32 v8, v3, v7
	v_mad_u64_u32 v[3:4], s[0:1], v8, s49, 0
	v_mul_hi_u32 v6, v8, s52
	v_addc_co_u32_e32 v5, vcc, v1, v7, vcc
	v_xor_b32_e32 v9, v5, v7
	v_add_co_u32_e32 v10, vcc, v6, v3
	v_addc_co_u32_e32 v11, vcc, 0, v4, vcc
	v_mad_u64_u32 v[3:4], s[0:1], v9, s52, 0
	v_mad_u64_u32 v[5:6], s[0:1], v9, s49, 0
	v_add_co_u32_e32 v3, vcc, v10, v3
	v_addc_co_u32_e32 v3, vcc, v11, v4, vcc
	v_addc_co_u32_e32 v4, vcc, 0, v6, vcc
	v_add_co_u32_e32 v5, vcc, v3, v5
	v_addc_co_u32_e32 v6, vcc, 0, v4, vcc
	v_mul_lo_u32 v10, s51, v5
	v_mul_lo_u32 v11, s50, v6
	v_mad_u64_u32 v[3:4], s[0:1], s50, v5, 0
	v_add3_u32 v4, v4, v11, v10
	v_sub_u32_e32 v10, v9, v4
	v_mov_b32_e32 v11, s51
	v_sub_co_u32_e32 v3, vcc, v8, v3
	v_subb_co_u32_e64 v8, s[0:1], v10, v11, vcc
	v_subrev_co_u32_e64 v10, s[0:1], s50, v3
	v_subbrev_co_u32_e64 v8, s[0:1], 0, v8, s[0:1]
	v_cmp_le_u32_e64 s[0:1], s51, v8
	v_cndmask_b32_e64 v11, 0, -1, s[0:1]
	v_cmp_le_u32_e64 s[0:1], s50, v10
	v_cndmask_b32_e64 v10, 0, -1, s[0:1]
	v_cmp_eq_u32_e64 s[0:1], s51, v8
	v_cndmask_b32_e64 v8, v11, v10, s[0:1]
	v_add_co_u32_e64 v10, s[0:1], 2, v5
	v_subb_co_u32_e32 v4, vcc, v9, v4, vcc
	v_addc_co_u32_e64 v11, s[0:1], 0, v6, s[0:1]
	v_cmp_le_u32_e32 vcc, s51, v4
	v_add_co_u32_e64 v12, s[0:1], 1, v5
	v_cndmask_b32_e64 v9, 0, -1, vcc
	v_cmp_le_u32_e32 vcc, s50, v3
	v_addc_co_u32_e64 v13, s[0:1], 0, v6, s[0:1]
	v_cndmask_b32_e64 v3, 0, -1, vcc
	v_cmp_eq_u32_e32 vcc, s51, v4
	v_cmp_ne_u32_e64 s[0:1], 0, v8
	v_cndmask_b32_e32 v3, v9, v3, vcc
	v_cmp_ne_u32_e32 vcc, 0, v3
	v_cndmask_b32_e64 v4, v12, v10, s[0:1]
	v_cndmask_b32_e64 v8, v13, v11, s[0:1]
	v_cndmask_b32_e32 v4, v5, v4, vcc
	v_xor_b32_e32 v5, s48, v7
	v_cndmask_b32_e32 v3, v6, v8, vcc
	v_xor_b32_e32 v4, v4, v5
	v_xor_b32_e32 v3, v3, v5
	v_sub_co_u32_e32 v6, vcc, v4, v5
	v_subb_co_u32_e32 v7, vcc, v3, v5, vcc
.LBB47_5:                               ;   in Loop: Header=BB47_3 Depth=1
	s_andn2_saveexec_b64 s[0:1], s[46:47]
	s_cbranch_execz .LBB47_7
; %bb.6:                                ;   in Loop: Header=BB47_3 Depth=1
	v_cvt_f32_u32_e32 v3, s26
	s_sub_i32 s46, 0, s26
	v_mov_b32_e32 v7, v2
	v_rcp_iflag_f32_e32 v3, v3
	v_mul_f32_e32 v3, 0x4f7ffffe, v3
	v_cvt_u32_f32_e32 v3, v3
	v_mul_lo_u32 v4, s46, v3
	v_mul_hi_u32 v4, v3, v4
	v_add_u32_e32 v3, v3, v4
	v_mul_hi_u32 v3, v0, v3
	v_mul_lo_u32 v4, v3, s26
	v_add_u32_e32 v5, 1, v3
	v_sub_u32_e32 v4, v0, v4
	v_subrev_u32_e32 v6, s26, v4
	v_cmp_le_u32_e32 vcc, s26, v4
	v_cndmask_b32_e32 v4, v4, v6, vcc
	v_cndmask_b32_e32 v3, v3, v5, vcc
	v_add_u32_e32 v5, 1, v3
	v_cmp_le_u32_e32 vcc, s26, v4
	v_cndmask_b32_e32 v6, v3, v5, vcc
.LBB47_7:                               ;   in Loop: Header=BB47_3 Depth=1
	s_or_b64 exec, exec, s[0:1]
	v_or_b32_e32 v3, s13, v7
	v_cmp_ne_u64_e32 vcc, 0, v[2:3]
                                        ; implicit-def: $vgpr10_vgpr11
	s_and_saveexec_b64 s[0:1], vcc
	s_xor_b64 s[46:47], exec, s[0:1]
	s_cbranch_execz .LBB47_9
; %bb.8:                                ;   in Loop: Header=BB47_3 Depth=1
	s_ashr_i32 s48, s13, 31
	s_add_u32 s0, s12, s48
	s_mov_b32 s49, s48
	s_addc_u32 s1, s13, s48
	s_xor_b64 s[50:51], s[0:1], s[48:49]
	v_cvt_f32_u32_e32 v3, s50
	v_cvt_f32_u32_e32 v4, s51
	s_sub_u32 s49, 0, s50
	s_subb_u32 s52, 0, s51
	v_ashrrev_i32_e32 v5, 31, v7
	v_mac_f32_e32 v3, 0x4f800000, v4
	v_rcp_f32_e32 v3, v3
	v_mul_f32_e32 v3, 0x5f7ffffc, v3
	v_mul_f32_e32 v4, 0x2f800000, v3
	v_trunc_f32_e32 v4, v4
	v_mac_f32_e32 v3, 0xcf800000, v4
	v_cvt_u32_f32_e32 v4, v4
	v_cvt_u32_f32_e32 v3, v3
	v_readfirstlane_b32 s53, v4
	v_readfirstlane_b32 s0, v3
	s_mul_i32 s1, s49, s53
	s_mul_hi_u32 s55, s49, s0
	s_mul_i32 s54, s52, s0
	s_add_i32 s1, s55, s1
	s_add_i32 s1, s1, s54
	s_mul_i32 s56, s49, s0
	s_mul_i32 s55, s0, s1
	s_mul_hi_u32 s57, s0, s56
	s_mul_hi_u32 s54, s0, s1
	s_add_u32 s55, s57, s55
	s_addc_u32 s54, 0, s54
	s_mul_hi_u32 s58, s53, s56
	s_mul_i32 s56, s53, s56
	s_add_u32 s55, s55, s56
	s_mul_hi_u32 s57, s53, s1
	s_addc_u32 s54, s54, s58
	s_addc_u32 s55, s57, 0
	s_mul_i32 s1, s53, s1
	s_add_u32 s1, s54, s1
	s_addc_u32 s54, 0, s55
	s_add_u32 s55, s0, s1
	s_cselect_b64 s[0:1], -1, 0
	s_cmp_lg_u64 s[0:1], 0
	s_addc_u32 s53, s53, s54
	s_mul_i32 s0, s49, s53
	s_mul_hi_u32 s1, s49, s55
	s_add_i32 s0, s1, s0
	s_mul_i32 s52, s52, s55
	s_add_i32 s0, s0, s52
	s_mul_i32 s49, s49, s55
	s_mul_hi_u32 s52, s53, s49
	s_mul_i32 s54, s53, s49
	s_mul_i32 s57, s55, s0
	s_mul_hi_u32 s49, s55, s49
	s_mul_hi_u32 s56, s55, s0
	s_add_u32 s49, s49, s57
	s_addc_u32 s56, 0, s56
	s_add_u32 s49, s49, s54
	s_mul_hi_u32 s1, s53, s0
	s_addc_u32 s49, s56, s52
	s_addc_u32 s1, s1, 0
	s_mul_i32 s0, s53, s0
	s_add_u32 s0, s49, s0
	s_addc_u32 s49, 0, s1
	s_add_u32 s52, s55, s0
	s_cselect_b64 s[0:1], -1, 0
	s_cmp_lg_u64 s[0:1], 0
	v_add_co_u32_e32 v3, vcc, v6, v5
	s_addc_u32 s49, s53, s49
	v_xor_b32_e32 v10, v3, v5
	v_mad_u64_u32 v[3:4], s[0:1], v10, s49, 0
	v_mul_hi_u32 v9, v10, s52
	v_addc_co_u32_e32 v8, vcc, v7, v5, vcc
	v_xor_b32_e32 v11, v8, v5
	v_add_co_u32_e32 v12, vcc, v9, v3
	v_addc_co_u32_e32 v13, vcc, 0, v4, vcc
	v_mad_u64_u32 v[3:4], s[0:1], v11, s52, 0
	v_mad_u64_u32 v[8:9], s[0:1], v11, s49, 0
	v_add_co_u32_e32 v3, vcc, v12, v3
	v_addc_co_u32_e32 v3, vcc, v13, v4, vcc
	v_addc_co_u32_e32 v4, vcc, 0, v9, vcc
	v_add_co_u32_e32 v8, vcc, v3, v8
	v_addc_co_u32_e32 v9, vcc, 0, v4, vcc
	v_mul_lo_u32 v12, s51, v8
	v_mul_lo_u32 v13, s50, v9
	v_mad_u64_u32 v[3:4], s[0:1], s50, v8, 0
	v_xor_b32_e32 v5, s48, v5
	v_add3_u32 v4, v4, v13, v12
	v_sub_u32_e32 v12, v11, v4
	v_mov_b32_e32 v13, s51
	v_sub_co_u32_e32 v3, vcc, v10, v3
	v_subb_co_u32_e64 v10, s[0:1], v12, v13, vcc
	v_subrev_co_u32_e64 v12, s[0:1], s50, v3
	v_subbrev_co_u32_e64 v10, s[0:1], 0, v10, s[0:1]
	v_cmp_le_u32_e64 s[0:1], s51, v10
	v_cndmask_b32_e64 v13, 0, -1, s[0:1]
	v_cmp_le_u32_e64 s[0:1], s50, v12
	v_cndmask_b32_e64 v12, 0, -1, s[0:1]
	v_cmp_eq_u32_e64 s[0:1], s51, v10
	v_cndmask_b32_e64 v10, v13, v12, s[0:1]
	v_add_co_u32_e64 v12, s[0:1], 2, v8
	v_subb_co_u32_e32 v4, vcc, v11, v4, vcc
	v_addc_co_u32_e64 v13, s[0:1], 0, v9, s[0:1]
	v_cmp_le_u32_e32 vcc, s51, v4
	v_add_co_u32_e64 v14, s[0:1], 1, v8
	v_cndmask_b32_e64 v11, 0, -1, vcc
	v_cmp_le_u32_e32 vcc, s50, v3
	v_addc_co_u32_e64 v15, s[0:1], 0, v9, s[0:1]
	v_cndmask_b32_e64 v3, 0, -1, vcc
	v_cmp_eq_u32_e32 vcc, s51, v4
	v_cmp_ne_u32_e64 s[0:1], 0, v10
	v_cndmask_b32_e32 v3, v11, v3, vcc
	v_cmp_ne_u32_e32 vcc, 0, v3
	v_cndmask_b32_e64 v4, v14, v12, s[0:1]
	v_cndmask_b32_e64 v10, v15, v13, s[0:1]
	v_cndmask_b32_e32 v4, v8, v4, vcc
	v_cndmask_b32_e32 v3, v9, v10, vcc
	v_xor_b32_e32 v4, v4, v5
	v_xor_b32_e32 v3, v3, v5
	v_sub_co_u32_e32 v10, vcc, v4, v5
	v_subb_co_u32_e32 v11, vcc, v3, v5, vcc
.LBB47_9:                               ;   in Loop: Header=BB47_3 Depth=1
	s_andn2_saveexec_b64 s[0:1], s[46:47]
	s_cbranch_execz .LBB47_11
; %bb.10:                               ;   in Loop: Header=BB47_3 Depth=1
	v_cvt_f32_u32_e32 v3, s12
	s_sub_i32 s46, 0, s12
	v_mov_b32_e32 v11, v2
	v_rcp_iflag_f32_e32 v3, v3
	v_mul_f32_e32 v3, 0x4f7ffffe, v3
	v_cvt_u32_f32_e32 v3, v3
	v_mul_lo_u32 v4, s46, v3
	v_mul_hi_u32 v4, v3, v4
	v_add_u32_e32 v3, v3, v4
	v_mul_hi_u32 v3, v6, v3
	v_mul_lo_u32 v4, v3, s12
	v_add_u32_e32 v5, 1, v3
	v_sub_u32_e32 v4, v6, v4
	v_subrev_u32_e32 v8, s12, v4
	v_cmp_le_u32_e32 vcc, s12, v4
	v_cndmask_b32_e32 v4, v4, v8, vcc
	v_cndmask_b32_e32 v3, v3, v5, vcc
	v_add_u32_e32 v5, 1, v3
	v_cmp_le_u32_e32 vcc, s12, v4
	v_cndmask_b32_e32 v10, v3, v5, vcc
.LBB47_11:                              ;   in Loop: Header=BB47_3 Depth=1
	s_or_b64 exec, exec, s[0:1]
	v_mul_lo_u32 v5, v7, s26
	v_mul_lo_u32 v8, v6, s27
	v_mad_u64_u32 v[3:4], s[0:1], v6, s26, 0
	v_mul_lo_u32 v12, v11, s12
	v_mul_lo_u32 v13, v10, s13
	v_add3_u32 v5, v4, v8, v5
	v_mad_u64_u32 v[8:9], s[0:1], v10, s12, 0
	v_sub_co_u32_e32 v4, vcc, v0, v3
	v_subb_co_u32_e32 v5, vcc, v1, v5, vcc
	v_add3_u32 v3, v9, v13, v12
	v_mul_lo_u32 v9, s19, v4
	v_mul_lo_u32 v14, s18, v5
	v_mad_u64_u32 v[12:13], s[0:1], s18, v4, 0
	v_sub_co_u32_e32 v16, vcc, v6, v8
	v_subb_co_u32_e32 v17, vcc, v7, v3, vcc
	v_add3_u32 v13, v13, v14, v9
	v_mul_lo_u32 v3, s23, v4
	v_mul_lo_u32 v14, s22, v5
	v_mad_u64_u32 v[6:7], s[0:1], s22, v4, 0
	v_mad_u64_u32 v[8:9], s[0:1], s16, v16, v[12:13]
	v_mul_lo_u32 v12, s16, v17
	v_mul_lo_u32 v13, s17, v16
	v_add3_u32 v7, v7, v14, v3
	v_mad_u64_u32 v[6:7], s[0:1], s20, v16, v[6:7]
	v_add3_u32 v9, v13, v9, v12
	v_mul_lo_u32 v3, s20, v17
	v_mul_lo_u32 v12, s21, v16
	s_andn2_b64 vcc, exec, s[6:7]
	v_add3_u32 v7, v12, v7, v3
	s_cbranch_vccnz .LBB47_29
; %bb.12:                               ;   in Loop: Header=BB47_3 Depth=1
	s_andn2_b64 vcc, exec, s[36:37]
	s_cbranch_vccnz .LBB47_18
; %bb.13:                               ;   in Loop: Header=BB47_3 Depth=1
	s_load_dwordx2 s[46:47], s[38:39], 0x8
                                        ; implicit-def: $vgpr12_vgpr13
	s_waitcnt lgkmcnt(0)
	v_or_b32_e32 v3, s47, v11
	v_cmp_ne_u64_e32 vcc, 0, v[2:3]
	s_and_saveexec_b64 s[0:1], vcc
	s_xor_b64 s[48:49], exec, s[0:1]
	s_cbranch_execz .LBB47_15
; %bb.14:                               ;   in Loop: Header=BB47_3 Depth=1
	s_ashr_i32 s50, s47, 31
	s_add_u32 s0, s46, s50
	s_mov_b32 s51, s50
	s_addc_u32 s1, s47, s50
	s_xor_b64 s[52:53], s[0:1], s[50:51]
	v_cvt_f32_u32_e32 v3, s52
	v_cvt_f32_u32_e32 v12, s53
	s_sub_u32 s51, 0, s52
	s_subb_u32 s54, 0, s53
	v_mac_f32_e32 v3, 0x4f800000, v12
	v_rcp_f32_e32 v3, v3
	v_mul_f32_e32 v3, 0x5f7ffffc, v3
	v_mul_f32_e32 v12, 0x2f800000, v3
	v_trunc_f32_e32 v12, v12
	v_mac_f32_e32 v3, 0xcf800000, v12
	v_cvt_u32_f32_e32 v12, v12
	v_cvt_u32_f32_e32 v3, v3
	v_readfirstlane_b32 s55, v12
	v_readfirstlane_b32 s0, v3
	s_mul_i32 s1, s51, s55
	s_mul_hi_u32 s57, s51, s0
	s_mul_i32 s56, s54, s0
	s_add_i32 s1, s57, s1
	s_add_i32 s1, s1, s56
	s_mul_i32 s58, s51, s0
	s_mul_i32 s57, s0, s1
	s_mul_hi_u32 s59, s0, s58
	s_mul_hi_u32 s56, s0, s1
	s_add_u32 s57, s59, s57
	s_addc_u32 s56, 0, s56
	s_mul_hi_u32 s60, s55, s58
	s_mul_i32 s58, s55, s58
	s_add_u32 s57, s57, s58
	s_mul_hi_u32 s59, s55, s1
	s_addc_u32 s56, s56, s60
	s_addc_u32 s57, s59, 0
	s_mul_i32 s1, s55, s1
	s_add_u32 s1, s56, s1
	s_addc_u32 s56, 0, s57
	s_add_u32 s57, s0, s1
	s_cselect_b64 s[0:1], -1, 0
	s_cmp_lg_u64 s[0:1], 0
	s_addc_u32 s55, s55, s56
	s_mul_i32 s0, s51, s55
	s_mul_hi_u32 s1, s51, s57
	s_add_i32 s0, s1, s0
	s_mul_i32 s54, s54, s57
	s_add_i32 s0, s0, s54
	s_mul_i32 s51, s51, s57
	s_mul_hi_u32 s54, s55, s51
	s_mul_i32 s56, s55, s51
	s_mul_i32 s59, s57, s0
	s_mul_hi_u32 s51, s57, s51
	s_mul_hi_u32 s58, s57, s0
	s_add_u32 s51, s51, s59
	s_addc_u32 s58, 0, s58
	s_add_u32 s51, s51, s56
	s_mul_hi_u32 s1, s55, s0
	s_addc_u32 s51, s58, s54
	s_addc_u32 s1, s1, 0
	s_mul_i32 s0, s55, s0
	s_add_u32 s0, s51, s0
	s_addc_u32 s51, 0, s1
	s_add_u32 s54, s57, s0
	s_cselect_b64 s[0:1], -1, 0
	v_ashrrev_i32_e32 v3, 31, v11
	s_cmp_lg_u64 s[0:1], 0
	v_add_co_u32_e32 v12, vcc, v10, v3
	s_addc_u32 s51, s55, s51
	v_xor_b32_e32 v18, v12, v3
	v_mad_u64_u32 v[12:13], s[0:1], v18, s51, 0
	v_mul_hi_u32 v15, v18, s54
	v_addc_co_u32_e32 v14, vcc, v11, v3, vcc
	v_xor_b32_e32 v19, v14, v3
	v_add_co_u32_e32 v20, vcc, v15, v12
	v_addc_co_u32_e32 v21, vcc, 0, v13, vcc
	v_mad_u64_u32 v[12:13], s[0:1], v19, s54, 0
	v_mad_u64_u32 v[14:15], s[0:1], v19, s51, 0
	v_add_co_u32_e32 v12, vcc, v20, v12
	v_addc_co_u32_e32 v12, vcc, v21, v13, vcc
	v_addc_co_u32_e32 v13, vcc, 0, v15, vcc
	v_add_co_u32_e32 v14, vcc, v12, v14
	v_addc_co_u32_e32 v15, vcc, 0, v13, vcc
	v_mul_lo_u32 v20, s53, v14
	v_mul_lo_u32 v21, s52, v15
	v_mad_u64_u32 v[12:13], s[0:1], s52, v14, 0
	v_xor_b32_e32 v3, s50, v3
	v_add3_u32 v13, v13, v21, v20
	v_sub_u32_e32 v20, v19, v13
	v_mov_b32_e32 v21, s53
	v_sub_co_u32_e32 v12, vcc, v18, v12
	v_subb_co_u32_e64 v18, s[0:1], v20, v21, vcc
	v_subrev_co_u32_e64 v20, s[0:1], s52, v12
	v_subbrev_co_u32_e64 v18, s[0:1], 0, v18, s[0:1]
	v_cmp_le_u32_e64 s[0:1], s53, v18
	v_cndmask_b32_e64 v21, 0, -1, s[0:1]
	v_cmp_le_u32_e64 s[0:1], s52, v20
	v_cndmask_b32_e64 v20, 0, -1, s[0:1]
	v_cmp_eq_u32_e64 s[0:1], s53, v18
	v_cndmask_b32_e64 v18, v21, v20, s[0:1]
	v_add_co_u32_e64 v20, s[0:1], 2, v14
	v_subb_co_u32_e32 v13, vcc, v19, v13, vcc
	v_addc_co_u32_e64 v21, s[0:1], 0, v15, s[0:1]
	v_cmp_le_u32_e32 vcc, s53, v13
	v_add_co_u32_e64 v22, s[0:1], 1, v14
	v_cndmask_b32_e64 v19, 0, -1, vcc
	v_cmp_le_u32_e32 vcc, s52, v12
	v_addc_co_u32_e64 v23, s[0:1], 0, v15, s[0:1]
	v_cndmask_b32_e64 v12, 0, -1, vcc
	v_cmp_eq_u32_e32 vcc, s53, v13
	v_cmp_ne_u32_e64 s[0:1], 0, v18
	v_cndmask_b32_e32 v12, v19, v12, vcc
	v_cndmask_b32_e64 v18, v23, v21, s[0:1]
	v_cmp_ne_u32_e32 vcc, 0, v12
	v_cndmask_b32_e64 v13, v22, v20, s[0:1]
	v_cndmask_b32_e32 v12, v15, v18, vcc
	v_cndmask_b32_e32 v13, v14, v13, vcc
	v_xor_b32_e32 v14, v12, v3
	v_xor_b32_e32 v12, v13, v3
	v_sub_co_u32_e32 v12, vcc, v12, v3
	v_subb_co_u32_e32 v13, vcc, v14, v3, vcc
.LBB47_15:                              ;   in Loop: Header=BB47_3 Depth=1
	s_andn2_saveexec_b64 s[0:1], s[48:49]
	s_cbranch_execz .LBB47_17
; %bb.16:                               ;   in Loop: Header=BB47_3 Depth=1
	v_cvt_f32_u32_e32 v3, s46
	s_sub_i32 s48, 0, s46
	v_rcp_iflag_f32_e32 v3, v3
	v_mul_f32_e32 v3, 0x4f7ffffe, v3
	v_cvt_u32_f32_e32 v3, v3
	v_mul_lo_u32 v12, s48, v3
	v_mul_hi_u32 v12, v3, v12
	v_add_u32_e32 v3, v3, v12
	v_mul_hi_u32 v3, v10, v3
	v_mul_lo_u32 v12, v3, s46
	v_add_u32_e32 v13, 1, v3
	v_sub_u32_e32 v12, v10, v12
	v_subrev_u32_e32 v14, s46, v12
	v_cmp_le_u32_e32 vcc, s46, v12
	v_cndmask_b32_e32 v12, v12, v14, vcc
	v_cndmask_b32_e32 v3, v3, v13, vcc
	v_add_u32_e32 v13, 1, v3
	v_cmp_le_u32_e32 vcc, s46, v12
	v_cndmask_b32_e32 v12, v3, v13, vcc
	v_mov_b32_e32 v13, v2
.LBB47_17:                              ;   in Loop: Header=BB47_3 Depth=1
	s_or_b64 exec, exec, s[0:1]
	v_mul_lo_u32 v3, v13, s46
	v_mul_lo_u32 v18, v12, s47
	v_mad_u64_u32 v[14:15], s[0:1], v12, s46, 0
	s_load_dwordx2 s[0:1], s[38:39], 0xd0
	s_load_dwordx2 s[46:47], s[40:41], 0xd0
	v_add3_u32 v3, v15, v18, v3
	v_sub_co_u32_e32 v10, vcc, v10, v14
	v_subb_co_u32_e32 v3, vcc, v11, v3, vcc
	s_waitcnt lgkmcnt(0)
	v_mul_lo_u32 v11, s0, v3
	v_mul_lo_u32 v14, s1, v10
	v_mad_u64_u32 v[8:9], s[0:1], s0, v10, v[8:9]
	v_mul_lo_u32 v3, s46, v3
	v_mul_lo_u32 v15, s47, v10
	v_mad_u64_u32 v[6:7], s[0:1], s46, v10, v[6:7]
	v_add3_u32 v9, v14, v9, v11
	v_mov_b32_e32 v10, v12
	v_add3_u32 v7, v15, v7, v3
	v_mov_b32_e32 v11, v13
	s_mov_b64 s[0:1], s[42:43]
	s_andn2_b64 vcc, exec, s[44:45]
	s_cbranch_vccz .LBB47_19
	s_branch .LBB47_29
.LBB47_18:                              ;   in Loop: Header=BB47_3 Depth=1
	s_mov_b64 s[0:1], s[24:25]
	s_andn2_b64 vcc, exec, s[44:45]
	s_cbranch_vccnz .LBB47_29
.LBB47_19:                              ;   in Loop: Header=BB47_3 Depth=1
	s_lshl_b64 s[48:49], s[0:1], 3
	s_add_u32 s46, s72, s48
	s_addc_u32 s47, s73, s49
	s_add_u32 s48, s33, s48
	s_addc_u32 s49, s66, s49
	;; [unrolled: 2-line block ×3, first 2 shown]
	s_branch .LBB47_21
.LBB47_20:                              ;   in Loop: Header=BB47_21 Depth=2
	s_or_b64 exec, exec, s[0:1]
	v_mul_lo_u32 v3, v13, s52
	v_mul_lo_u32 v20, v12, s53
	v_mad_u64_u32 v[18:19], s[0:1], v12, s52, 0
	v_mul_lo_u32 v21, v15, s54
	v_mul_lo_u32 v22, v14, s55
	v_add3_u32 v3, v19, v20, v3
	v_sub_co_u32_e32 v10, vcc, v10, v18
	v_subb_co_u32_e32 v3, vcc, v11, v3, vcc
	v_mul_lo_u32 v18, s58, v3
	v_mul_lo_u32 v19, s59, v10
	v_mad_u64_u32 v[8:9], s[0:1], s58, v10, v[8:9]
	v_mul_lo_u32 v3, s56, v3
	v_mul_lo_u32 v20, s57, v10
	v_mad_u64_u32 v[6:7], s[0:1], s56, v10, v[6:7]
	v_mad_u64_u32 v[10:11], s[0:1], v14, s54, 0
	s_load_dwordx2 s[0:1], s[48:49], 0xc8
	s_load_dwordx2 s[52:53], s[46:47], 0x0
	v_add3_u32 v7, v20, v7, v3
	v_add3_u32 v3, v11, v22, v21
	v_sub_co_u32_e32 v10, vcc, v12, v10
	v_add3_u32 v9, v19, v9, v18
	v_subb_co_u32_e32 v3, vcc, v13, v3, vcc
	s_add_u32 s46, s46, -16
	s_waitcnt lgkmcnt(0)
	v_mad_u64_u32 v[8:9], s[54:55], s0, v10, v[8:9]
	v_mul_lo_u32 v11, s0, v3
	v_mul_lo_u32 v12, s1, v10
	v_mad_u64_u32 v[6:7], s[0:1], s52, v10, v[6:7]
	v_mul_lo_u32 v3, s52, v3
	v_mul_lo_u32 v10, s53, v10
	s_addc_u32 s47, s47, -1
	s_add_u32 s48, s48, -16
	s_addc_u32 s49, s49, -1
	s_add_u32 s50, s50, -2
	v_add3_u32 v9, v12, v9, v11
	v_add3_u32 v7, v10, v7, v3
	s_addc_u32 s51, s51, -1
	v_mov_b32_e32 v10, v14
	s_cmp_eq_u64 s[50:51], 0
	v_mov_b32_e32 v11, v15
	s_cbranch_scc1 .LBB47_29
.LBB47_21:                              ;   Parent Loop BB47_3 Depth=1
                                        ; =>  This Inner Loop Header: Depth=2
	s_load_dwordx2 s[52:53], s[48:49], 0x8
                                        ; implicit-def: $vgpr12_vgpr13
	s_waitcnt lgkmcnt(0)
	v_or_b32_e32 v3, s53, v11
	v_cmp_ne_u64_e32 vcc, 0, v[2:3]
	s_and_saveexec_b64 s[0:1], vcc
	s_xor_b64 s[54:55], exec, s[0:1]
	s_cbranch_execz .LBB47_23
; %bb.22:                               ;   in Loop: Header=BB47_21 Depth=2
	s_ashr_i32 s56, s53, 31
	s_add_u32 s0, s52, s56
	s_mov_b32 s57, s56
	s_addc_u32 s1, s53, s56
	s_xor_b64 s[58:59], s[0:1], s[56:57]
	v_cvt_f32_u32_e32 v3, s58
	v_cvt_f32_u32_e32 v12, s59
	s_sub_u32 s57, 0, s58
	s_subb_u32 s60, 0, s59
	v_mac_f32_e32 v3, 0x4f800000, v12
	v_rcp_f32_e32 v3, v3
	v_mul_f32_e32 v3, 0x5f7ffffc, v3
	v_mul_f32_e32 v12, 0x2f800000, v3
	v_trunc_f32_e32 v12, v12
	v_mac_f32_e32 v3, 0xcf800000, v12
	v_cvt_u32_f32_e32 v12, v12
	v_cvt_u32_f32_e32 v3, v3
	v_readfirstlane_b32 s61, v12
	v_readfirstlane_b32 s0, v3
	s_mul_i32 s1, s57, s61
	s_mul_hi_u32 s63, s57, s0
	s_mul_i32 s62, s60, s0
	s_add_i32 s1, s63, s1
	s_add_i32 s1, s1, s62
	s_mul_i32 s64, s57, s0
	s_mul_i32 s63, s0, s1
	s_mul_hi_u32 s65, s0, s64
	s_mul_hi_u32 s62, s0, s1
	s_add_u32 s63, s65, s63
	s_addc_u32 s62, 0, s62
	s_mul_hi_u32 s74, s61, s64
	s_mul_i32 s64, s61, s64
	s_add_u32 s63, s63, s64
	s_mul_hi_u32 s65, s61, s1
	s_addc_u32 s62, s62, s74
	s_addc_u32 s63, s65, 0
	s_mul_i32 s1, s61, s1
	s_add_u32 s1, s62, s1
	s_addc_u32 s62, 0, s63
	s_add_u32 s63, s0, s1
	s_cselect_b64 s[0:1], -1, 0
	s_cmp_lg_u64 s[0:1], 0
	s_addc_u32 s61, s61, s62
	s_mul_i32 s0, s57, s61
	s_mul_hi_u32 s1, s57, s63
	s_add_i32 s0, s1, s0
	s_mul_i32 s60, s60, s63
	s_add_i32 s0, s0, s60
	s_mul_i32 s57, s57, s63
	s_mul_hi_u32 s60, s61, s57
	s_mul_i32 s62, s61, s57
	s_mul_i32 s65, s63, s0
	s_mul_hi_u32 s57, s63, s57
	s_mul_hi_u32 s64, s63, s0
	s_add_u32 s57, s57, s65
	s_addc_u32 s64, 0, s64
	s_add_u32 s57, s57, s62
	s_mul_hi_u32 s1, s61, s0
	s_addc_u32 s57, s64, s60
	s_addc_u32 s1, s1, 0
	s_mul_i32 s0, s61, s0
	s_add_u32 s0, s57, s0
	s_addc_u32 s57, 0, s1
	s_add_u32 s60, s63, s0
	s_cselect_b64 s[0:1], -1, 0
	v_ashrrev_i32_e32 v3, 31, v11
	s_cmp_lg_u64 s[0:1], 0
	v_add_co_u32_e32 v12, vcc, v10, v3
	s_addc_u32 s57, s61, s57
	v_xor_b32_e32 v18, v12, v3
	v_mad_u64_u32 v[12:13], s[0:1], v18, s57, 0
	v_mul_hi_u32 v15, v18, s60
	v_addc_co_u32_e32 v14, vcc, v11, v3, vcc
	v_xor_b32_e32 v19, v14, v3
	v_add_co_u32_e32 v20, vcc, v15, v12
	v_addc_co_u32_e32 v21, vcc, 0, v13, vcc
	v_mad_u64_u32 v[12:13], s[0:1], v19, s60, 0
	v_mad_u64_u32 v[14:15], s[0:1], v19, s57, 0
	v_add_co_u32_e32 v12, vcc, v20, v12
	v_addc_co_u32_e32 v12, vcc, v21, v13, vcc
	v_addc_co_u32_e32 v13, vcc, 0, v15, vcc
	v_add_co_u32_e32 v14, vcc, v12, v14
	v_addc_co_u32_e32 v15, vcc, 0, v13, vcc
	v_mul_lo_u32 v20, s59, v14
	v_mul_lo_u32 v21, s58, v15
	v_mad_u64_u32 v[12:13], s[0:1], s58, v14, 0
	v_xor_b32_e32 v3, s56, v3
	v_add3_u32 v13, v13, v21, v20
	v_sub_u32_e32 v20, v19, v13
	v_mov_b32_e32 v21, s59
	v_sub_co_u32_e32 v12, vcc, v18, v12
	v_subb_co_u32_e64 v18, s[0:1], v20, v21, vcc
	v_subrev_co_u32_e64 v20, s[0:1], s58, v12
	v_subbrev_co_u32_e64 v18, s[0:1], 0, v18, s[0:1]
	v_cmp_le_u32_e64 s[0:1], s59, v18
	v_cndmask_b32_e64 v21, 0, -1, s[0:1]
	v_cmp_le_u32_e64 s[0:1], s58, v20
	v_cndmask_b32_e64 v20, 0, -1, s[0:1]
	v_cmp_eq_u32_e64 s[0:1], s59, v18
	v_cndmask_b32_e64 v18, v21, v20, s[0:1]
	v_add_co_u32_e64 v20, s[0:1], 2, v14
	v_subb_co_u32_e32 v13, vcc, v19, v13, vcc
	v_addc_co_u32_e64 v21, s[0:1], 0, v15, s[0:1]
	v_cmp_le_u32_e32 vcc, s59, v13
	v_add_co_u32_e64 v22, s[0:1], 1, v14
	v_cndmask_b32_e64 v19, 0, -1, vcc
	v_cmp_le_u32_e32 vcc, s58, v12
	v_addc_co_u32_e64 v23, s[0:1], 0, v15, s[0:1]
	v_cndmask_b32_e64 v12, 0, -1, vcc
	v_cmp_eq_u32_e32 vcc, s59, v13
	v_cmp_ne_u32_e64 s[0:1], 0, v18
	v_cndmask_b32_e32 v12, v19, v12, vcc
	v_cndmask_b32_e64 v18, v23, v21, s[0:1]
	v_cmp_ne_u32_e32 vcc, 0, v12
	v_cndmask_b32_e64 v13, v22, v20, s[0:1]
	v_cndmask_b32_e32 v12, v15, v18, vcc
	v_cndmask_b32_e32 v13, v14, v13, vcc
	v_xor_b32_e32 v14, v12, v3
	v_xor_b32_e32 v12, v13, v3
	v_sub_co_u32_e32 v12, vcc, v12, v3
	v_subb_co_u32_e32 v13, vcc, v14, v3, vcc
.LBB47_23:                              ;   in Loop: Header=BB47_21 Depth=2
	s_andn2_saveexec_b64 s[0:1], s[54:55]
	s_cbranch_execz .LBB47_25
; %bb.24:                               ;   in Loop: Header=BB47_21 Depth=2
	v_cvt_f32_u32_e32 v3, s52
	s_sub_i32 s54, 0, s52
	v_rcp_iflag_f32_e32 v3, v3
	v_mul_f32_e32 v3, 0x4f7ffffe, v3
	v_cvt_u32_f32_e32 v3, v3
	v_mul_lo_u32 v12, s54, v3
	v_mul_hi_u32 v12, v3, v12
	v_add_u32_e32 v3, v3, v12
	v_mul_hi_u32 v3, v10, v3
	v_mul_lo_u32 v12, v3, s52
	v_add_u32_e32 v13, 1, v3
	v_sub_u32_e32 v12, v10, v12
	v_subrev_u32_e32 v14, s52, v12
	v_cmp_le_u32_e32 vcc, s52, v12
	v_cndmask_b32_e32 v12, v12, v14, vcc
	v_cndmask_b32_e32 v3, v3, v13, vcc
	v_add_u32_e32 v13, 1, v3
	v_cmp_le_u32_e32 vcc, s52, v12
	v_cndmask_b32_e32 v12, v3, v13, vcc
	v_mov_b32_e32 v13, v2
.LBB47_25:                              ;   in Loop: Header=BB47_21 Depth=2
	s_or_b64 exec, exec, s[0:1]
	s_load_dwordx2 s[54:55], s[48:49], 0x0
	s_load_dwordx2 s[58:59], s[48:49], 0xd0
	;; [unrolled: 1-line block ×3, first 2 shown]
                                        ; implicit-def: $vgpr14_vgpr15
	s_waitcnt lgkmcnt(0)
	v_or_b32_e32 v3, s55, v13
	v_cmp_ne_u64_e32 vcc, 0, v[2:3]
	s_and_saveexec_b64 s[0:1], vcc
	s_xor_b64 s[60:61], exec, s[0:1]
	s_cbranch_execz .LBB47_27
; %bb.26:                               ;   in Loop: Header=BB47_21 Depth=2
	s_ashr_i32 s62, s55, 31
	s_add_u32 s0, s54, s62
	s_mov_b32 s63, s62
	s_addc_u32 s1, s55, s62
	s_xor_b64 s[64:65], s[0:1], s[62:63]
	v_cvt_f32_u32_e32 v3, s64
	v_cvt_f32_u32_e32 v14, s65
	s_sub_u32 s63, 0, s64
	s_subb_u32 s74, 0, s65
	v_mac_f32_e32 v3, 0x4f800000, v14
	v_rcp_f32_e32 v3, v3
	v_mul_f32_e32 v3, 0x5f7ffffc, v3
	v_mul_f32_e32 v14, 0x2f800000, v3
	v_trunc_f32_e32 v14, v14
	v_mac_f32_e32 v3, 0xcf800000, v14
	v_cvt_u32_f32_e32 v14, v14
	v_cvt_u32_f32_e32 v3, v3
	v_readfirstlane_b32 s75, v14
	v_readfirstlane_b32 s0, v3
	s_mul_i32 s1, s63, s75
	s_mul_hi_u32 s77, s63, s0
	s_mul_i32 s76, s74, s0
	s_add_i32 s1, s77, s1
	s_add_i32 s1, s1, s76
	s_mul_i32 s78, s63, s0
	s_mul_i32 s77, s0, s1
	s_mul_hi_u32 s79, s0, s78
	s_mul_hi_u32 s76, s0, s1
	s_add_u32 s77, s79, s77
	s_addc_u32 s76, 0, s76
	s_mul_hi_u32 s80, s75, s78
	s_mul_i32 s78, s75, s78
	s_add_u32 s77, s77, s78
	s_mul_hi_u32 s79, s75, s1
	s_addc_u32 s76, s76, s80
	s_addc_u32 s77, s79, 0
	s_mul_i32 s1, s75, s1
	s_add_u32 s1, s76, s1
	s_addc_u32 s76, 0, s77
	s_add_u32 s77, s0, s1
	s_cselect_b64 s[0:1], -1, 0
	s_cmp_lg_u64 s[0:1], 0
	s_addc_u32 s75, s75, s76
	s_mul_i32 s0, s63, s75
	s_mul_hi_u32 s1, s63, s77
	s_add_i32 s0, s1, s0
	s_mul_i32 s74, s74, s77
	s_add_i32 s0, s0, s74
	s_mul_i32 s63, s63, s77
	s_mul_hi_u32 s74, s75, s63
	s_mul_i32 s76, s75, s63
	s_mul_i32 s79, s77, s0
	s_mul_hi_u32 s63, s77, s63
	s_mul_hi_u32 s78, s77, s0
	s_add_u32 s63, s63, s79
	s_addc_u32 s78, 0, s78
	s_add_u32 s63, s63, s76
	s_mul_hi_u32 s1, s75, s0
	s_addc_u32 s63, s78, s74
	s_addc_u32 s1, s1, 0
	s_mul_i32 s0, s75, s0
	s_add_u32 s0, s63, s0
	s_addc_u32 s63, 0, s1
	s_add_u32 s74, s77, s0
	s_cselect_b64 s[0:1], -1, 0
	v_ashrrev_i32_e32 v3, 31, v13
	s_cmp_lg_u64 s[0:1], 0
	v_add_co_u32_e32 v14, vcc, v12, v3
	s_addc_u32 s63, s75, s63
	v_xor_b32_e32 v20, v14, v3
	v_mad_u64_u32 v[14:15], s[0:1], v20, s63, 0
	v_mul_hi_u32 v19, v20, s74
	v_addc_co_u32_e32 v18, vcc, v13, v3, vcc
	v_xor_b32_e32 v21, v18, v3
	v_add_co_u32_e32 v22, vcc, v19, v14
	v_addc_co_u32_e32 v23, vcc, 0, v15, vcc
	v_mad_u64_u32 v[14:15], s[0:1], v21, s74, 0
	v_mad_u64_u32 v[18:19], s[0:1], v21, s63, 0
	v_add_co_u32_e32 v14, vcc, v22, v14
	v_addc_co_u32_e32 v14, vcc, v23, v15, vcc
	v_addc_co_u32_e32 v15, vcc, 0, v19, vcc
	v_add_co_u32_e32 v18, vcc, v14, v18
	v_addc_co_u32_e32 v19, vcc, 0, v15, vcc
	v_mul_lo_u32 v22, s65, v18
	v_mul_lo_u32 v23, s64, v19
	v_mad_u64_u32 v[14:15], s[0:1], s64, v18, 0
	v_xor_b32_e32 v3, s62, v3
	v_add3_u32 v15, v15, v23, v22
	v_sub_u32_e32 v22, v21, v15
	v_mov_b32_e32 v23, s65
	v_sub_co_u32_e32 v14, vcc, v20, v14
	v_subb_co_u32_e64 v20, s[0:1], v22, v23, vcc
	v_subrev_co_u32_e64 v22, s[0:1], s64, v14
	v_subbrev_co_u32_e64 v20, s[0:1], 0, v20, s[0:1]
	v_cmp_le_u32_e64 s[0:1], s65, v20
	v_cndmask_b32_e64 v23, 0, -1, s[0:1]
	v_cmp_le_u32_e64 s[0:1], s64, v22
	v_cndmask_b32_e64 v22, 0, -1, s[0:1]
	v_cmp_eq_u32_e64 s[0:1], s65, v20
	v_cndmask_b32_e64 v20, v23, v22, s[0:1]
	v_add_co_u32_e64 v22, s[0:1], 2, v18
	v_subb_co_u32_e32 v15, vcc, v21, v15, vcc
	v_addc_co_u32_e64 v23, s[0:1], 0, v19, s[0:1]
	v_cmp_le_u32_e32 vcc, s65, v15
	v_add_co_u32_e64 v24, s[0:1], 1, v18
	v_cndmask_b32_e64 v21, 0, -1, vcc
	v_cmp_le_u32_e32 vcc, s64, v14
	v_addc_co_u32_e64 v25, s[0:1], 0, v19, s[0:1]
	v_cndmask_b32_e64 v14, 0, -1, vcc
	v_cmp_eq_u32_e32 vcc, s65, v15
	v_cmp_ne_u32_e64 s[0:1], 0, v20
	v_cndmask_b32_e32 v14, v21, v14, vcc
	v_cndmask_b32_e64 v20, v25, v23, s[0:1]
	v_cmp_ne_u32_e32 vcc, 0, v14
	v_cndmask_b32_e64 v15, v24, v22, s[0:1]
	v_cndmask_b32_e32 v14, v19, v20, vcc
	v_cndmask_b32_e32 v15, v18, v15, vcc
	v_xor_b32_e32 v18, v14, v3
	v_xor_b32_e32 v14, v15, v3
	v_sub_co_u32_e32 v14, vcc, v14, v3
	v_subb_co_u32_e32 v15, vcc, v18, v3, vcc
.LBB47_27:                              ;   in Loop: Header=BB47_21 Depth=2
	s_andn2_saveexec_b64 s[0:1], s[60:61]
	s_cbranch_execz .LBB47_20
; %bb.28:                               ;   in Loop: Header=BB47_21 Depth=2
	v_cvt_f32_u32_e32 v3, s54
	s_sub_i32 s60, 0, s54
	v_rcp_iflag_f32_e32 v3, v3
	v_mul_f32_e32 v3, 0x4f7ffffe, v3
	v_cvt_u32_f32_e32 v3, v3
	v_mul_lo_u32 v14, s60, v3
	v_mul_hi_u32 v14, v3, v14
	v_add_u32_e32 v3, v3, v14
	v_mul_hi_u32 v3, v12, v3
	v_mul_lo_u32 v14, v3, s54
	v_add_u32_e32 v15, 1, v3
	v_sub_u32_e32 v14, v12, v14
	v_subrev_u32_e32 v18, s54, v14
	v_cmp_le_u32_e32 vcc, s54, v14
	v_cndmask_b32_e32 v14, v14, v18, vcc
	v_cndmask_b32_e32 v3, v3, v15, vcc
	v_add_u32_e32 v15, 1, v3
	v_cmp_le_u32_e32 vcc, s54, v14
	v_cndmask_b32_e32 v14, v3, v15, vcc
	v_mov_b32_e32 v15, v2
	s_branch .LBB47_20
.LBB47_29:                              ;   in Loop: Header=BB47_3 Depth=1
	v_sub_co_u32_e32 v10, vcc, v4, v16
	v_subb_co_u32_e32 v11, vcc, v5, v17, vcc
	v_cmp_ge_i64_e32 vcc, s[8:9], v[10:11]
	v_mov_b32_e32 v3, 0
	v_mov_b32_e32 v15, 0
	;; [unrolled: 1-line block ×4, first 2 shown]
	s_and_saveexec_b64 s[0:1], vcc
	s_cbranch_execz .LBB47_39
; %bb.30:                               ;   in Loop: Header=BB47_3 Depth=1
	v_cmp_gt_i64_e32 vcc, s[14:15], v[4:5]
	v_mov_b32_e32 v14, 0
	v_mov_b32_e32 v13, 0
	;; [unrolled: 1-line block ×4, first 2 shown]
	s_and_saveexec_b64 s[46:47], vcc
	s_cbranch_execz .LBB47_38
; %bb.31:                               ;   in Loop: Header=BB47_3 Depth=1
	v_lshlrev_b64 v[8:9], 1, v[8:9]
	v_mov_b32_e32 v3, s3
	v_add_co_u32_e32 v8, vcc, s2, v8
	v_addc_co_u32_e32 v9, vcc, v3, v9, vcc
	global_load_ushort v3, v[8:9], off
	v_add_co_u32_e32 v12, vcc, 1, v4
	v_addc_co_u32_e32 v13, vcc, 0, v5, vcc
	v_cmp_gt_i64_e32 vcc, s[14:15], v[12:13]
	v_mov_b32_e32 v12, 0
	v_mov_b32_e32 v13, 0
	;; [unrolled: 1-line block ×3, first 2 shown]
	s_and_saveexec_b64 s[48:49], vcc
	s_cbranch_execz .LBB47_37
; %bb.32:                               ;   in Loop: Header=BB47_3 Depth=1
	s_lshl_b64 s[50:51], s[18:19], 1
	v_mov_b32_e32 v13, s51
	v_add_co_u32_e32 v12, vcc, s50, v8
	v_addc_co_u32_e32 v13, vcc, v9, v13, vcc
	global_load_ushort v12, v[12:13], off
	v_add_co_u32_e32 v13, vcc, 2, v4
	v_addc_co_u32_e32 v14, vcc, 0, v5, vcc
	v_cmp_gt_i64_e32 vcc, s[14:15], v[13:14]
	v_mov_b32_e32 v13, 0
	v_mov_b32_e32 v14, 0
	s_and_saveexec_b64 s[50:51], vcc
	s_cbranch_execz .LBB47_36
; %bb.33:                               ;   in Loop: Header=BB47_3 Depth=1
	v_mov_b32_e32 v14, s31
	v_add_co_u32_e32 v13, vcc, s30, v8
	v_addc_co_u32_e32 v14, vcc, v9, v14, vcc
	global_load_ushort v13, v[13:14], off
	v_add_co_u32_e32 v14, vcc, 3, v4
	v_addc_co_u32_e32 v15, vcc, 0, v5, vcc
	v_cmp_gt_i64_e32 vcc, s[14:15], v[14:15]
	v_mov_b32_e32 v14, 0
	s_and_saveexec_b64 s[52:53], vcc
	s_cbranch_execz .LBB47_35
; %bb.34:                               ;   in Loop: Header=BB47_3 Depth=1
	v_mov_b32_e32 v14, s68
	v_add_co_u32_e32 v8, vcc, s69, v8
	v_addc_co_u32_e32 v9, vcc, v9, v14, vcc
	global_load_ushort v14, v[8:9], off
.LBB47_35:                              ;   in Loop: Header=BB47_3 Depth=1
	s_or_b64 exec, exec, s[52:53]
.LBB47_36:                              ;   in Loop: Header=BB47_3 Depth=1
	s_or_b64 exec, exec, s[50:51]
.LBB47_37:                              ;   in Loop: Header=BB47_3 Depth=1
	s_or_b64 exec, exec, s[48:49]
.LBB47_38:                              ;   in Loop: Header=BB47_3 Depth=1
	s_or_b64 exec, exec, s[46:47]
	v_add_co_u32_e32 v8, vcc, 1, v10
	v_addc_co_u32_e32 v9, vcc, 0, v11, vcc
	v_cmp_ge_i64_e32 vcc, s[8:9], v[8:9]
	s_waitcnt vmcnt(0)
	v_cndmask_b32_e32 v15, 0, v12, vcc
	v_add_co_u32_e32 v8, vcc, 2, v10
	v_addc_co_u32_e32 v9, vcc, 0, v11, vcc
	v_cmp_ge_i64_e32 vcc, s[8:9], v[8:9]
	v_cndmask_b32_e32 v13, 0, v13, vcc
	v_add_co_u32_e32 v8, vcc, 3, v10
	v_addc_co_u32_e32 v9, vcc, 0, v11, vcc
	v_cmp_ge_i64_e32 vcc, s[8:9], v[8:9]
	v_cndmask_b32_e32 v12, 0, v14, vcc
.LBB47_39:                              ;   in Loop: Header=BB47_3 Depth=1
	s_or_b64 exec, exec, s[0:1]
	v_cmp_gt_i64_e32 vcc, s[14:15], v[4:5]
	s_and_saveexec_b64 s[0:1], vcc
	s_cbranch_execz .LBB47_2
; %bb.40:                               ;   in Loop: Header=BB47_3 Depth=1
	v_lshlrev_b64 v[6:7], 1, v[6:7]
	v_mov_b32_e32 v8, s29
	v_add_co_u32_e32 v6, vcc, s28, v6
	v_addc_co_u32_e32 v7, vcc, v8, v7, vcc
	v_add_co_u32_e32 v8, vcc, 1, v4
	v_addc_co_u32_e32 v9, vcc, 0, v5, vcc
	v_cmp_gt_i64_e32 vcc, s[14:15], v[8:9]
	global_store_short v[6:7], v3, off
	s_and_saveexec_b64 s[46:47], vcc
	s_xor_b64 s[46:47], exec, s[46:47]
	s_cbranch_execz .LBB47_2
; %bb.41:                               ;   in Loop: Header=BB47_3 Depth=1
	s_lshl_b64 s[46:47], s[22:23], 1
	v_mov_b32_e32 v3, s47
	v_add_co_u32_e32 v8, vcc, s46, v6
	v_addc_co_u32_e32 v9, vcc, v7, v3, vcc
	v_add_co_u32_e32 v10, vcc, 2, v4
	v_addc_co_u32_e32 v11, vcc, 0, v5, vcc
	v_cmp_gt_i64_e32 vcc, s[14:15], v[10:11]
	global_store_short v[8:9], v15, off
	s_and_saveexec_b64 s[46:47], vcc
	s_xor_b64 s[46:47], exec, s[46:47]
	s_cbranch_execz .LBB47_2
; %bb.42:                               ;   in Loop: Header=BB47_3 Depth=1
	v_mov_b32_e32 v3, s35
	v_add_co_u32_e32 v8, vcc, s34, v6
	v_addc_co_u32_e32 v9, vcc, v7, v3, vcc
	v_add_co_u32_e32 v3, vcc, 3, v4
	v_addc_co_u32_e32 v4, vcc, 0, v5, vcc
	v_cmp_gt_i64_e32 vcc, s[14:15], v[3:4]
	global_store_short v[8:9], v13, off
	s_and_saveexec_b64 s[46:47], vcc
	s_xor_b64 s[46:47], exec, s[46:47]
	s_cbranch_execz .LBB47_2
; %bb.43:                               ;   in Loop: Header=BB47_3 Depth=1
	v_mov_b32_e32 v4, s70
	v_add_co_u32_e32 v3, vcc, s71, v6
	v_addc_co_u32_e32 v4, vcc, v7, v4, vcc
	global_store_short v[3:4], v12, off
	s_branch .LBB47_2
.LBB47_44:
	s_endpgm
	.section	.rodata,"a",@progbits
	.p2align	6, 0x0
	.amdhsa_kernel _ZN2at6native16triu_tril_kernelIN3c108BFloat16ElLb0ELi4ELb0EEEvNS_4cuda6detail10TensorInfoIT_T0_EENS6_IKS7_S8_EEllS8_
		.amdhsa_group_segment_fixed_size 0
		.amdhsa_private_segment_fixed_size 0
		.amdhsa_kernarg_size 1112
		.amdhsa_user_sgpr_count 6
		.amdhsa_user_sgpr_private_segment_buffer 1
		.amdhsa_user_sgpr_dispatch_ptr 0
		.amdhsa_user_sgpr_queue_ptr 0
		.amdhsa_user_sgpr_kernarg_segment_ptr 1
		.amdhsa_user_sgpr_dispatch_id 0
		.amdhsa_user_sgpr_flat_scratch_init 0
		.amdhsa_user_sgpr_private_segment_size 0
		.amdhsa_uses_dynamic_stack 0
		.amdhsa_system_sgpr_private_segment_wavefront_offset 0
		.amdhsa_system_sgpr_workgroup_id_x 1
		.amdhsa_system_sgpr_workgroup_id_y 0
		.amdhsa_system_sgpr_workgroup_id_z 0
		.amdhsa_system_sgpr_workgroup_info 0
		.amdhsa_system_vgpr_workitem_id 0
		.amdhsa_next_free_vgpr 26
		.amdhsa_next_free_sgpr 81
		.amdhsa_reserve_vcc 1
		.amdhsa_reserve_flat_scratch 0
		.amdhsa_float_round_mode_32 0
		.amdhsa_float_round_mode_16_64 0
		.amdhsa_float_denorm_mode_32 3
		.amdhsa_float_denorm_mode_16_64 3
		.amdhsa_dx10_clamp 1
		.amdhsa_ieee_mode 1
		.amdhsa_fp16_overflow 0
		.amdhsa_exception_fp_ieee_invalid_op 0
		.amdhsa_exception_fp_denorm_src 0
		.amdhsa_exception_fp_ieee_div_zero 0
		.amdhsa_exception_fp_ieee_overflow 0
		.amdhsa_exception_fp_ieee_underflow 0
		.amdhsa_exception_fp_ieee_inexact 0
		.amdhsa_exception_int_div_zero 0
	.end_amdhsa_kernel
	.section	.text._ZN2at6native16triu_tril_kernelIN3c108BFloat16ElLb0ELi4ELb0EEEvNS_4cuda6detail10TensorInfoIT_T0_EENS6_IKS7_S8_EEllS8_,"axG",@progbits,_ZN2at6native16triu_tril_kernelIN3c108BFloat16ElLb0ELi4ELb0EEEvNS_4cuda6detail10TensorInfoIT_T0_EENS6_IKS7_S8_EEllS8_,comdat
.Lfunc_end47:
	.size	_ZN2at6native16triu_tril_kernelIN3c108BFloat16ElLb0ELi4ELb0EEEvNS_4cuda6detail10TensorInfoIT_T0_EENS6_IKS7_S8_EEllS8_, .Lfunc_end47-_ZN2at6native16triu_tril_kernelIN3c108BFloat16ElLb0ELi4ELb0EEEvNS_4cuda6detail10TensorInfoIT_T0_EENS6_IKS7_S8_EEllS8_
                                        ; -- End function
	.set _ZN2at6native16triu_tril_kernelIN3c108BFloat16ElLb0ELi4ELb0EEEvNS_4cuda6detail10TensorInfoIT_T0_EENS6_IKS7_S8_EEllS8_.num_vgpr, 26
	.set _ZN2at6native16triu_tril_kernelIN3c108BFloat16ElLb0ELi4ELb0EEEvNS_4cuda6detail10TensorInfoIT_T0_EENS6_IKS7_S8_EEllS8_.num_agpr, 0
	.set _ZN2at6native16triu_tril_kernelIN3c108BFloat16ElLb0ELi4ELb0EEEvNS_4cuda6detail10TensorInfoIT_T0_EENS6_IKS7_S8_EEllS8_.numbered_sgpr, 81
	.set _ZN2at6native16triu_tril_kernelIN3c108BFloat16ElLb0ELi4ELb0EEEvNS_4cuda6detail10TensorInfoIT_T0_EENS6_IKS7_S8_EEllS8_.num_named_barrier, 0
	.set _ZN2at6native16triu_tril_kernelIN3c108BFloat16ElLb0ELi4ELb0EEEvNS_4cuda6detail10TensorInfoIT_T0_EENS6_IKS7_S8_EEllS8_.private_seg_size, 0
	.set _ZN2at6native16triu_tril_kernelIN3c108BFloat16ElLb0ELi4ELb0EEEvNS_4cuda6detail10TensorInfoIT_T0_EENS6_IKS7_S8_EEllS8_.uses_vcc, 1
	.set _ZN2at6native16triu_tril_kernelIN3c108BFloat16ElLb0ELi4ELb0EEEvNS_4cuda6detail10TensorInfoIT_T0_EENS6_IKS7_S8_EEllS8_.uses_flat_scratch, 0
	.set _ZN2at6native16triu_tril_kernelIN3c108BFloat16ElLb0ELi4ELb0EEEvNS_4cuda6detail10TensorInfoIT_T0_EENS6_IKS7_S8_EEllS8_.has_dyn_sized_stack, 0
	.set _ZN2at6native16triu_tril_kernelIN3c108BFloat16ElLb0ELi4ELb0EEEvNS_4cuda6detail10TensorInfoIT_T0_EENS6_IKS7_S8_EEllS8_.has_recursion, 0
	.set _ZN2at6native16triu_tril_kernelIN3c108BFloat16ElLb0ELi4ELb0EEEvNS_4cuda6detail10TensorInfoIT_T0_EENS6_IKS7_S8_EEllS8_.has_indirect_call, 0
	.section	.AMDGPU.csdata,"",@progbits
; Kernel info:
; codeLenInByte = 5272
; TotalNumSgprs: 85
; NumVgprs: 26
; ScratchSize: 0
; MemoryBound: 0
; FloatMode: 240
; IeeeMode: 1
; LDSByteSize: 0 bytes/workgroup (compile time only)
; SGPRBlocks: 10
; VGPRBlocks: 6
; NumSGPRsForWavesPerEU: 85
; NumVGPRsForWavesPerEU: 26
; Occupancy: 9
; WaveLimiterHint : 0
; COMPUTE_PGM_RSRC2:SCRATCH_EN: 0
; COMPUTE_PGM_RSRC2:USER_SGPR: 6
; COMPUTE_PGM_RSRC2:TRAP_HANDLER: 0
; COMPUTE_PGM_RSRC2:TGID_X_EN: 1
; COMPUTE_PGM_RSRC2:TGID_Y_EN: 0
; COMPUTE_PGM_RSRC2:TGID_Z_EN: 0
; COMPUTE_PGM_RSRC2:TIDIG_COMP_CNT: 0
	.section	.text._ZN2at6native16triu_tril_kernelIbiLb0ELi4ELb1EEEvNS_4cuda6detail10TensorInfoIT_T0_EENS4_IKS5_S6_EEllS6_,"axG",@progbits,_ZN2at6native16triu_tril_kernelIbiLb0ELi4ELb1EEEvNS_4cuda6detail10TensorInfoIT_T0_EENS4_IKS5_S6_EEllS6_,comdat
	.protected	_ZN2at6native16triu_tril_kernelIbiLb0ELi4ELb1EEEvNS_4cuda6detail10TensorInfoIT_T0_EENS4_IKS5_S6_EEllS6_ ; -- Begin function _ZN2at6native16triu_tril_kernelIbiLb0ELi4ELb1EEEvNS_4cuda6detail10TensorInfoIT_T0_EENS4_IKS5_S6_EEllS6_
	.globl	_ZN2at6native16triu_tril_kernelIbiLb0ELi4ELb1EEEvNS_4cuda6detail10TensorInfoIT_T0_EENS4_IKS5_S6_EEllS6_
	.p2align	8
	.type	_ZN2at6native16triu_tril_kernelIbiLb0ELi4ELb1EEEvNS_4cuda6detail10TensorInfoIT_T0_EENS4_IKS5_S6_EEllS6_,@function
_ZN2at6native16triu_tril_kernelIbiLb0ELi4ELb1EEEvNS_4cuda6detail10TensorInfoIT_T0_EENS4_IKS5_S6_EEllS6_: ; @_ZN2at6native16triu_tril_kernelIbiLb0ELi4ELb1EEEvNS_4cuda6detail10TensorInfoIT_T0_EENS4_IKS5_S6_EEllS6_
; %bb.0:
	s_load_dword s2, s[4:5], 0x1d4
	s_load_dwordx4 s[8:11], s[4:5], 0x1b0
	s_add_u32 s0, s4, 0x1c8
	v_mov_b32_e32 v2, 0
	s_addc_u32 s1, s5, 0
	s_waitcnt lgkmcnt(0)
	s_and_b32 s7, s2, 0xffff
	v_mov_b32_e32 v1, v2
	v_mov_b32_e32 v3, s6
	v_mad_u64_u32 v[0:1], s[2:3], s7, v3, v[0:1]
	v_lshlrev_b64 v[0:1], 2, v[0:1]
	v_cmp_gt_i64_e32 vcc, s[10:11], v[0:1]
	s_and_saveexec_b64 s[2:3], vcc
	s_cbranch_execz .LBB48_69
; %bb.1:
	s_load_dword s33, s[4:5], 0x1c0
	s_load_dword s16, s[4:5], 0x1a8
	s_add_u32 s42, s4, 0xd8
	s_addc_u32 s43, s5, 0
	s_load_dword s6, s[0:1], 0x0
	s_waitcnt lgkmcnt(0)
	s_ashr_i32 s44, s33, 31
	s_ashr_i32 s17, s16, 31
	s_lshl_b64 s[0:1], s[16:17], 2
	s_add_u32 s2, s42, s0
	s_addc_u32 s3, s43, s1
	s_load_dword s45, s[2:3], 0x0
	s_load_dwordx2 s[12:13], s[4:5], 0x0
	s_mul_i32 s18, s6, s7
	v_cmp_gt_i64_e64 s[6:7], s[16:17], 2
	s_mov_b32 s17, 0
	s_waitcnt lgkmcnt(0)
	s_ashr_i32 s46, s45, 31
	s_add_u32 s14, s4, s0
	s_addc_u32 s15, s5, s1
	s_add_i32 s0, s16, 6
	s_add_i32 s47, s16, -3
	s_lshl_b32 s48, s18, 2
	s_and_b32 s49, s0, 7
	s_and_b32 s0, s16, 7
	s_cmp_lg_u32 s0, 2
	s_cselect_b64 s[18:19], -1, 0
	s_cmp_gt_u32 s47, 6
	s_cselect_b64 s[20:21], -1, 0
	s_mov_b64 s[22:23], 0
	s_ashr_i32 s24, s44, 31
	s_branch .LBB48_3
.LBB48_2:                               ;   in Loop: Header=BB48_3 Depth=1
	s_or_b64 exec, exec, s[26:27]
	v_add_co_u32_e32 v0, vcc, s48, v0
	v_addc_co_u32_e32 v1, vcc, 0, v1, vcc
	v_cmp_le_i64_e32 vcc, s[10:11], v[0:1]
	s_or_b64 s[22:23], vcc, s[22:23]
	s_andn2_b64 exec, exec, s[22:23]
	s_cbranch_execz .LBB48_69
.LBB48_3:                               ; =>This Loop Header: Depth=1
                                        ;     Child Loop BB48_14 Depth 2
                                        ;     Child Loop BB48_23 Depth 2
	v_or_b32_e32 v3, s44, v1
	v_cmp_ne_u64_e32 vcc, 0, v[2:3]
                                        ; implicit-def: $vgpr4_vgpr5
	s_and_saveexec_b64 s[0:1], vcc
	s_xor_b64 s[26:27], exec, s[0:1]
	s_cbranch_execz .LBB48_5
; %bb.4:                                ;   in Loop: Header=BB48_3 Depth=1
	s_add_u32 s0, s33, s24
	s_mov_b32 s25, s24
	s_addc_u32 s1, s44, s24
	s_xor_b64 s[28:29], s[0:1], s[24:25]
	v_cvt_f32_u32_e32 v3, s28
	v_cvt_f32_u32_e32 v4, s29
	s_sub_u32 s16, 0, s28
	s_subb_u32 s25, 0, s29
	v_ashrrev_i32_e32 v7, 31, v1
	v_mac_f32_e32 v3, 0x4f800000, v4
	v_rcp_f32_e32 v3, v3
	v_mul_f32_e32 v3, 0x5f7ffffc, v3
	v_mul_f32_e32 v4, 0x2f800000, v3
	v_trunc_f32_e32 v4, v4
	v_mac_f32_e32 v3, 0xcf800000, v4
	v_cvt_u32_f32_e32 v4, v4
	v_cvt_u32_f32_e32 v3, v3
	v_readfirstlane_b32 s30, v4
	v_readfirstlane_b32 s0, v3
	s_mul_i32 s1, s16, s30
	s_mul_hi_u32 s34, s16, s0
	s_mul_i32 s31, s25, s0
	s_add_i32 s1, s34, s1
	s_add_i32 s1, s1, s31
	s_mul_i32 s35, s16, s0
	s_mul_i32 s34, s0, s1
	s_mul_hi_u32 s36, s0, s35
	s_mul_hi_u32 s31, s0, s1
	s_add_u32 s34, s36, s34
	s_addc_u32 s31, 0, s31
	s_mul_hi_u32 s37, s30, s35
	s_mul_i32 s35, s30, s35
	s_add_u32 s34, s34, s35
	s_mul_hi_u32 s36, s30, s1
	s_addc_u32 s31, s31, s37
	s_addc_u32 s34, s36, 0
	s_mul_i32 s1, s30, s1
	s_add_u32 s1, s31, s1
	s_addc_u32 s31, 0, s34
	s_add_u32 s34, s0, s1
	s_cselect_b64 s[0:1], -1, 0
	s_cmp_lg_u64 s[0:1], 0
	s_addc_u32 s30, s30, s31
	s_mul_i32 s0, s16, s30
	s_mul_hi_u32 s1, s16, s34
	s_add_i32 s0, s1, s0
	s_mul_i32 s25, s25, s34
	s_add_i32 s0, s0, s25
	s_mul_i32 s16, s16, s34
	s_mul_hi_u32 s25, s30, s16
	s_mul_i32 s31, s30, s16
	s_mul_i32 s36, s34, s0
	s_mul_hi_u32 s16, s34, s16
	s_mul_hi_u32 s35, s34, s0
	s_add_u32 s16, s16, s36
	s_addc_u32 s35, 0, s35
	s_add_u32 s16, s16, s31
	s_mul_hi_u32 s1, s30, s0
	s_addc_u32 s16, s35, s25
	s_addc_u32 s1, s1, 0
	s_mul_i32 s0, s30, s0
	s_add_u32 s0, s16, s0
	s_addc_u32 s16, 0, s1
	s_add_u32 s25, s34, s0
	s_cselect_b64 s[0:1], -1, 0
	s_cmp_lg_u64 s[0:1], 0
	v_add_co_u32_e32 v3, vcc, v0, v7
	s_addc_u32 s16, s30, s16
	v_xor_b32_e32 v8, v3, v7
	v_mad_u64_u32 v[3:4], s[0:1], v8, s16, 0
	v_mul_hi_u32 v6, v8, s25
	v_addc_co_u32_e32 v5, vcc, v1, v7, vcc
	v_xor_b32_e32 v9, v5, v7
	v_add_co_u32_e32 v10, vcc, v6, v3
	v_addc_co_u32_e32 v11, vcc, 0, v4, vcc
	v_mad_u64_u32 v[3:4], s[0:1], v9, s25, 0
	v_mad_u64_u32 v[5:6], s[0:1], v9, s16, 0
	v_add_co_u32_e32 v3, vcc, v10, v3
	v_addc_co_u32_e32 v3, vcc, v11, v4, vcc
	v_addc_co_u32_e32 v4, vcc, 0, v6, vcc
	v_add_co_u32_e32 v5, vcc, v3, v5
	v_addc_co_u32_e32 v6, vcc, 0, v4, vcc
	v_mul_lo_u32 v10, s29, v5
	v_mul_lo_u32 v11, s28, v6
	v_mad_u64_u32 v[3:4], s[0:1], s28, v5, 0
	v_add3_u32 v4, v4, v11, v10
	v_sub_u32_e32 v10, v9, v4
	v_mov_b32_e32 v11, s29
	v_sub_co_u32_e32 v3, vcc, v8, v3
	v_subb_co_u32_e64 v8, s[0:1], v10, v11, vcc
	v_subrev_co_u32_e64 v10, s[0:1], s28, v3
	v_subbrev_co_u32_e64 v8, s[0:1], 0, v8, s[0:1]
	v_cmp_le_u32_e64 s[0:1], s29, v8
	v_cndmask_b32_e64 v11, 0, -1, s[0:1]
	v_cmp_le_u32_e64 s[0:1], s28, v10
	v_cndmask_b32_e64 v10, 0, -1, s[0:1]
	v_cmp_eq_u32_e64 s[0:1], s29, v8
	v_cndmask_b32_e64 v8, v11, v10, s[0:1]
	v_add_co_u32_e64 v10, s[0:1], 2, v5
	v_subb_co_u32_e32 v4, vcc, v9, v4, vcc
	v_addc_co_u32_e64 v11, s[0:1], 0, v6, s[0:1]
	v_cmp_le_u32_e32 vcc, s29, v4
	v_add_co_u32_e64 v12, s[0:1], 1, v5
	v_cndmask_b32_e64 v9, 0, -1, vcc
	v_cmp_le_u32_e32 vcc, s28, v3
	v_addc_co_u32_e64 v13, s[0:1], 0, v6, s[0:1]
	v_cndmask_b32_e64 v3, 0, -1, vcc
	v_cmp_eq_u32_e32 vcc, s29, v4
	v_cmp_ne_u32_e64 s[0:1], 0, v8
	v_cndmask_b32_e32 v3, v9, v3, vcc
	v_cmp_ne_u32_e32 vcc, 0, v3
	v_cndmask_b32_e64 v4, v12, v10, s[0:1]
	v_cndmask_b32_e64 v8, v13, v11, s[0:1]
	v_cndmask_b32_e32 v4, v5, v4, vcc
	v_xor_b32_e32 v5, s24, v7
	v_cndmask_b32_e32 v3, v6, v8, vcc
	v_xor_b32_e32 v4, v4, v5
	v_xor_b32_e32 v3, v3, v5
	v_sub_co_u32_e32 v4, vcc, v4, v5
	v_subb_co_u32_e32 v5, vcc, v3, v5, vcc
.LBB48_5:                               ;   in Loop: Header=BB48_3 Depth=1
	s_andn2_saveexec_b64 s[0:1], s[26:27]
	s_cbranch_execz .LBB48_7
; %bb.6:                                ;   in Loop: Header=BB48_3 Depth=1
	v_cvt_f32_u32_e32 v3, s33
	s_sub_i32 s16, 0, s33
	v_rcp_iflag_f32_e32 v3, v3
	v_mul_f32_e32 v3, 0x4f7ffffe, v3
	v_cvt_u32_f32_e32 v3, v3
	v_mul_lo_u32 v4, s16, v3
	v_mul_hi_u32 v4, v3, v4
	v_add_u32_e32 v3, v3, v4
	v_mul_hi_u32 v3, v0, v3
	v_mul_lo_u32 v4, v3, s33
	v_add_u32_e32 v5, 1, v3
	v_sub_u32_e32 v4, v0, v4
	v_subrev_u32_e32 v6, s33, v4
	v_cmp_le_u32_e32 vcc, s33, v4
	v_cndmask_b32_e32 v4, v4, v6, vcc
	v_cndmask_b32_e32 v3, v3, v5, vcc
	v_add_u32_e32 v5, 1, v3
	v_cmp_le_u32_e32 vcc, s33, v4
	v_cndmask_b32_e32 v4, v3, v5, vcc
	v_mov_b32_e32 v5, v2
.LBB48_7:                               ;   in Loop: Header=BB48_3 Depth=1
	s_or_b64 exec, exec, s[0:1]
	v_or_b32_e32 v3, s46, v5
	v_cmp_ne_u64_e32 vcc, 0, v[2:3]
                                        ; implicit-def: $vgpr7_vgpr8
	s_and_saveexec_b64 s[0:1], vcc
	s_xor_b64 s[26:27], exec, s[0:1]
	s_cbranch_execz .LBB48_9
; %bb.8:                                ;   in Loop: Header=BB48_3 Depth=1
	s_ashr_i32 s28, s46, 31
	s_add_u32 s0, s45, s28
	s_mov_b32 s29, s28
	s_addc_u32 s1, s46, s28
	s_xor_b64 s[30:31], s[0:1], s[28:29]
	v_cvt_f32_u32_e32 v3, s30
	v_cvt_f32_u32_e32 v6, s31
	s_sub_u32 s16, 0, s30
	s_subb_u32 s25, 0, s31
	v_mac_f32_e32 v3, 0x4f800000, v6
	v_rcp_f32_e32 v3, v3
	v_mul_f32_e32 v3, 0x5f7ffffc, v3
	v_mul_f32_e32 v6, 0x2f800000, v3
	v_trunc_f32_e32 v6, v6
	v_mac_f32_e32 v3, 0xcf800000, v6
	v_cvt_u32_f32_e32 v6, v6
	v_cvt_u32_f32_e32 v3, v3
	v_readfirstlane_b32 s29, v6
	v_readfirstlane_b32 s0, v3
	s_mul_i32 s1, s16, s29
	s_mul_hi_u32 s35, s16, s0
	s_mul_i32 s34, s25, s0
	s_add_i32 s1, s35, s1
	s_add_i32 s1, s1, s34
	s_mul_i32 s36, s16, s0
	s_mul_i32 s35, s0, s1
	s_mul_hi_u32 s37, s0, s36
	s_mul_hi_u32 s34, s0, s1
	s_add_u32 s35, s37, s35
	s_addc_u32 s34, 0, s34
	s_mul_hi_u32 s38, s29, s36
	s_mul_i32 s36, s29, s36
	s_add_u32 s35, s35, s36
	s_mul_hi_u32 s37, s29, s1
	s_addc_u32 s34, s34, s38
	s_addc_u32 s35, s37, 0
	s_mul_i32 s1, s29, s1
	s_add_u32 s1, s34, s1
	s_addc_u32 s34, 0, s35
	s_add_u32 s35, s0, s1
	s_cselect_b64 s[0:1], -1, 0
	s_cmp_lg_u64 s[0:1], 0
	s_addc_u32 s29, s29, s34
	s_mul_i32 s0, s16, s29
	s_mul_hi_u32 s1, s16, s35
	s_add_i32 s0, s1, s0
	s_mul_i32 s25, s25, s35
	s_add_i32 s0, s0, s25
	s_mul_i32 s16, s16, s35
	s_mul_hi_u32 s25, s29, s16
	s_mul_i32 s34, s29, s16
	s_mul_i32 s37, s35, s0
	s_mul_hi_u32 s16, s35, s16
	s_mul_hi_u32 s36, s35, s0
	s_add_u32 s16, s16, s37
	s_addc_u32 s36, 0, s36
	s_add_u32 s16, s16, s34
	s_mul_hi_u32 s1, s29, s0
	s_addc_u32 s16, s36, s25
	s_addc_u32 s1, s1, 0
	s_mul_i32 s0, s29, s0
	s_add_u32 s0, s16, s0
	s_addc_u32 s16, 0, s1
	s_add_u32 s25, s35, s0
	s_cselect_b64 s[0:1], -1, 0
	v_ashrrev_i32_e32 v3, 31, v5
	s_cmp_lg_u64 s[0:1], 0
	v_add_co_u32_e32 v6, vcc, v4, v3
	s_addc_u32 s16, s29, s16
	v_xor_b32_e32 v9, v6, v3
	v_addc_co_u32_e32 v7, vcc, v5, v3, vcc
	v_mad_u64_u32 v[5:6], s[0:1], v9, s16, 0
	v_mul_hi_u32 v8, v9, s25
	v_xor_b32_e32 v10, v7, v3
	v_xor_b32_e32 v3, s28, v3
	v_add_co_u32_e32 v11, vcc, v8, v5
	v_addc_co_u32_e32 v12, vcc, 0, v6, vcc
	v_mad_u64_u32 v[5:6], s[0:1], v10, s25, 0
	v_mad_u64_u32 v[7:8], s[0:1], v10, s16, 0
	v_add_co_u32_e32 v5, vcc, v11, v5
	v_addc_co_u32_e32 v5, vcc, v12, v6, vcc
	v_addc_co_u32_e32 v6, vcc, 0, v8, vcc
	v_add_co_u32_e32 v7, vcc, v5, v7
	v_addc_co_u32_e32 v8, vcc, 0, v6, vcc
	v_mul_lo_u32 v11, s31, v7
	v_mul_lo_u32 v12, s30, v8
	v_mad_u64_u32 v[5:6], s[0:1], s30, v7, 0
	v_add3_u32 v6, v6, v12, v11
	v_sub_u32_e32 v11, v10, v6
	v_mov_b32_e32 v12, s31
	v_sub_co_u32_e32 v5, vcc, v9, v5
	v_subb_co_u32_e64 v9, s[0:1], v11, v12, vcc
	v_subrev_co_u32_e64 v11, s[0:1], s30, v5
	v_subbrev_co_u32_e64 v9, s[0:1], 0, v9, s[0:1]
	v_cmp_le_u32_e64 s[0:1], s31, v9
	v_cndmask_b32_e64 v12, 0, -1, s[0:1]
	v_cmp_le_u32_e64 s[0:1], s30, v11
	v_cndmask_b32_e64 v11, 0, -1, s[0:1]
	v_cmp_eq_u32_e64 s[0:1], s31, v9
	v_cndmask_b32_e64 v9, v12, v11, s[0:1]
	v_add_co_u32_e64 v11, s[0:1], 2, v7
	v_subb_co_u32_e32 v6, vcc, v10, v6, vcc
	v_addc_co_u32_e64 v12, s[0:1], 0, v8, s[0:1]
	v_cmp_le_u32_e32 vcc, s31, v6
	v_add_co_u32_e64 v13, s[0:1], 1, v7
	v_cndmask_b32_e64 v10, 0, -1, vcc
	v_cmp_le_u32_e32 vcc, s30, v5
	v_addc_co_u32_e64 v14, s[0:1], 0, v8, s[0:1]
	v_cndmask_b32_e64 v5, 0, -1, vcc
	v_cmp_eq_u32_e32 vcc, s31, v6
	v_cmp_ne_u32_e64 s[0:1], 0, v9
	v_cndmask_b32_e32 v5, v10, v5, vcc
	v_cmp_ne_u32_e32 vcc, 0, v5
	v_cndmask_b32_e64 v6, v13, v11, s[0:1]
	v_cndmask_b32_e64 v9, v14, v12, s[0:1]
	v_cndmask_b32_e32 v6, v7, v6, vcc
	v_cndmask_b32_e32 v5, v8, v9, vcc
	v_xor_b32_e32 v6, v6, v3
	v_xor_b32_e32 v5, v5, v3
	v_sub_co_u32_e32 v7, vcc, v6, v3
	v_subb_co_u32_e32 v8, vcc, v5, v3, vcc
.LBB48_9:                               ;   in Loop: Header=BB48_3 Depth=1
	s_andn2_saveexec_b64 s[0:1], s[26:27]
	s_cbranch_execz .LBB48_11
; %bb.10:                               ;   in Loop: Header=BB48_3 Depth=1
	v_cvt_f32_u32_e32 v3, s45
	s_sub_i32 s16, 0, s45
	v_mov_b32_e32 v8, v2
	v_rcp_iflag_f32_e32 v3, v3
	v_mul_f32_e32 v3, 0x4f7ffffe, v3
	v_cvt_u32_f32_e32 v3, v3
	v_mul_lo_u32 v5, s16, v3
	v_mul_hi_u32 v5, v3, v5
	v_add_u32_e32 v3, v3, v5
	v_mul_hi_u32 v3, v4, v3
	v_mul_lo_u32 v5, v3, s45
	v_add_u32_e32 v6, 1, v3
	v_sub_u32_e32 v5, v4, v5
	v_subrev_u32_e32 v7, s45, v5
	v_cmp_le_u32_e32 vcc, s45, v5
	v_cndmask_b32_e32 v5, v5, v7, vcc
	v_cndmask_b32_e32 v3, v3, v6, vcc
	v_add_u32_e32 v6, 1, v3
	v_cmp_le_u32_e32 vcc, s45, v5
	v_cndmask_b32_e32 v7, v3, v6, vcc
.LBB48_11:                              ;   in Loop: Header=BB48_3 Depth=1
	s_or_b64 exec, exec, s[0:1]
	v_mad_u64_u32 v[5:6], s[0:1], v4, s33, 0
	v_mad_u64_u32 v[9:10], s[0:1], v7, s45, 0
	v_sub_co_u32_e32 v26, vcc, v0, v5
	v_sub_co_u32_e32 v25, vcc, v4, v9
	v_sub_u32_e32 v6, v26, v25
	v_add_u32_e32 v3, 4, v6
	v_ashrrev_i32_e32 v4, 31, v3
	v_cmp_lt_i64_e32 vcc, s[8:9], v[3:4]
	s_and_saveexec_b64 s[26:27], vcc
	s_cbranch_execz .LBB48_2
; %bb.12:                               ;   in Loop: Header=BB48_3 Depth=1
	s_load_dwordx2 s[28:29], s[14:15], 0x64
	s_andn2_b64 vcc, exec, s[6:7]
	s_waitcnt lgkmcnt(0)
	v_mul_lo_u32 v3, s29, v26
	v_mad_u64_u32 v[4:5], s[0:1], s28, v25, v[3:4]
	s_cbranch_vccnz .LBB48_57
; %bb.13:                               ;   in Loop: Header=BB48_3 Depth=1
	s_andn2_b64 vcc, exec, s[18:19]
	s_mov_b32 s25, s49
	s_mov_b32 s16, s47
	;; [unrolled: 1-line block ×3, first 2 shown]
	s_cbranch_vccnz .LBB48_21
.LBB48_14:                              ;   Parent Loop BB48_3 Depth=1
                                        ; =>  This Inner Loop Header: Depth=2
	s_lshl_b64 s[30:31], s[16:17], 2
	s_add_u32 s0, s42, s30
	s_addc_u32 s1, s43, s31
	s_load_dword s28, s[0:1], 0x8
                                        ; implicit-def: $vgpr9_vgpr10
	s_waitcnt lgkmcnt(0)
	s_ashr_i32 s0, s28, 31
	v_or_b32_e32 v3, s0, v8
	v_cmp_ne_u64_e32 vcc, 0, v[2:3]
	s_and_saveexec_b64 s[34:35], vcc
	s_xor_b64 s[34:35], exec, s[34:35]
	s_cbranch_execz .LBB48_16
; %bb.15:                               ;   in Loop: Header=BB48_14 Depth=2
	s_ashr_i32 s36, s0, 31
	s_add_u32 s38, s28, s36
	s_mov_b32 s37, s36
	s_addc_u32 s39, s0, s36
	s_xor_b64 s[38:39], s[38:39], s[36:37]
	v_cvt_f32_u32_e32 v3, s38
	v_cvt_f32_u32_e32 v5, s39
	s_sub_u32 s37, 0, s38
	s_subb_u32 s40, 0, s39
	v_mac_f32_e32 v3, 0x4f800000, v5
	v_rcp_f32_e32 v3, v3
	v_mul_f32_e32 v3, 0x5f7ffffc, v3
	v_mul_f32_e32 v5, 0x2f800000, v3
	v_trunc_f32_e32 v5, v5
	v_mac_f32_e32 v3, 0xcf800000, v5
	v_cvt_u32_f32_e32 v5, v5
	v_cvt_u32_f32_e32 v3, v3
	v_readfirstlane_b32 s41, v5
	v_readfirstlane_b32 s0, v3
	s_mul_i32 s1, s37, s41
	s_mul_hi_u32 s51, s37, s0
	s_mul_i32 s50, s40, s0
	s_add_i32 s1, s51, s1
	s_add_i32 s1, s1, s50
	s_mul_i32 s52, s37, s0
	s_mul_i32 s51, s0, s1
	s_mul_hi_u32 s53, s0, s52
	s_mul_hi_u32 s50, s0, s1
	s_add_u32 s51, s53, s51
	s_addc_u32 s50, 0, s50
	s_mul_hi_u32 s54, s41, s52
	s_mul_i32 s52, s41, s52
	s_add_u32 s51, s51, s52
	s_mul_hi_u32 s53, s41, s1
	s_addc_u32 s50, s50, s54
	s_addc_u32 s51, s53, 0
	s_mul_i32 s1, s41, s1
	s_add_u32 s1, s50, s1
	s_addc_u32 s50, 0, s51
	s_add_u32 s51, s0, s1
	s_cselect_b64 s[0:1], -1, 0
	s_cmp_lg_u64 s[0:1], 0
	s_addc_u32 s41, s41, s50
	s_mul_i32 s0, s37, s41
	s_mul_hi_u32 s1, s37, s51
	s_add_i32 s0, s1, s0
	s_mul_i32 s40, s40, s51
	s_add_i32 s0, s0, s40
	s_mul_i32 s37, s37, s51
	s_mul_hi_u32 s40, s41, s37
	s_mul_i32 s50, s41, s37
	s_mul_i32 s53, s51, s0
	s_mul_hi_u32 s37, s51, s37
	s_mul_hi_u32 s52, s51, s0
	s_add_u32 s37, s37, s53
	s_addc_u32 s52, 0, s52
	s_add_u32 s37, s37, s50
	s_mul_hi_u32 s1, s41, s0
	s_addc_u32 s37, s52, s40
	s_addc_u32 s1, s1, 0
	s_mul_i32 s0, s41, s0
	s_add_u32 s0, s37, s0
	s_addc_u32 s37, 0, s1
	s_add_u32 s40, s51, s0
	s_cselect_b64 s[0:1], -1, 0
	v_ashrrev_i32_e32 v3, 31, v8
	s_cmp_lg_u64 s[0:1], 0
	v_add_co_u32_e32 v5, vcc, v7, v3
	s_addc_u32 s37, s41, s37
	v_xor_b32_e32 v5, v5, v3
	v_addc_co_u32_e32 v10, vcc, v8, v3, vcc
	v_mad_u64_u32 v[8:9], s[0:1], v5, s37, 0
	v_mul_hi_u32 v11, v5, s40
	v_xor_b32_e32 v12, v10, v3
	v_xor_b32_e32 v3, s36, v3
	v_add_co_u32_e32 v13, vcc, v11, v8
	v_addc_co_u32_e32 v14, vcc, 0, v9, vcc
	v_mad_u64_u32 v[8:9], s[0:1], v12, s40, 0
	v_mad_u64_u32 v[10:11], s[0:1], v12, s37, 0
	v_add_co_u32_e32 v8, vcc, v13, v8
	v_addc_co_u32_e32 v8, vcc, v14, v9, vcc
	v_addc_co_u32_e32 v9, vcc, 0, v11, vcc
	v_add_co_u32_e32 v10, vcc, v8, v10
	v_addc_co_u32_e32 v11, vcc, 0, v9, vcc
	v_mul_lo_u32 v13, s39, v10
	v_mul_lo_u32 v14, s38, v11
	v_mad_u64_u32 v[8:9], s[0:1], s38, v10, 0
	v_add3_u32 v9, v9, v14, v13
	v_sub_u32_e32 v13, v12, v9
	v_mov_b32_e32 v14, s39
	v_sub_co_u32_e32 v5, vcc, v5, v8
	v_subb_co_u32_e64 v8, s[0:1], v13, v14, vcc
	v_subrev_co_u32_e64 v13, s[0:1], s38, v5
	v_subbrev_co_u32_e64 v8, s[0:1], 0, v8, s[0:1]
	v_cmp_le_u32_e64 s[0:1], s39, v8
	v_cndmask_b32_e64 v14, 0, -1, s[0:1]
	v_cmp_le_u32_e64 s[0:1], s38, v13
	v_cndmask_b32_e64 v13, 0, -1, s[0:1]
	v_cmp_eq_u32_e64 s[0:1], s39, v8
	v_cndmask_b32_e64 v8, v14, v13, s[0:1]
	v_add_co_u32_e64 v13, s[0:1], 2, v10
	v_subb_co_u32_e32 v9, vcc, v12, v9, vcc
	v_addc_co_u32_e64 v14, s[0:1], 0, v11, s[0:1]
	v_cmp_le_u32_e32 vcc, s39, v9
	v_add_co_u32_e64 v15, s[0:1], 1, v10
	v_cndmask_b32_e64 v12, 0, -1, vcc
	v_cmp_le_u32_e32 vcc, s38, v5
	v_addc_co_u32_e64 v16, s[0:1], 0, v11, s[0:1]
	v_cndmask_b32_e64 v5, 0, -1, vcc
	v_cmp_eq_u32_e32 vcc, s39, v9
	v_cmp_ne_u32_e64 s[0:1], 0, v8
	v_cndmask_b32_e32 v5, v12, v5, vcc
	v_cndmask_b32_e64 v8, v16, v14, s[0:1]
	v_cmp_ne_u32_e32 vcc, 0, v5
	v_cndmask_b32_e32 v5, v11, v8, vcc
	v_cndmask_b32_e64 v8, v15, v13, s[0:1]
	v_cndmask_b32_e32 v8, v10, v8, vcc
	v_xor_b32_e32 v8, v8, v3
	v_xor_b32_e32 v5, v5, v3
	v_sub_co_u32_e32 v9, vcc, v8, v3
	v_subb_co_u32_e32 v10, vcc, v5, v3, vcc
.LBB48_16:                              ;   in Loop: Header=BB48_14 Depth=2
	s_andn2_saveexec_b64 s[0:1], s[34:35]
	s_cbranch_execz .LBB48_18
; %bb.17:                               ;   in Loop: Header=BB48_14 Depth=2
	v_cvt_f32_u32_e32 v3, s28
	s_sub_i32 s34, 0, s28
	v_mov_b32_e32 v10, v2
	v_rcp_iflag_f32_e32 v3, v3
	v_mul_f32_e32 v3, 0x4f7ffffe, v3
	v_cvt_u32_f32_e32 v3, v3
	v_mul_lo_u32 v5, s34, v3
	v_mul_hi_u32 v5, v3, v5
	v_add_u32_e32 v3, v3, v5
	v_mul_hi_u32 v3, v7, v3
	v_mul_lo_u32 v5, v3, s28
	v_add_u32_e32 v8, 1, v3
	v_sub_u32_e32 v5, v7, v5
	v_subrev_u32_e32 v9, s28, v5
	v_cmp_le_u32_e32 vcc, s28, v5
	v_cndmask_b32_e32 v5, v5, v9, vcc
	v_cndmask_b32_e32 v3, v3, v8, vcc
	v_add_u32_e32 v8, 1, v3
	v_cmp_le_u32_e32 vcc, s28, v5
	v_cndmask_b32_e32 v9, v3, v8, vcc
.LBB48_18:                              ;   in Loop: Header=BB48_14 Depth=2
	s_or_b64 exec, exec, s[0:1]
	s_add_u32 s0, s4, s30
	s_addc_u32 s1, s5, s31
	v_mul_lo_u32 v3, v9, s28
	s_load_dword s0, s[0:1], 0x6c
	s_add_i32 s16, s16, -1
	s_add_i32 s25, s25, -1
	v_sub_u32_e32 v3, v7, v3
	s_cmp_lg_u32 s25, 0
	s_waitcnt lgkmcnt(0)
	v_mad_u64_u32 v[4:5], s[0:1], s0, v3, v[4:5]
	s_cbranch_scc0 .LBB48_20
; %bb.19:                               ;   in Loop: Header=BB48_14 Depth=2
	v_mov_b32_e32 v7, v9
	v_mov_b32_e32 v8, v10
	s_branch .LBB48_14
.LBB48_20:                              ;   in Loop: Header=BB48_3 Depth=1
	v_mov_b32_e32 v7, v9
	s_mov_b32 s0, s16
	v_mov_b32_e32 v8, v10
.LBB48_21:                              ;   in Loop: Header=BB48_3 Depth=1
	s_andn2_b64 vcc, exec, s[20:21]
	s_cbranch_vccnz .LBB48_57
; %bb.22:                               ;   in Loop: Header=BB48_3 Depth=1
	s_add_i32 s30, s0, -7
.LBB48_23:                              ;   Parent Loop BB48_3 Depth=1
                                        ; =>  This Inner Loop Header: Depth=2
	s_add_i32 s16, s30, 7
	s_lshl_b64 s[34:35], s[16:17], 2
	s_add_u32 s0, s42, s34
	s_addc_u32 s1, s43, s35
	s_load_dword s25, s[0:1], 0x8
                                        ; implicit-def: $vgpr9_vgpr10
	s_waitcnt lgkmcnt(0)
	s_ashr_i32 s0, s25, 31
	v_or_b32_e32 v3, s0, v8
	v_cmp_ne_u64_e32 vcc, 0, v[2:3]
	s_and_saveexec_b64 s[36:37], vcc
	s_xor_b64 s[36:37], exec, s[36:37]
	s_cbranch_execz .LBB48_25
; %bb.24:                               ;   in Loop: Header=BB48_23 Depth=2
	s_ashr_i32 s38, s0, 31
	s_add_u32 s40, s25, s38
	s_mov_b32 s39, s38
	s_addc_u32 s41, s0, s38
	s_xor_b64 s[40:41], s[40:41], s[38:39]
	v_cvt_f32_u32_e32 v3, s40
	v_cvt_f32_u32_e32 v5, s41
	s_sub_u32 s16, 0, s40
	s_subb_u32 s28, 0, s41
	v_mac_f32_e32 v3, 0x4f800000, v5
	v_rcp_f32_e32 v3, v3
	v_mul_f32_e32 v3, 0x5f7ffffc, v3
	v_mul_f32_e32 v5, 0x2f800000, v3
	v_trunc_f32_e32 v5, v5
	v_mac_f32_e32 v3, 0xcf800000, v5
	v_cvt_u32_f32_e32 v5, v5
	v_cvt_u32_f32_e32 v3, v3
	v_readfirstlane_b32 s31, v5
	v_readfirstlane_b32 s0, v3
	s_mul_i32 s1, s16, s31
	s_mul_hi_u32 s50, s16, s0
	s_mul_i32 s39, s28, s0
	s_add_i32 s1, s50, s1
	s_add_i32 s1, s1, s39
	s_mul_i32 s51, s16, s0
	s_mul_i32 s50, s0, s1
	s_mul_hi_u32 s52, s0, s51
	s_mul_hi_u32 s39, s0, s1
	s_add_u32 s50, s52, s50
	s_addc_u32 s39, 0, s39
	s_mul_hi_u32 s53, s31, s51
	s_mul_i32 s51, s31, s51
	s_add_u32 s50, s50, s51
	s_mul_hi_u32 s52, s31, s1
	s_addc_u32 s39, s39, s53
	s_addc_u32 s50, s52, 0
	s_mul_i32 s1, s31, s1
	s_add_u32 s1, s39, s1
	s_addc_u32 s39, 0, s50
	s_add_u32 s50, s0, s1
	s_cselect_b64 s[0:1], -1, 0
	s_cmp_lg_u64 s[0:1], 0
	s_addc_u32 s31, s31, s39
	s_mul_i32 s0, s16, s31
	s_mul_hi_u32 s1, s16, s50
	s_add_i32 s0, s1, s0
	s_mul_i32 s28, s28, s50
	s_add_i32 s0, s0, s28
	s_mul_i32 s16, s16, s50
	s_mul_hi_u32 s28, s31, s16
	s_mul_i32 s39, s31, s16
	s_mul_i32 s52, s50, s0
	s_mul_hi_u32 s16, s50, s16
	s_mul_hi_u32 s51, s50, s0
	s_add_u32 s16, s16, s52
	s_addc_u32 s51, 0, s51
	s_add_u32 s16, s16, s39
	s_mul_hi_u32 s1, s31, s0
	s_addc_u32 s16, s51, s28
	s_addc_u32 s1, s1, 0
	s_mul_i32 s0, s31, s0
	s_add_u32 s0, s16, s0
	s_addc_u32 s16, 0, s1
	s_add_u32 s28, s50, s0
	s_cselect_b64 s[0:1], -1, 0
	v_ashrrev_i32_e32 v3, 31, v8
	s_cmp_lg_u64 s[0:1], 0
	v_add_co_u32_e32 v5, vcc, v7, v3
	s_addc_u32 s16, s31, s16
	v_xor_b32_e32 v5, v5, v3
	v_addc_co_u32_e32 v10, vcc, v8, v3, vcc
	v_mad_u64_u32 v[8:9], s[0:1], v5, s16, 0
	v_mul_hi_u32 v11, v5, s28
	v_xor_b32_e32 v12, v10, v3
	v_xor_b32_e32 v3, s38, v3
	v_add_co_u32_e32 v13, vcc, v11, v8
	v_addc_co_u32_e32 v14, vcc, 0, v9, vcc
	v_mad_u64_u32 v[8:9], s[0:1], v12, s28, 0
	v_mad_u64_u32 v[10:11], s[0:1], v12, s16, 0
	v_add_co_u32_e32 v8, vcc, v13, v8
	v_addc_co_u32_e32 v8, vcc, v14, v9, vcc
	v_addc_co_u32_e32 v9, vcc, 0, v11, vcc
	v_add_co_u32_e32 v10, vcc, v8, v10
	v_addc_co_u32_e32 v11, vcc, 0, v9, vcc
	v_mul_lo_u32 v13, s41, v10
	v_mul_lo_u32 v14, s40, v11
	v_mad_u64_u32 v[8:9], s[0:1], s40, v10, 0
	v_add3_u32 v9, v9, v14, v13
	v_sub_u32_e32 v13, v12, v9
	v_mov_b32_e32 v14, s41
	v_sub_co_u32_e32 v5, vcc, v5, v8
	v_subb_co_u32_e64 v8, s[0:1], v13, v14, vcc
	v_subrev_co_u32_e64 v13, s[0:1], s40, v5
	v_subbrev_co_u32_e64 v8, s[0:1], 0, v8, s[0:1]
	v_cmp_le_u32_e64 s[0:1], s41, v8
	v_cndmask_b32_e64 v14, 0, -1, s[0:1]
	v_cmp_le_u32_e64 s[0:1], s40, v13
	v_cndmask_b32_e64 v13, 0, -1, s[0:1]
	v_cmp_eq_u32_e64 s[0:1], s41, v8
	v_cndmask_b32_e64 v8, v14, v13, s[0:1]
	v_add_co_u32_e64 v13, s[0:1], 2, v10
	v_subb_co_u32_e32 v9, vcc, v12, v9, vcc
	v_addc_co_u32_e64 v14, s[0:1], 0, v11, s[0:1]
	v_cmp_le_u32_e32 vcc, s41, v9
	v_add_co_u32_e64 v15, s[0:1], 1, v10
	v_cndmask_b32_e64 v12, 0, -1, vcc
	v_cmp_le_u32_e32 vcc, s40, v5
	v_addc_co_u32_e64 v16, s[0:1], 0, v11, s[0:1]
	v_cndmask_b32_e64 v5, 0, -1, vcc
	v_cmp_eq_u32_e32 vcc, s41, v9
	v_cmp_ne_u32_e64 s[0:1], 0, v8
	v_cndmask_b32_e32 v5, v12, v5, vcc
	v_cndmask_b32_e64 v8, v16, v14, s[0:1]
	v_cmp_ne_u32_e32 vcc, 0, v5
	v_cndmask_b32_e32 v5, v11, v8, vcc
	v_cndmask_b32_e64 v8, v15, v13, s[0:1]
	v_cndmask_b32_e32 v8, v10, v8, vcc
	v_xor_b32_e32 v8, v8, v3
	v_xor_b32_e32 v5, v5, v3
	v_sub_co_u32_e32 v9, vcc, v8, v3
	v_subb_co_u32_e32 v10, vcc, v5, v3, vcc
.LBB48_25:                              ;   in Loop: Header=BB48_23 Depth=2
	s_andn2_saveexec_b64 s[0:1], s[36:37]
	s_cbranch_execz .LBB48_27
; %bb.26:                               ;   in Loop: Header=BB48_23 Depth=2
	v_cvt_f32_u32_e32 v3, s25
	s_sub_i32 s16, 0, s25
	v_mov_b32_e32 v10, v2
	v_rcp_iflag_f32_e32 v3, v3
	v_mul_f32_e32 v3, 0x4f7ffffe, v3
	v_cvt_u32_f32_e32 v3, v3
	v_mul_lo_u32 v5, s16, v3
	v_mul_hi_u32 v5, v3, v5
	v_add_u32_e32 v3, v3, v5
	v_mul_hi_u32 v3, v7, v3
	v_mul_lo_u32 v5, v3, s25
	v_add_u32_e32 v8, 1, v3
	v_sub_u32_e32 v5, v7, v5
	v_subrev_u32_e32 v9, s25, v5
	v_cmp_le_u32_e32 vcc, s25, v5
	v_cndmask_b32_e32 v5, v5, v9, vcc
	v_cndmask_b32_e32 v3, v3, v8, vcc
	v_add_u32_e32 v8, 1, v3
	v_cmp_le_u32_e32 vcc, s25, v5
	v_cndmask_b32_e32 v9, v3, v8, vcc
.LBB48_27:                              ;   in Loop: Header=BB48_23 Depth=2
	s_or_b64 exec, exec, s[0:1]
	s_add_u32 s0, s4, s34
	s_addc_u32 s1, s5, s35
	s_add_i32 s16, s30, 6
	s_lshl_b64 s[34:35], s[16:17], 2
	s_add_u32 s36, s42, s34
	s_addc_u32 s37, s43, s35
	s_load_dword s50, s[36:37], 0x8
	s_load_dword s28, s[0:1], 0x6c
                                        ; implicit-def: $vgpr11_vgpr12
	s_waitcnt lgkmcnt(0)
	s_ashr_i32 s0, s50, 31
	v_or_b32_e32 v3, s0, v10
	v_cmp_ne_u64_e32 vcc, 0, v[2:3]
	s_and_saveexec_b64 s[36:37], vcc
	s_xor_b64 s[36:37], exec, s[36:37]
	s_cbranch_execz .LBB48_29
; %bb.28:                               ;   in Loop: Header=BB48_23 Depth=2
	s_ashr_i32 s38, s0, 31
	s_add_u32 s40, s50, s38
	s_mov_b32 s39, s38
	s_addc_u32 s41, s0, s38
	s_xor_b64 s[40:41], s[40:41], s[38:39]
	v_cvt_f32_u32_e32 v3, s40
	v_cvt_f32_u32_e32 v5, s41
	s_sub_u32 s16, 0, s40
	s_subb_u32 s31, 0, s41
	v_mac_f32_e32 v3, 0x4f800000, v5
	v_rcp_f32_e32 v3, v3
	v_mul_f32_e32 v3, 0x5f7ffffc, v3
	v_mul_f32_e32 v5, 0x2f800000, v3
	v_trunc_f32_e32 v5, v5
	v_mac_f32_e32 v3, 0xcf800000, v5
	v_cvt_u32_f32_e32 v5, v5
	v_cvt_u32_f32_e32 v3, v3
	v_readfirstlane_b32 s39, v5
	v_readfirstlane_b32 s0, v3
	s_mul_i32 s1, s16, s39
	s_mul_hi_u32 s52, s16, s0
	s_mul_i32 s51, s31, s0
	s_add_i32 s1, s52, s1
	s_add_i32 s1, s1, s51
	s_mul_i32 s53, s16, s0
	s_mul_i32 s52, s0, s1
	s_mul_hi_u32 s54, s0, s53
	s_mul_hi_u32 s51, s0, s1
	s_add_u32 s52, s54, s52
	s_addc_u32 s51, 0, s51
	s_mul_hi_u32 s55, s39, s53
	s_mul_i32 s53, s39, s53
	s_add_u32 s52, s52, s53
	s_mul_hi_u32 s54, s39, s1
	s_addc_u32 s51, s51, s55
	s_addc_u32 s52, s54, 0
	s_mul_i32 s1, s39, s1
	s_add_u32 s1, s51, s1
	s_addc_u32 s51, 0, s52
	s_add_u32 s52, s0, s1
	s_cselect_b64 s[0:1], -1, 0
	s_cmp_lg_u64 s[0:1], 0
	s_addc_u32 s39, s39, s51
	s_mul_i32 s0, s16, s39
	s_mul_hi_u32 s1, s16, s52
	s_add_i32 s0, s1, s0
	s_mul_i32 s31, s31, s52
	s_add_i32 s0, s0, s31
	s_mul_i32 s16, s16, s52
	s_mul_hi_u32 s31, s39, s16
	s_mul_i32 s51, s39, s16
	s_mul_i32 s54, s52, s0
	s_mul_hi_u32 s16, s52, s16
	s_mul_hi_u32 s53, s52, s0
	s_add_u32 s16, s16, s54
	s_addc_u32 s53, 0, s53
	s_add_u32 s16, s16, s51
	s_mul_hi_u32 s1, s39, s0
	s_addc_u32 s16, s53, s31
	s_addc_u32 s1, s1, 0
	s_mul_i32 s0, s39, s0
	s_add_u32 s0, s16, s0
	s_addc_u32 s16, 0, s1
	s_add_u32 s31, s52, s0
	s_cselect_b64 s[0:1], -1, 0
	v_ashrrev_i32_e32 v3, 31, v10
	s_cmp_lg_u64 s[0:1], 0
	v_add_co_u32_e32 v5, vcc, v9, v3
	s_addc_u32 s16, s39, s16
	v_xor_b32_e32 v5, v5, v3
	v_addc_co_u32_e32 v8, vcc, v10, v3, vcc
	v_mad_u64_u32 v[10:11], s[0:1], v5, s16, 0
	v_mul_hi_u32 v12, v5, s31
	v_xor_b32_e32 v8, v8, v3
	v_xor_b32_e32 v3, s38, v3
	v_add_co_u32_e32 v14, vcc, v12, v10
	v_addc_co_u32_e32 v15, vcc, 0, v11, vcc
	v_mad_u64_u32 v[10:11], s[0:1], v8, s31, 0
	v_mad_u64_u32 v[12:13], s[0:1], v8, s16, 0
	v_add_co_u32_e32 v10, vcc, v14, v10
	v_addc_co_u32_e32 v10, vcc, v15, v11, vcc
	v_addc_co_u32_e32 v11, vcc, 0, v13, vcc
	v_add_co_u32_e32 v12, vcc, v10, v12
	v_addc_co_u32_e32 v13, vcc, 0, v11, vcc
	v_mul_lo_u32 v14, s41, v12
	v_mul_lo_u32 v15, s40, v13
	v_mad_u64_u32 v[10:11], s[0:1], s40, v12, 0
	v_add3_u32 v11, v11, v15, v14
	v_sub_u32_e32 v14, v8, v11
	v_mov_b32_e32 v15, s41
	v_sub_co_u32_e32 v5, vcc, v5, v10
	v_subb_co_u32_e64 v10, s[0:1], v14, v15, vcc
	v_subrev_co_u32_e64 v14, s[0:1], s40, v5
	v_subbrev_co_u32_e64 v10, s[0:1], 0, v10, s[0:1]
	v_cmp_le_u32_e64 s[0:1], s41, v10
	v_cndmask_b32_e64 v15, 0, -1, s[0:1]
	v_cmp_le_u32_e64 s[0:1], s40, v14
	v_cndmask_b32_e64 v14, 0, -1, s[0:1]
	v_cmp_eq_u32_e64 s[0:1], s41, v10
	v_cndmask_b32_e64 v10, v15, v14, s[0:1]
	v_add_co_u32_e64 v14, s[0:1], 2, v12
	v_subb_co_u32_e32 v8, vcc, v8, v11, vcc
	v_addc_co_u32_e64 v15, s[0:1], 0, v13, s[0:1]
	v_cmp_le_u32_e32 vcc, s41, v8
	v_add_co_u32_e64 v16, s[0:1], 1, v12
	v_cndmask_b32_e64 v11, 0, -1, vcc
	v_cmp_le_u32_e32 vcc, s40, v5
	v_addc_co_u32_e64 v17, s[0:1], 0, v13, s[0:1]
	v_cndmask_b32_e64 v5, 0, -1, vcc
	v_cmp_eq_u32_e32 vcc, s41, v8
	v_cmp_ne_u32_e64 s[0:1], 0, v10
	v_cndmask_b32_e32 v5, v11, v5, vcc
	v_cmp_ne_u32_e32 vcc, 0, v5
	v_cndmask_b32_e64 v8, v16, v14, s[0:1]
	v_cndmask_b32_e64 v10, v17, v15, s[0:1]
	v_cndmask_b32_e32 v8, v12, v8, vcc
	v_cndmask_b32_e32 v5, v13, v10, vcc
	v_xor_b32_e32 v8, v8, v3
	v_xor_b32_e32 v5, v5, v3
	v_sub_co_u32_e32 v11, vcc, v8, v3
	v_subb_co_u32_e32 v12, vcc, v5, v3, vcc
.LBB48_29:                              ;   in Loop: Header=BB48_23 Depth=2
	s_andn2_saveexec_b64 s[0:1], s[36:37]
	s_cbranch_execz .LBB48_31
; %bb.30:                               ;   in Loop: Header=BB48_23 Depth=2
	v_cvt_f32_u32_e32 v3, s50
	s_sub_i32 s16, 0, s50
	v_mov_b32_e32 v12, v2
	v_rcp_iflag_f32_e32 v3, v3
	v_mul_f32_e32 v3, 0x4f7ffffe, v3
	v_cvt_u32_f32_e32 v3, v3
	v_mul_lo_u32 v5, s16, v3
	v_mul_hi_u32 v5, v3, v5
	v_add_u32_e32 v3, v3, v5
	v_mul_hi_u32 v3, v9, v3
	v_mul_lo_u32 v5, v3, s50
	v_add_u32_e32 v8, 1, v3
	v_sub_u32_e32 v5, v9, v5
	v_subrev_u32_e32 v10, s50, v5
	v_cmp_le_u32_e32 vcc, s50, v5
	v_cndmask_b32_e32 v5, v5, v10, vcc
	v_cndmask_b32_e32 v3, v3, v8, vcc
	v_add_u32_e32 v8, 1, v3
	v_cmp_le_u32_e32 vcc, s50, v5
	v_cndmask_b32_e32 v11, v3, v8, vcc
.LBB48_31:                              ;   in Loop: Header=BB48_23 Depth=2
	s_or_b64 exec, exec, s[0:1]
	s_add_u32 s0, s4, s34
	s_addc_u32 s1, s5, s35
	s_add_i32 s16, s30, 5
	s_lshl_b64 s[34:35], s[16:17], 2
	s_add_u32 s36, s42, s34
	s_addc_u32 s37, s43, s35
	s_load_dword s52, s[36:37], 0x8
	s_load_dword s51, s[0:1], 0x6c
                                        ; implicit-def: $vgpr13_vgpr14
	s_waitcnt lgkmcnt(0)
	s_ashr_i32 s0, s52, 31
	v_or_b32_e32 v3, s0, v12
	v_cmp_ne_u64_e32 vcc, 0, v[2:3]
	s_and_saveexec_b64 s[36:37], vcc
	s_xor_b64 s[36:37], exec, s[36:37]
	s_cbranch_execz .LBB48_33
; %bb.32:                               ;   in Loop: Header=BB48_23 Depth=2
	s_ashr_i32 s38, s0, 31
	s_add_u32 s40, s52, s38
	s_mov_b32 s39, s38
	s_addc_u32 s41, s0, s38
	s_xor_b64 s[40:41], s[40:41], s[38:39]
	v_cvt_f32_u32_e32 v3, s40
	v_cvt_f32_u32_e32 v5, s41
	s_sub_u32 s16, 0, s40
	s_subb_u32 s31, 0, s41
	v_mac_f32_e32 v3, 0x4f800000, v5
	v_rcp_f32_e32 v3, v3
	v_mul_f32_e32 v3, 0x5f7ffffc, v3
	v_mul_f32_e32 v5, 0x2f800000, v3
	v_trunc_f32_e32 v5, v5
	v_mac_f32_e32 v3, 0xcf800000, v5
	v_cvt_u32_f32_e32 v5, v5
	v_cvt_u32_f32_e32 v3, v3
	v_readfirstlane_b32 s39, v5
	v_readfirstlane_b32 s0, v3
	s_mul_i32 s1, s16, s39
	s_mul_hi_u32 s54, s16, s0
	s_mul_i32 s53, s31, s0
	s_add_i32 s1, s54, s1
	s_add_i32 s1, s1, s53
	s_mul_i32 s55, s16, s0
	s_mul_i32 s54, s0, s1
	s_mul_hi_u32 s56, s0, s55
	s_mul_hi_u32 s53, s0, s1
	s_add_u32 s54, s56, s54
	s_addc_u32 s53, 0, s53
	s_mul_hi_u32 s57, s39, s55
	s_mul_i32 s55, s39, s55
	s_add_u32 s54, s54, s55
	s_mul_hi_u32 s56, s39, s1
	s_addc_u32 s53, s53, s57
	s_addc_u32 s54, s56, 0
	s_mul_i32 s1, s39, s1
	s_add_u32 s1, s53, s1
	s_addc_u32 s53, 0, s54
	s_add_u32 s54, s0, s1
	s_cselect_b64 s[0:1], -1, 0
	s_cmp_lg_u64 s[0:1], 0
	s_addc_u32 s39, s39, s53
	s_mul_i32 s0, s16, s39
	s_mul_hi_u32 s1, s16, s54
	s_add_i32 s0, s1, s0
	s_mul_i32 s31, s31, s54
	s_add_i32 s0, s0, s31
	s_mul_i32 s16, s16, s54
	s_mul_hi_u32 s31, s39, s16
	s_mul_i32 s53, s39, s16
	s_mul_i32 s56, s54, s0
	s_mul_hi_u32 s16, s54, s16
	s_mul_hi_u32 s55, s54, s0
	s_add_u32 s16, s16, s56
	s_addc_u32 s55, 0, s55
	s_add_u32 s16, s16, s53
	s_mul_hi_u32 s1, s39, s0
	s_addc_u32 s16, s55, s31
	s_addc_u32 s1, s1, 0
	s_mul_i32 s0, s39, s0
	s_add_u32 s0, s16, s0
	s_addc_u32 s16, 0, s1
	s_add_u32 s31, s54, s0
	s_cselect_b64 s[0:1], -1, 0
	v_ashrrev_i32_e32 v3, 31, v12
	s_cmp_lg_u64 s[0:1], 0
	v_add_co_u32_e32 v5, vcc, v11, v3
	s_addc_u32 s16, s39, s16
	v_xor_b32_e32 v5, v5, v3
	v_addc_co_u32_e32 v8, vcc, v12, v3, vcc
	v_mad_u64_u32 v[12:13], s[0:1], v5, s16, 0
	v_mul_hi_u32 v10, v5, s31
	v_xor_b32_e32 v8, v8, v3
	v_mad_u64_u32 v[14:15], s[0:1], v8, s16, 0
	v_add_co_u32_e32 v10, vcc, v10, v12
	v_addc_co_u32_e32 v16, vcc, 0, v13, vcc
	v_mad_u64_u32 v[12:13], s[0:1], v8, s31, 0
	v_xor_b32_e32 v3, s38, v3
	v_add_co_u32_e32 v10, vcc, v10, v12
	v_addc_co_u32_e32 v10, vcc, v16, v13, vcc
	v_addc_co_u32_e32 v12, vcc, 0, v15, vcc
	v_add_co_u32_e32 v10, vcc, v10, v14
	v_addc_co_u32_e32 v14, vcc, 0, v12, vcc
	v_mul_lo_u32 v15, s41, v10
	v_mul_lo_u32 v16, s40, v14
	v_mad_u64_u32 v[12:13], s[0:1], s40, v10, 0
	v_add3_u32 v13, v13, v16, v15
	v_sub_u32_e32 v15, v8, v13
	v_mov_b32_e32 v16, s41
	v_sub_co_u32_e32 v5, vcc, v5, v12
	v_subb_co_u32_e64 v12, s[0:1], v15, v16, vcc
	v_subrev_co_u32_e64 v15, s[0:1], s40, v5
	v_subbrev_co_u32_e64 v12, s[0:1], 0, v12, s[0:1]
	v_cmp_le_u32_e64 s[0:1], s41, v12
	v_cndmask_b32_e64 v16, 0, -1, s[0:1]
	v_cmp_le_u32_e64 s[0:1], s40, v15
	v_cndmask_b32_e64 v15, 0, -1, s[0:1]
	v_cmp_eq_u32_e64 s[0:1], s41, v12
	v_cndmask_b32_e64 v12, v16, v15, s[0:1]
	v_add_co_u32_e64 v15, s[0:1], 2, v10
	v_subb_co_u32_e32 v8, vcc, v8, v13, vcc
	v_addc_co_u32_e64 v16, s[0:1], 0, v14, s[0:1]
	v_cmp_le_u32_e32 vcc, s41, v8
	v_add_co_u32_e64 v17, s[0:1], 1, v10
	v_cndmask_b32_e64 v13, 0, -1, vcc
	v_cmp_le_u32_e32 vcc, s40, v5
	v_addc_co_u32_e64 v18, s[0:1], 0, v14, s[0:1]
	v_cndmask_b32_e64 v5, 0, -1, vcc
	v_cmp_eq_u32_e32 vcc, s41, v8
	v_cmp_ne_u32_e64 s[0:1], 0, v12
	v_cndmask_b32_e32 v5, v13, v5, vcc
	v_cmp_ne_u32_e32 vcc, 0, v5
	v_cndmask_b32_e64 v8, v17, v15, s[0:1]
	v_cndmask_b32_e64 v12, v18, v16, s[0:1]
	v_cndmask_b32_e32 v8, v10, v8, vcc
	v_cndmask_b32_e32 v5, v14, v12, vcc
	v_xor_b32_e32 v8, v8, v3
	v_xor_b32_e32 v5, v5, v3
	v_sub_co_u32_e32 v13, vcc, v8, v3
	v_subb_co_u32_e32 v14, vcc, v5, v3, vcc
.LBB48_33:                              ;   in Loop: Header=BB48_23 Depth=2
	s_andn2_saveexec_b64 s[0:1], s[36:37]
	s_cbranch_execz .LBB48_35
; %bb.34:                               ;   in Loop: Header=BB48_23 Depth=2
	v_cvt_f32_u32_e32 v3, s52
	s_sub_i32 s16, 0, s52
	v_mov_b32_e32 v14, v2
	v_rcp_iflag_f32_e32 v3, v3
	v_mul_f32_e32 v3, 0x4f7ffffe, v3
	v_cvt_u32_f32_e32 v3, v3
	v_mul_lo_u32 v5, s16, v3
	v_mul_hi_u32 v5, v3, v5
	v_add_u32_e32 v3, v3, v5
	v_mul_hi_u32 v3, v11, v3
	v_mul_lo_u32 v5, v3, s52
	v_add_u32_e32 v8, 1, v3
	v_sub_u32_e32 v5, v11, v5
	v_subrev_u32_e32 v10, s52, v5
	v_cmp_le_u32_e32 vcc, s52, v5
	v_cndmask_b32_e32 v5, v5, v10, vcc
	v_cndmask_b32_e32 v3, v3, v8, vcc
	v_add_u32_e32 v8, 1, v3
	v_cmp_le_u32_e32 vcc, s52, v5
	v_cndmask_b32_e32 v13, v3, v8, vcc
.LBB48_35:                              ;   in Loop: Header=BB48_23 Depth=2
	s_or_b64 exec, exec, s[0:1]
	s_add_u32 s0, s4, s34
	s_addc_u32 s1, s5, s35
	s_add_i32 s16, s30, 4
	s_lshl_b64 s[34:35], s[16:17], 2
	s_add_u32 s36, s42, s34
	s_addc_u32 s37, s43, s35
	s_load_dword s54, s[36:37], 0x8
	s_load_dword s53, s[0:1], 0x6c
                                        ; implicit-def: $vgpr15_vgpr16
	s_waitcnt lgkmcnt(0)
	s_ashr_i32 s0, s54, 31
	v_or_b32_e32 v3, s0, v14
	v_cmp_ne_u64_e32 vcc, 0, v[2:3]
	s_and_saveexec_b64 s[36:37], vcc
	s_xor_b64 s[36:37], exec, s[36:37]
	s_cbranch_execz .LBB48_37
; %bb.36:                               ;   in Loop: Header=BB48_23 Depth=2
	s_ashr_i32 s38, s0, 31
	s_add_u32 s40, s54, s38
	s_mov_b32 s39, s38
	s_addc_u32 s41, s0, s38
	s_xor_b64 s[40:41], s[40:41], s[38:39]
	v_cvt_f32_u32_e32 v3, s40
	v_cvt_f32_u32_e32 v5, s41
	s_sub_u32 s16, 0, s40
	s_subb_u32 s31, 0, s41
	v_mac_f32_e32 v3, 0x4f800000, v5
	v_rcp_f32_e32 v3, v3
	v_mul_f32_e32 v3, 0x5f7ffffc, v3
	v_mul_f32_e32 v5, 0x2f800000, v3
	v_trunc_f32_e32 v5, v5
	v_mac_f32_e32 v3, 0xcf800000, v5
	v_cvt_u32_f32_e32 v5, v5
	v_cvt_u32_f32_e32 v3, v3
	v_readfirstlane_b32 s39, v5
	v_readfirstlane_b32 s0, v3
	s_mul_i32 s1, s16, s39
	s_mul_hi_u32 s56, s16, s0
	s_mul_i32 s55, s31, s0
	s_add_i32 s1, s56, s1
	s_add_i32 s1, s1, s55
	s_mul_i32 s57, s16, s0
	s_mul_i32 s56, s0, s1
	s_mul_hi_u32 s58, s0, s57
	s_mul_hi_u32 s55, s0, s1
	s_add_u32 s56, s58, s56
	s_addc_u32 s55, 0, s55
	s_mul_hi_u32 s59, s39, s57
	s_mul_i32 s57, s39, s57
	s_add_u32 s56, s56, s57
	s_mul_hi_u32 s58, s39, s1
	s_addc_u32 s55, s55, s59
	s_addc_u32 s56, s58, 0
	s_mul_i32 s1, s39, s1
	s_add_u32 s1, s55, s1
	s_addc_u32 s55, 0, s56
	s_add_u32 s56, s0, s1
	s_cselect_b64 s[0:1], -1, 0
	s_cmp_lg_u64 s[0:1], 0
	s_addc_u32 s39, s39, s55
	s_mul_i32 s0, s16, s39
	s_mul_hi_u32 s1, s16, s56
	s_add_i32 s0, s1, s0
	s_mul_i32 s31, s31, s56
	s_add_i32 s0, s0, s31
	s_mul_i32 s16, s16, s56
	s_mul_hi_u32 s31, s39, s16
	s_mul_i32 s55, s39, s16
	s_mul_i32 s58, s56, s0
	s_mul_hi_u32 s16, s56, s16
	s_mul_hi_u32 s57, s56, s0
	s_add_u32 s16, s16, s58
	s_addc_u32 s57, 0, s57
	s_add_u32 s16, s16, s55
	s_mul_hi_u32 s1, s39, s0
	s_addc_u32 s16, s57, s31
	s_addc_u32 s1, s1, 0
	s_mul_i32 s0, s39, s0
	s_add_u32 s0, s16, s0
	s_addc_u32 s16, 0, s1
	s_add_u32 s31, s56, s0
	s_cselect_b64 s[0:1], -1, 0
	v_ashrrev_i32_e32 v3, 31, v14
	s_cmp_lg_u64 s[0:1], 0
	v_add_co_u32_e32 v5, vcc, v13, v3
	s_addc_u32 s16, s39, s16
	v_xor_b32_e32 v5, v5, v3
	v_addc_co_u32_e32 v8, vcc, v14, v3, vcc
	v_mad_u64_u32 v[14:15], s[0:1], v5, s16, 0
	v_mul_hi_u32 v10, v5, s31
	v_xor_b32_e32 v8, v8, v3
	v_mad_u64_u32 v[16:17], s[0:1], v8, s16, 0
	v_add_co_u32_e32 v10, vcc, v10, v14
	v_addc_co_u32_e32 v12, vcc, 0, v15, vcc
	v_mad_u64_u32 v[14:15], s[0:1], v8, s31, 0
	v_xor_b32_e32 v3, s38, v3
	v_add_co_u32_e32 v10, vcc, v10, v14
	v_addc_co_u32_e32 v10, vcc, v12, v15, vcc
	v_addc_co_u32_e32 v12, vcc, 0, v17, vcc
	v_add_co_u32_e32 v10, vcc, v10, v16
	v_addc_co_u32_e32 v12, vcc, 0, v12, vcc
	v_mul_lo_u32 v16, s41, v10
	v_mul_lo_u32 v17, s40, v12
	v_mad_u64_u32 v[14:15], s[0:1], s40, v10, 0
	v_add3_u32 v15, v15, v17, v16
	v_sub_u32_e32 v16, v8, v15
	v_mov_b32_e32 v17, s41
	v_sub_co_u32_e32 v5, vcc, v5, v14
	v_subb_co_u32_e64 v14, s[0:1], v16, v17, vcc
	v_subrev_co_u32_e64 v16, s[0:1], s40, v5
	v_subbrev_co_u32_e64 v14, s[0:1], 0, v14, s[0:1]
	v_cmp_le_u32_e64 s[0:1], s41, v14
	v_cndmask_b32_e64 v17, 0, -1, s[0:1]
	v_cmp_le_u32_e64 s[0:1], s40, v16
	v_cndmask_b32_e64 v16, 0, -1, s[0:1]
	v_cmp_eq_u32_e64 s[0:1], s41, v14
	v_cndmask_b32_e64 v14, v17, v16, s[0:1]
	v_add_co_u32_e64 v16, s[0:1], 2, v10
	v_subb_co_u32_e32 v8, vcc, v8, v15, vcc
	v_addc_co_u32_e64 v17, s[0:1], 0, v12, s[0:1]
	v_cmp_le_u32_e32 vcc, s41, v8
	v_add_co_u32_e64 v18, s[0:1], 1, v10
	v_cndmask_b32_e64 v15, 0, -1, vcc
	v_cmp_le_u32_e32 vcc, s40, v5
	v_addc_co_u32_e64 v19, s[0:1], 0, v12, s[0:1]
	v_cndmask_b32_e64 v5, 0, -1, vcc
	v_cmp_eq_u32_e32 vcc, s41, v8
	v_cmp_ne_u32_e64 s[0:1], 0, v14
	v_cndmask_b32_e32 v5, v15, v5, vcc
	v_cmp_ne_u32_e32 vcc, 0, v5
	v_cndmask_b32_e64 v8, v18, v16, s[0:1]
	v_cndmask_b32_e64 v14, v19, v17, s[0:1]
	v_cndmask_b32_e32 v8, v10, v8, vcc
	v_cndmask_b32_e32 v5, v12, v14, vcc
	v_xor_b32_e32 v8, v8, v3
	v_xor_b32_e32 v5, v5, v3
	v_sub_co_u32_e32 v15, vcc, v8, v3
	v_subb_co_u32_e32 v16, vcc, v5, v3, vcc
.LBB48_37:                              ;   in Loop: Header=BB48_23 Depth=2
	s_andn2_saveexec_b64 s[0:1], s[36:37]
	s_cbranch_execz .LBB48_39
; %bb.38:                               ;   in Loop: Header=BB48_23 Depth=2
	v_cvt_f32_u32_e32 v3, s54
	s_sub_i32 s16, 0, s54
	v_mov_b32_e32 v16, v2
	v_rcp_iflag_f32_e32 v3, v3
	v_mul_f32_e32 v3, 0x4f7ffffe, v3
	v_cvt_u32_f32_e32 v3, v3
	v_mul_lo_u32 v5, s16, v3
	v_mul_hi_u32 v5, v3, v5
	v_add_u32_e32 v3, v3, v5
	v_mul_hi_u32 v3, v13, v3
	v_mul_lo_u32 v5, v3, s54
	v_add_u32_e32 v8, 1, v3
	v_sub_u32_e32 v5, v13, v5
	v_subrev_u32_e32 v10, s54, v5
	v_cmp_le_u32_e32 vcc, s54, v5
	v_cndmask_b32_e32 v5, v5, v10, vcc
	v_cndmask_b32_e32 v3, v3, v8, vcc
	v_add_u32_e32 v8, 1, v3
	v_cmp_le_u32_e32 vcc, s54, v5
	v_cndmask_b32_e32 v15, v3, v8, vcc
.LBB48_39:                              ;   in Loop: Header=BB48_23 Depth=2
	s_or_b64 exec, exec, s[0:1]
	s_add_u32 s0, s4, s34
	s_addc_u32 s1, s5, s35
	s_add_i32 s16, s30, 3
	s_lshl_b64 s[34:35], s[16:17], 2
	s_add_u32 s36, s42, s34
	s_addc_u32 s37, s43, s35
	s_load_dword s55, s[36:37], 0x8
	s_load_dword s56, s[0:1], 0x6c
                                        ; implicit-def: $vgpr17_vgpr18
	s_waitcnt lgkmcnt(0)
	s_ashr_i32 s0, s55, 31
	v_or_b32_e32 v3, s0, v16
	v_cmp_ne_u64_e32 vcc, 0, v[2:3]
	s_and_saveexec_b64 s[36:37], vcc
	s_xor_b64 s[36:37], exec, s[36:37]
	s_cbranch_execz .LBB48_41
; %bb.40:                               ;   in Loop: Header=BB48_23 Depth=2
	s_ashr_i32 s38, s0, 31
	s_add_u32 s40, s55, s38
	s_mov_b32 s39, s38
	s_addc_u32 s41, s0, s38
	s_xor_b64 s[40:41], s[40:41], s[38:39]
	v_cvt_f32_u32_e32 v3, s40
	v_cvt_f32_u32_e32 v5, s41
	s_sub_u32 s16, 0, s40
	s_subb_u32 s31, 0, s41
	v_mac_f32_e32 v3, 0x4f800000, v5
	v_rcp_f32_e32 v3, v3
	v_mul_f32_e32 v3, 0x5f7ffffc, v3
	v_mul_f32_e32 v5, 0x2f800000, v3
	v_trunc_f32_e32 v5, v5
	v_mac_f32_e32 v3, 0xcf800000, v5
	v_cvt_u32_f32_e32 v5, v5
	v_cvt_u32_f32_e32 v3, v3
	v_readfirstlane_b32 s39, v5
	v_readfirstlane_b32 s0, v3
	s_mul_i32 s1, s16, s39
	s_mul_hi_u32 s58, s16, s0
	s_mul_i32 s57, s31, s0
	s_add_i32 s1, s58, s1
	s_add_i32 s1, s1, s57
	s_mul_i32 s59, s16, s0
	s_mul_i32 s58, s0, s1
	s_mul_hi_u32 s60, s0, s59
	s_mul_hi_u32 s57, s0, s1
	s_add_u32 s58, s60, s58
	s_addc_u32 s57, 0, s57
	s_mul_hi_u32 s61, s39, s59
	s_mul_i32 s59, s39, s59
	s_add_u32 s58, s58, s59
	s_mul_hi_u32 s60, s39, s1
	s_addc_u32 s57, s57, s61
	s_addc_u32 s58, s60, 0
	s_mul_i32 s1, s39, s1
	s_add_u32 s1, s57, s1
	s_addc_u32 s57, 0, s58
	s_add_u32 s58, s0, s1
	s_cselect_b64 s[0:1], -1, 0
	s_cmp_lg_u64 s[0:1], 0
	s_addc_u32 s39, s39, s57
	s_mul_i32 s0, s16, s39
	s_mul_hi_u32 s1, s16, s58
	s_add_i32 s0, s1, s0
	s_mul_i32 s31, s31, s58
	s_add_i32 s0, s0, s31
	s_mul_i32 s16, s16, s58
	s_mul_hi_u32 s31, s39, s16
	s_mul_i32 s57, s39, s16
	s_mul_i32 s60, s58, s0
	s_mul_hi_u32 s16, s58, s16
	s_mul_hi_u32 s59, s58, s0
	s_add_u32 s16, s16, s60
	s_addc_u32 s59, 0, s59
	s_add_u32 s16, s16, s57
	s_mul_hi_u32 s1, s39, s0
	s_addc_u32 s16, s59, s31
	s_addc_u32 s1, s1, 0
	s_mul_i32 s0, s39, s0
	s_add_u32 s0, s16, s0
	s_addc_u32 s16, 0, s1
	s_add_u32 s31, s58, s0
	s_cselect_b64 s[0:1], -1, 0
	v_ashrrev_i32_e32 v3, 31, v16
	s_cmp_lg_u64 s[0:1], 0
	v_add_co_u32_e32 v5, vcc, v15, v3
	s_addc_u32 s16, s39, s16
	v_xor_b32_e32 v5, v5, v3
	v_addc_co_u32_e32 v8, vcc, v16, v3, vcc
	v_mad_u64_u32 v[16:17], s[0:1], v5, s16, 0
	v_mul_hi_u32 v10, v5, s31
	v_xor_b32_e32 v8, v8, v3
	v_mad_u64_u32 v[18:19], s[0:1], v8, s16, 0
	v_add_co_u32_e32 v10, vcc, v10, v16
	v_addc_co_u32_e32 v12, vcc, 0, v17, vcc
	v_mad_u64_u32 v[16:17], s[0:1], v8, s31, 0
	v_xor_b32_e32 v3, s38, v3
	v_add_co_u32_e32 v10, vcc, v10, v16
	v_addc_co_u32_e32 v10, vcc, v12, v17, vcc
	v_addc_co_u32_e32 v12, vcc, 0, v19, vcc
	v_add_co_u32_e32 v10, vcc, v10, v18
	v_addc_co_u32_e32 v12, vcc, 0, v12, vcc
	v_mul_lo_u32 v14, s41, v10
	v_mul_lo_u32 v18, s40, v12
	v_mad_u64_u32 v[16:17], s[0:1], s40, v10, 0
	v_add3_u32 v14, v17, v18, v14
	v_sub_u32_e32 v17, v8, v14
	v_mov_b32_e32 v18, s41
	v_sub_co_u32_e32 v5, vcc, v5, v16
	v_subb_co_u32_e64 v16, s[0:1], v17, v18, vcc
	v_subrev_co_u32_e64 v17, s[0:1], s40, v5
	v_subbrev_co_u32_e64 v16, s[0:1], 0, v16, s[0:1]
	v_cmp_le_u32_e64 s[0:1], s41, v16
	v_cndmask_b32_e64 v18, 0, -1, s[0:1]
	v_cmp_le_u32_e64 s[0:1], s40, v17
	v_cndmask_b32_e64 v17, 0, -1, s[0:1]
	v_cmp_eq_u32_e64 s[0:1], s41, v16
	v_cndmask_b32_e64 v16, v18, v17, s[0:1]
	v_add_co_u32_e64 v17, s[0:1], 2, v10
	v_subb_co_u32_e32 v8, vcc, v8, v14, vcc
	v_addc_co_u32_e64 v18, s[0:1], 0, v12, s[0:1]
	v_cmp_le_u32_e32 vcc, s41, v8
	v_add_co_u32_e64 v19, s[0:1], 1, v10
	v_cndmask_b32_e64 v14, 0, -1, vcc
	v_cmp_le_u32_e32 vcc, s40, v5
	v_addc_co_u32_e64 v20, s[0:1], 0, v12, s[0:1]
	v_cndmask_b32_e64 v5, 0, -1, vcc
	v_cmp_eq_u32_e32 vcc, s41, v8
	v_cmp_ne_u32_e64 s[0:1], 0, v16
	v_cndmask_b32_e32 v5, v14, v5, vcc
	v_cmp_ne_u32_e32 vcc, 0, v5
	v_cndmask_b32_e64 v8, v19, v17, s[0:1]
	v_cndmask_b32_e64 v16, v20, v18, s[0:1]
	v_cndmask_b32_e32 v8, v10, v8, vcc
	v_cndmask_b32_e32 v5, v12, v16, vcc
	v_xor_b32_e32 v8, v8, v3
	v_xor_b32_e32 v5, v5, v3
	v_sub_co_u32_e32 v17, vcc, v8, v3
	v_subb_co_u32_e32 v18, vcc, v5, v3, vcc
.LBB48_41:                              ;   in Loop: Header=BB48_23 Depth=2
	s_andn2_saveexec_b64 s[0:1], s[36:37]
	s_cbranch_execz .LBB48_43
; %bb.42:                               ;   in Loop: Header=BB48_23 Depth=2
	v_cvt_f32_u32_e32 v3, s55
	s_sub_i32 s16, 0, s55
	v_mov_b32_e32 v18, v2
	v_rcp_iflag_f32_e32 v3, v3
	v_mul_f32_e32 v3, 0x4f7ffffe, v3
	v_cvt_u32_f32_e32 v3, v3
	v_mul_lo_u32 v5, s16, v3
	v_mul_hi_u32 v5, v3, v5
	v_add_u32_e32 v3, v3, v5
	v_mul_hi_u32 v3, v15, v3
	v_mul_lo_u32 v5, v3, s55
	v_add_u32_e32 v8, 1, v3
	v_sub_u32_e32 v5, v15, v5
	v_subrev_u32_e32 v10, s55, v5
	v_cmp_le_u32_e32 vcc, s55, v5
	v_cndmask_b32_e32 v5, v5, v10, vcc
	v_cndmask_b32_e32 v3, v3, v8, vcc
	v_add_u32_e32 v8, 1, v3
	v_cmp_le_u32_e32 vcc, s55, v5
	v_cndmask_b32_e32 v17, v3, v8, vcc
.LBB48_43:                              ;   in Loop: Header=BB48_23 Depth=2
	s_or_b64 exec, exec, s[0:1]
	s_add_u32 s0, s4, s34
	s_addc_u32 s1, s5, s35
	s_add_i32 s16, s30, 2
	s_lshl_b64 s[34:35], s[16:17], 2
	s_add_u32 s36, s42, s34
	s_addc_u32 s37, s43, s35
	s_load_dword s58, s[36:37], 0x8
	s_load_dword s57, s[0:1], 0x6c
                                        ; implicit-def: $vgpr19_vgpr20
	s_waitcnt lgkmcnt(0)
	s_ashr_i32 s0, s58, 31
	v_or_b32_e32 v3, s0, v18
	v_cmp_ne_u64_e32 vcc, 0, v[2:3]
	s_and_saveexec_b64 s[36:37], vcc
	s_xor_b64 s[36:37], exec, s[36:37]
	s_cbranch_execz .LBB48_45
; %bb.44:                               ;   in Loop: Header=BB48_23 Depth=2
	s_ashr_i32 s38, s0, 31
	s_add_u32 s40, s58, s38
	s_mov_b32 s39, s38
	s_addc_u32 s41, s0, s38
	s_xor_b64 s[40:41], s[40:41], s[38:39]
	v_cvt_f32_u32_e32 v3, s40
	v_cvt_f32_u32_e32 v5, s41
	s_sub_u32 s16, 0, s40
	s_subb_u32 s31, 0, s41
	v_mac_f32_e32 v3, 0x4f800000, v5
	v_rcp_f32_e32 v3, v3
	v_mul_f32_e32 v3, 0x5f7ffffc, v3
	v_mul_f32_e32 v5, 0x2f800000, v3
	v_trunc_f32_e32 v5, v5
	v_mac_f32_e32 v3, 0xcf800000, v5
	v_cvt_u32_f32_e32 v5, v5
	v_cvt_u32_f32_e32 v3, v3
	v_readfirstlane_b32 s39, v5
	v_readfirstlane_b32 s0, v3
	s_mul_i32 s1, s16, s39
	s_mul_hi_u32 s60, s16, s0
	s_mul_i32 s59, s31, s0
	s_add_i32 s1, s60, s1
	s_add_i32 s1, s1, s59
	s_mul_i32 s61, s16, s0
	s_mul_i32 s60, s0, s1
	s_mul_hi_u32 s62, s0, s61
	s_mul_hi_u32 s59, s0, s1
	s_add_u32 s60, s62, s60
	s_addc_u32 s59, 0, s59
	s_mul_hi_u32 s63, s39, s61
	s_mul_i32 s61, s39, s61
	s_add_u32 s60, s60, s61
	s_mul_hi_u32 s62, s39, s1
	s_addc_u32 s59, s59, s63
	s_addc_u32 s60, s62, 0
	s_mul_i32 s1, s39, s1
	s_add_u32 s1, s59, s1
	s_addc_u32 s59, 0, s60
	s_add_u32 s60, s0, s1
	s_cselect_b64 s[0:1], -1, 0
	s_cmp_lg_u64 s[0:1], 0
	s_addc_u32 s39, s39, s59
	s_mul_i32 s0, s16, s39
	s_mul_hi_u32 s1, s16, s60
	s_add_i32 s0, s1, s0
	s_mul_i32 s31, s31, s60
	s_add_i32 s0, s0, s31
	s_mul_i32 s16, s16, s60
	s_mul_hi_u32 s31, s39, s16
	s_mul_i32 s59, s39, s16
	s_mul_i32 s62, s60, s0
	s_mul_hi_u32 s16, s60, s16
	s_mul_hi_u32 s61, s60, s0
	s_add_u32 s16, s16, s62
	s_addc_u32 s61, 0, s61
	s_add_u32 s16, s16, s59
	s_mul_hi_u32 s1, s39, s0
	s_addc_u32 s16, s61, s31
	s_addc_u32 s1, s1, 0
	s_mul_i32 s0, s39, s0
	s_add_u32 s0, s16, s0
	s_addc_u32 s16, 0, s1
	s_add_u32 s31, s60, s0
	s_cselect_b64 s[0:1], -1, 0
	v_ashrrev_i32_e32 v3, 31, v18
	s_cmp_lg_u64 s[0:1], 0
	v_add_co_u32_e32 v5, vcc, v17, v3
	s_addc_u32 s16, s39, s16
	v_xor_b32_e32 v5, v5, v3
	v_addc_co_u32_e32 v8, vcc, v18, v3, vcc
	v_mad_u64_u32 v[18:19], s[0:1], v5, s16, 0
	v_mul_hi_u32 v10, v5, s31
	v_xor_b32_e32 v8, v8, v3
	v_mad_u64_u32 v[20:21], s[0:1], v8, s16, 0
	v_add_co_u32_e32 v10, vcc, v10, v18
	v_addc_co_u32_e32 v12, vcc, 0, v19, vcc
	v_mad_u64_u32 v[18:19], s[0:1], v8, s31, 0
	v_xor_b32_e32 v3, s38, v3
	v_add_co_u32_e32 v10, vcc, v10, v18
	v_addc_co_u32_e32 v10, vcc, v12, v19, vcc
	v_addc_co_u32_e32 v12, vcc, 0, v21, vcc
	v_add_co_u32_e32 v10, vcc, v10, v20
	v_addc_co_u32_e32 v12, vcc, 0, v12, vcc
	v_mul_lo_u32 v14, s41, v10
	v_mul_lo_u32 v16, s40, v12
	v_mad_u64_u32 v[18:19], s[0:1], s40, v10, 0
	v_add3_u32 v14, v19, v16, v14
	v_sub_u32_e32 v16, v8, v14
	v_mov_b32_e32 v19, s41
	v_sub_co_u32_e32 v5, vcc, v5, v18
	v_subb_co_u32_e64 v16, s[0:1], v16, v19, vcc
	v_subrev_co_u32_e64 v18, s[0:1], s40, v5
	v_subbrev_co_u32_e64 v16, s[0:1], 0, v16, s[0:1]
	v_cmp_le_u32_e64 s[0:1], s41, v16
	v_cndmask_b32_e64 v19, 0, -1, s[0:1]
	v_cmp_le_u32_e64 s[0:1], s40, v18
	v_cndmask_b32_e64 v18, 0, -1, s[0:1]
	v_cmp_eq_u32_e64 s[0:1], s41, v16
	v_cndmask_b32_e64 v16, v19, v18, s[0:1]
	v_add_co_u32_e64 v18, s[0:1], 2, v10
	v_subb_co_u32_e32 v8, vcc, v8, v14, vcc
	v_addc_co_u32_e64 v19, s[0:1], 0, v12, s[0:1]
	v_cmp_le_u32_e32 vcc, s41, v8
	v_add_co_u32_e64 v20, s[0:1], 1, v10
	v_cndmask_b32_e64 v14, 0, -1, vcc
	v_cmp_le_u32_e32 vcc, s40, v5
	v_addc_co_u32_e64 v21, s[0:1], 0, v12, s[0:1]
	v_cndmask_b32_e64 v5, 0, -1, vcc
	v_cmp_eq_u32_e32 vcc, s41, v8
	v_cmp_ne_u32_e64 s[0:1], 0, v16
	v_cndmask_b32_e32 v5, v14, v5, vcc
	v_cmp_ne_u32_e32 vcc, 0, v5
	v_cndmask_b32_e64 v8, v20, v18, s[0:1]
	v_cndmask_b32_e64 v16, v21, v19, s[0:1]
	v_cndmask_b32_e32 v8, v10, v8, vcc
	v_cndmask_b32_e32 v5, v12, v16, vcc
	v_xor_b32_e32 v8, v8, v3
	v_xor_b32_e32 v5, v5, v3
	v_sub_co_u32_e32 v19, vcc, v8, v3
	v_subb_co_u32_e32 v20, vcc, v5, v3, vcc
.LBB48_45:                              ;   in Loop: Header=BB48_23 Depth=2
	s_andn2_saveexec_b64 s[0:1], s[36:37]
	s_cbranch_execz .LBB48_47
; %bb.46:                               ;   in Loop: Header=BB48_23 Depth=2
	v_cvt_f32_u32_e32 v3, s58
	s_sub_i32 s16, 0, s58
	v_mov_b32_e32 v20, v2
	v_rcp_iflag_f32_e32 v3, v3
	v_mul_f32_e32 v3, 0x4f7ffffe, v3
	v_cvt_u32_f32_e32 v3, v3
	v_mul_lo_u32 v5, s16, v3
	v_mul_hi_u32 v5, v3, v5
	v_add_u32_e32 v3, v3, v5
	v_mul_hi_u32 v3, v17, v3
	v_mul_lo_u32 v5, v3, s58
	v_add_u32_e32 v8, 1, v3
	v_sub_u32_e32 v5, v17, v5
	v_subrev_u32_e32 v10, s58, v5
	v_cmp_le_u32_e32 vcc, s58, v5
	v_cndmask_b32_e32 v5, v5, v10, vcc
	v_cndmask_b32_e32 v3, v3, v8, vcc
	v_add_u32_e32 v8, 1, v3
	v_cmp_le_u32_e32 vcc, s58, v5
	v_cndmask_b32_e32 v19, v3, v8, vcc
.LBB48_47:                              ;   in Loop: Header=BB48_23 Depth=2
	s_or_b64 exec, exec, s[0:1]
	s_add_u32 s0, s4, s34
	s_addc_u32 s1, s5, s35
	s_add_i32 s16, s30, 1
	s_lshl_b64 s[34:35], s[16:17], 2
	s_add_u32 s36, s42, s34
	s_addc_u32 s37, s43, s35
	s_load_dword s59, s[36:37], 0x8
	s_load_dword s16, s[0:1], 0x6c
                                        ; implicit-def: $vgpr21_vgpr22
	s_waitcnt lgkmcnt(0)
	s_ashr_i32 s0, s59, 31
	v_or_b32_e32 v3, s0, v20
	v_cmp_ne_u64_e32 vcc, 0, v[2:3]
	s_and_saveexec_b64 s[36:37], vcc
	s_xor_b64 s[36:37], exec, s[36:37]
	s_cbranch_execz .LBB48_49
; %bb.48:                               ;   in Loop: Header=BB48_23 Depth=2
	s_ashr_i32 s38, s0, 31
	s_add_u32 s40, s59, s38
	s_mov_b32 s39, s38
	s_addc_u32 s41, s0, s38
	s_xor_b64 s[40:41], s[40:41], s[38:39]
	v_cvt_f32_u32_e32 v3, s40
	v_cvt_f32_u32_e32 v5, s41
	s_sub_u32 s31, 0, s40
	s_subb_u32 s39, 0, s41
	v_mov_b32_e32 v18, s41
	v_mac_f32_e32 v3, 0x4f800000, v5
	v_rcp_f32_e32 v3, v3
	v_mul_f32_e32 v3, 0x5f7ffffc, v3
	v_mul_f32_e32 v5, 0x2f800000, v3
	v_trunc_f32_e32 v5, v5
	v_mac_f32_e32 v3, 0xcf800000, v5
	v_cvt_u32_f32_e32 v5, v5
	v_cvt_u32_f32_e32 v3, v3
	v_readfirstlane_b32 s60, v5
	v_readfirstlane_b32 s0, v3
	s_mul_i32 s1, s31, s60
	s_mul_hi_u32 s62, s31, s0
	s_mul_i32 s61, s39, s0
	s_add_i32 s1, s62, s1
	s_add_i32 s1, s1, s61
	s_mul_i32 s63, s31, s0
	s_mul_i32 s62, s0, s1
	s_mul_hi_u32 s64, s0, s63
	s_mul_hi_u32 s61, s0, s1
	s_add_u32 s62, s64, s62
	s_addc_u32 s61, 0, s61
	s_mul_hi_u32 s65, s60, s63
	s_mul_i32 s63, s60, s63
	s_add_u32 s62, s62, s63
	s_mul_hi_u32 s64, s60, s1
	s_addc_u32 s61, s61, s65
	s_addc_u32 s62, s64, 0
	s_mul_i32 s1, s60, s1
	s_add_u32 s1, s61, s1
	s_addc_u32 s61, 0, s62
	s_add_u32 s62, s0, s1
	s_cselect_b64 s[0:1], -1, 0
	s_cmp_lg_u64 s[0:1], 0
	s_addc_u32 s60, s60, s61
	s_mul_i32 s0, s31, s60
	s_mul_hi_u32 s1, s31, s62
	s_add_i32 s0, s1, s0
	s_mul_i32 s39, s39, s62
	s_add_i32 s0, s0, s39
	s_mul_i32 s31, s31, s62
	s_mul_hi_u32 s39, s60, s31
	s_mul_i32 s61, s60, s31
	s_mul_i32 s64, s62, s0
	s_mul_hi_u32 s31, s62, s31
	s_mul_hi_u32 s63, s62, s0
	s_add_u32 s31, s31, s64
	s_addc_u32 s63, 0, s63
	s_add_u32 s31, s31, s61
	s_mul_hi_u32 s1, s60, s0
	s_addc_u32 s31, s63, s39
	s_addc_u32 s1, s1, 0
	s_mul_i32 s0, s60, s0
	s_add_u32 s0, s31, s0
	s_addc_u32 s31, 0, s1
	s_add_u32 s39, s62, s0
	s_cselect_b64 s[0:1], -1, 0
	v_ashrrev_i32_e32 v3, 31, v20
	s_cmp_lg_u64 s[0:1], 0
	v_add_co_u32_e32 v5, vcc, v19, v3
	s_addc_u32 s31, s60, s31
	v_xor_b32_e32 v5, v5, v3
	v_addc_co_u32_e32 v8, vcc, v20, v3, vcc
	v_mad_u64_u32 v[20:21], s[0:1], v5, s31, 0
	v_mul_hi_u32 v10, v5, s39
	v_xor_b32_e32 v8, v8, v3
	v_mad_u64_u32 v[22:23], s[0:1], v8, s31, 0
	v_add_co_u32_e32 v10, vcc, v10, v20
	v_addc_co_u32_e32 v12, vcc, 0, v21, vcc
	v_mad_u64_u32 v[20:21], s[0:1], v8, s39, 0
	v_xor_b32_e32 v3, s38, v3
	v_add_co_u32_e32 v10, vcc, v10, v20
	v_addc_co_u32_e32 v10, vcc, v12, v21, vcc
	v_addc_co_u32_e32 v12, vcc, 0, v23, vcc
	v_add_co_u32_e32 v10, vcc, v10, v22
	v_addc_co_u32_e32 v12, vcc, 0, v12, vcc
	v_mul_lo_u32 v14, s41, v10
	v_mul_lo_u32 v16, s40, v12
	v_mad_u64_u32 v[20:21], s[0:1], s40, v10, 0
	v_add3_u32 v14, v21, v16, v14
	v_sub_u32_e32 v16, v8, v14
	v_sub_co_u32_e32 v5, vcc, v5, v20
	v_subb_co_u32_e64 v16, s[0:1], v16, v18, vcc
	v_subrev_co_u32_e64 v18, s[0:1], s40, v5
	v_subbrev_co_u32_e64 v16, s[0:1], 0, v16, s[0:1]
	v_cmp_le_u32_e64 s[0:1], s41, v16
	v_cndmask_b32_e64 v20, 0, -1, s[0:1]
	v_cmp_le_u32_e64 s[0:1], s40, v18
	v_cndmask_b32_e64 v18, 0, -1, s[0:1]
	v_cmp_eq_u32_e64 s[0:1], s41, v16
	v_cndmask_b32_e64 v16, v20, v18, s[0:1]
	v_add_co_u32_e64 v18, s[0:1], 2, v10
	v_subb_co_u32_e32 v8, vcc, v8, v14, vcc
	v_addc_co_u32_e64 v20, s[0:1], 0, v12, s[0:1]
	v_cmp_le_u32_e32 vcc, s41, v8
	v_add_co_u32_e64 v21, s[0:1], 1, v10
	v_cndmask_b32_e64 v14, 0, -1, vcc
	v_cmp_le_u32_e32 vcc, s40, v5
	v_addc_co_u32_e64 v22, s[0:1], 0, v12, s[0:1]
	v_cndmask_b32_e64 v5, 0, -1, vcc
	v_cmp_eq_u32_e32 vcc, s41, v8
	v_cmp_ne_u32_e64 s[0:1], 0, v16
	v_cndmask_b32_e32 v5, v14, v5, vcc
	v_cmp_ne_u32_e32 vcc, 0, v5
	v_cndmask_b32_e64 v8, v21, v18, s[0:1]
	v_cndmask_b32_e64 v16, v22, v20, s[0:1]
	v_cndmask_b32_e32 v8, v10, v8, vcc
	v_cndmask_b32_e32 v5, v12, v16, vcc
	v_xor_b32_e32 v8, v8, v3
	v_xor_b32_e32 v5, v5, v3
	v_sub_co_u32_e32 v21, vcc, v8, v3
	v_subb_co_u32_e32 v22, vcc, v5, v3, vcc
.LBB48_49:                              ;   in Loop: Header=BB48_23 Depth=2
	s_andn2_saveexec_b64 s[0:1], s[36:37]
	s_cbranch_execz .LBB48_51
; %bb.50:                               ;   in Loop: Header=BB48_23 Depth=2
	v_cvt_f32_u32_e32 v3, s59
	s_sub_i32 s31, 0, s59
	v_mov_b32_e32 v22, v2
	v_rcp_iflag_f32_e32 v3, v3
	v_mul_f32_e32 v3, 0x4f7ffffe, v3
	v_cvt_u32_f32_e32 v3, v3
	v_mul_lo_u32 v5, s31, v3
	v_mul_hi_u32 v5, v3, v5
	v_add_u32_e32 v3, v3, v5
	v_mul_hi_u32 v3, v19, v3
	v_mul_lo_u32 v5, v3, s59
	v_add_u32_e32 v8, 1, v3
	v_sub_u32_e32 v5, v19, v5
	v_subrev_u32_e32 v10, s59, v5
	v_cmp_le_u32_e32 vcc, s59, v5
	v_cndmask_b32_e32 v5, v5, v10, vcc
	v_cndmask_b32_e32 v3, v3, v8, vcc
	v_add_u32_e32 v8, 1, v3
	v_cmp_le_u32_e32 vcc, s59, v5
	v_cndmask_b32_e32 v21, v3, v8, vcc
.LBB48_51:                              ;   in Loop: Header=BB48_23 Depth=2
	s_or_b64 exec, exec, s[0:1]
	s_add_u32 s0, s4, s34
	s_mov_b32 s31, s17
	s_addc_u32 s1, s5, s35
	s_lshl_b64 s[34:35], s[30:31], 2
	s_add_u32 s36, s42, s34
	s_addc_u32 s37, s43, s35
	s_load_dword s60, s[36:37], 0x8
	s_load_dword s31, s[0:1], 0x6c
                                        ; implicit-def: $vgpr23_vgpr24
	s_waitcnt lgkmcnt(0)
	s_ashr_i32 s0, s60, 31
	v_or_b32_e32 v3, s0, v22
	v_cmp_ne_u64_e32 vcc, 0, v[2:3]
	s_and_saveexec_b64 s[36:37], vcc
	s_xor_b64 s[36:37], exec, s[36:37]
	s_cbranch_execz .LBB48_53
; %bb.52:                               ;   in Loop: Header=BB48_23 Depth=2
	s_ashr_i32 s38, s0, 31
	s_add_u32 s40, s60, s38
	s_mov_b32 s39, s38
	s_addc_u32 s41, s0, s38
	s_xor_b64 s[40:41], s[40:41], s[38:39]
	v_cvt_f32_u32_e32 v3, s40
	v_cvt_f32_u32_e32 v5, s41
	s_sub_u32 s39, 0, s40
	s_subb_u32 s61, 0, s41
	v_mov_b32_e32 v18, s41
	v_mac_f32_e32 v3, 0x4f800000, v5
	v_rcp_f32_e32 v3, v3
	v_mul_f32_e32 v3, 0x5f7ffffc, v3
	v_mul_f32_e32 v5, 0x2f800000, v3
	v_trunc_f32_e32 v5, v5
	v_mac_f32_e32 v3, 0xcf800000, v5
	v_cvt_u32_f32_e32 v5, v5
	v_cvt_u32_f32_e32 v3, v3
	v_readfirstlane_b32 s62, v5
	v_readfirstlane_b32 s0, v3
	s_mul_i32 s1, s39, s62
	s_mul_hi_u32 s64, s39, s0
	s_mul_i32 s63, s61, s0
	s_add_i32 s1, s64, s1
	s_add_i32 s1, s1, s63
	s_mul_i32 s65, s39, s0
	s_mul_i32 s64, s0, s1
	s_mul_hi_u32 s66, s0, s65
	s_mul_hi_u32 s63, s0, s1
	s_add_u32 s64, s66, s64
	s_addc_u32 s63, 0, s63
	s_mul_hi_u32 s67, s62, s65
	s_mul_i32 s65, s62, s65
	s_add_u32 s64, s64, s65
	s_mul_hi_u32 s66, s62, s1
	s_addc_u32 s63, s63, s67
	s_addc_u32 s64, s66, 0
	s_mul_i32 s1, s62, s1
	s_add_u32 s1, s63, s1
	s_addc_u32 s63, 0, s64
	s_add_u32 s64, s0, s1
	s_cselect_b64 s[0:1], -1, 0
	s_cmp_lg_u64 s[0:1], 0
	s_addc_u32 s62, s62, s63
	s_mul_i32 s0, s39, s62
	s_mul_hi_u32 s1, s39, s64
	s_add_i32 s0, s1, s0
	s_mul_i32 s61, s61, s64
	s_add_i32 s0, s0, s61
	s_mul_i32 s39, s39, s64
	s_mul_hi_u32 s61, s62, s39
	s_mul_i32 s63, s62, s39
	s_mul_i32 s66, s64, s0
	s_mul_hi_u32 s39, s64, s39
	s_mul_hi_u32 s65, s64, s0
	s_add_u32 s39, s39, s66
	s_addc_u32 s65, 0, s65
	s_add_u32 s39, s39, s63
	s_mul_hi_u32 s1, s62, s0
	s_addc_u32 s39, s65, s61
	s_addc_u32 s1, s1, 0
	s_mul_i32 s0, s62, s0
	s_add_u32 s0, s39, s0
	s_addc_u32 s39, 0, s1
	s_add_u32 s61, s64, s0
	s_cselect_b64 s[0:1], -1, 0
	v_ashrrev_i32_e32 v3, 31, v22
	s_cmp_lg_u64 s[0:1], 0
	v_add_co_u32_e32 v5, vcc, v21, v3
	s_addc_u32 s39, s62, s39
	v_xor_b32_e32 v5, v5, v3
	v_addc_co_u32_e32 v8, vcc, v22, v3, vcc
	v_mad_u64_u32 v[22:23], s[0:1], v5, s39, 0
	v_mul_hi_u32 v10, v5, s61
	v_xor_b32_e32 v8, v8, v3
	v_mad_u64_u32 v[27:28], s[0:1], v8, s39, 0
	v_add_co_u32_e32 v10, vcc, v10, v22
	v_addc_co_u32_e32 v12, vcc, 0, v23, vcc
	v_mad_u64_u32 v[22:23], s[0:1], v8, s61, 0
	v_xor_b32_e32 v3, s38, v3
	v_add_co_u32_e32 v10, vcc, v10, v22
	v_addc_co_u32_e32 v10, vcc, v12, v23, vcc
	v_addc_co_u32_e32 v12, vcc, 0, v28, vcc
	v_add_co_u32_e32 v10, vcc, v10, v27
	v_addc_co_u32_e32 v12, vcc, 0, v12, vcc
	v_mul_lo_u32 v14, s41, v10
	v_mul_lo_u32 v16, s40, v12
	v_mad_u64_u32 v[22:23], s[0:1], s40, v10, 0
	v_add3_u32 v14, v23, v16, v14
	v_sub_u32_e32 v16, v8, v14
	v_sub_co_u32_e32 v5, vcc, v5, v22
	v_subb_co_u32_e64 v16, s[0:1], v16, v18, vcc
	v_subrev_co_u32_e64 v18, s[0:1], s40, v5
	v_subbrev_co_u32_e64 v16, s[0:1], 0, v16, s[0:1]
	v_cmp_le_u32_e64 s[0:1], s41, v16
	v_cndmask_b32_e64 v20, 0, -1, s[0:1]
	v_cmp_le_u32_e64 s[0:1], s40, v18
	v_cndmask_b32_e64 v18, 0, -1, s[0:1]
	v_cmp_eq_u32_e64 s[0:1], s41, v16
	v_cndmask_b32_e64 v16, v20, v18, s[0:1]
	v_add_co_u32_e64 v18, s[0:1], 2, v10
	v_subb_co_u32_e32 v8, vcc, v8, v14, vcc
	v_addc_co_u32_e64 v20, s[0:1], 0, v12, s[0:1]
	v_cmp_le_u32_e32 vcc, s41, v8
	v_add_co_u32_e64 v22, s[0:1], 1, v10
	v_cndmask_b32_e64 v14, 0, -1, vcc
	v_cmp_le_u32_e32 vcc, s40, v5
	v_addc_co_u32_e64 v23, s[0:1], 0, v12, s[0:1]
	v_cndmask_b32_e64 v5, 0, -1, vcc
	v_cmp_eq_u32_e32 vcc, s41, v8
	v_cmp_ne_u32_e64 s[0:1], 0, v16
	v_cndmask_b32_e32 v5, v14, v5, vcc
	v_cmp_ne_u32_e32 vcc, 0, v5
	v_cndmask_b32_e64 v8, v22, v18, s[0:1]
	v_cndmask_b32_e64 v16, v23, v20, s[0:1]
	v_cndmask_b32_e32 v8, v10, v8, vcc
	v_cndmask_b32_e32 v5, v12, v16, vcc
	v_xor_b32_e32 v8, v8, v3
	v_xor_b32_e32 v5, v5, v3
	v_sub_co_u32_e32 v23, vcc, v8, v3
	v_subb_co_u32_e32 v24, vcc, v5, v3, vcc
.LBB48_53:                              ;   in Loop: Header=BB48_23 Depth=2
	s_andn2_saveexec_b64 s[0:1], s[36:37]
	s_cbranch_execz .LBB48_55
; %bb.54:                               ;   in Loop: Header=BB48_23 Depth=2
	v_cvt_f32_u32_e32 v3, s60
	s_sub_i32 s36, 0, s60
	v_mov_b32_e32 v24, v2
	v_rcp_iflag_f32_e32 v3, v3
	v_mul_f32_e32 v3, 0x4f7ffffe, v3
	v_cvt_u32_f32_e32 v3, v3
	v_mul_lo_u32 v5, s36, v3
	v_mul_hi_u32 v5, v3, v5
	v_add_u32_e32 v3, v3, v5
	v_mul_hi_u32 v3, v21, v3
	v_mul_lo_u32 v5, v3, s60
	v_add_u32_e32 v8, 1, v3
	v_sub_u32_e32 v5, v21, v5
	v_subrev_u32_e32 v10, s60, v5
	v_cmp_le_u32_e32 vcc, s60, v5
	v_cndmask_b32_e32 v5, v5, v10, vcc
	v_cndmask_b32_e32 v3, v3, v8, vcc
	v_add_u32_e32 v8, 1, v3
	v_cmp_le_u32_e32 vcc, s60, v5
	v_cndmask_b32_e32 v23, v3, v8, vcc
.LBB48_55:                              ;   in Loop: Header=BB48_23 Depth=2
	s_or_b64 exec, exec, s[0:1]
	v_mul_lo_u32 v3, v9, s25
	v_mul_lo_u32 v5, v11, s50
	;; [unrolled: 1-line block ×3, first 2 shown]
	s_add_u32 s0, s4, s34
	v_sub_u32_e32 v3, v7, v3
	v_mul_lo_u32 v7, v15, s54
	v_sub_u32_e32 v5, v9, v5
	v_mul_lo_u32 v3, s28, v3
	v_mul_lo_u32 v5, s51, v5
	v_sub_u32_e32 v8, v11, v8
	v_sub_u32_e32 v7, v13, v7
	v_mul_lo_u32 v8, s53, v8
	v_mul_lo_u32 v7, s56, v7
	;; [unrolled: 1-line block ×3, first 2 shown]
	v_add3_u32 v3, v3, v4, v5
	v_mul_lo_u32 v4, v19, s58
	s_addc_u32 s1, s5, s35
	v_add3_u32 v3, v8, v3, v7
	v_mul_lo_u32 v7, v21, s59
	v_mul_lo_u32 v8, v23, s60
	s_load_dword s0, s[0:1], 0x6c
	v_sub_u32_e32 v5, v15, v9
	v_sub_u32_e32 v4, v17, v4
	v_mul_lo_u32 v5, s57, v5
	v_mul_lo_u32 v4, s16, v4
	v_sub_u32_e32 v7, v19, v7
	v_sub_u32_e32 v8, v21, v8
	v_mul_lo_u32 v7, s31, v7
	s_waitcnt lgkmcnt(0)
	v_mul_lo_u32 v8, s0, v8
	v_add3_u32 v3, v5, v3, v4
	s_add_i32 s30, s30, -8
	s_cmp_eq_u32 s30, -8
	v_add3_u32 v4, v7, v3, v8
	s_cbranch_scc1 .LBB48_57
; %bb.56:                               ;   in Loop: Header=BB48_23 Depth=2
	v_mov_b32_e32 v7, v23
	v_mov_b32_e32 v8, v24
	s_branch .LBB48_23
.LBB48_57:                              ;   in Loop: Header=BB48_3 Depth=1
	s_load_dword s16, s[2:3], 0x4
	s_waitcnt lgkmcnt(0)
	v_cmp_gt_i32_e32 vcc, s16, v26
	s_and_b64 exec, exec, vcc
	s_cbranch_execz .LBB48_2
; %bb.58:                               ;   in Loop: Header=BB48_3 Depth=1
	v_ashrrev_i32_e32 v7, 31, v6
	v_cmp_lt_i64_e32 vcc, s[8:9], v[6:7]
	s_and_saveexec_b64 s[0:1], vcc
	s_cbranch_execz .LBB48_60
; %bb.59:                               ;   in Loop: Header=BB48_3 Depth=1
	v_ashrrev_i32_e32 v3, 31, v4
	v_mov_b32_e32 v6, s13
	v_add_co_u32_e32 v5, vcc, s12, v4
	v_addc_co_u32_e32 v6, vcc, v6, v3, vcc
	global_store_byte v[5:6], v2, off
.LBB48_60:                              ;   in Loop: Header=BB48_3 Depth=1
	s_or_b64 exec, exec, s[0:1]
	v_add_u32_e32 v3, 1, v26
	v_cmp_gt_i32_e32 vcc, s16, v3
	s_and_b64 exec, exec, vcc
	s_cbranch_execz .LBB48_2
; %bb.61:                               ;   in Loop: Header=BB48_3 Depth=1
	v_sub_u32_e32 v5, v3, v25
	v_ashrrev_i32_e32 v6, 31, v5
	v_cmp_lt_i64_e32 vcc, s[8:9], v[5:6]
	s_and_saveexec_b64 s[0:1], vcc
	s_cbranch_execz .LBB48_63
; %bb.62:                               ;   in Loop: Header=BB48_3 Depth=1
	v_add_u32_e32 v3, s29, v4
	v_ashrrev_i32_e32 v6, 31, v3
	v_mov_b32_e32 v7, s13
	v_add_co_u32_e32 v5, vcc, s12, v3
	v_addc_co_u32_e32 v6, vcc, v7, v6, vcc
	global_store_byte v[5:6], v2, off
.LBB48_63:                              ;   in Loop: Header=BB48_3 Depth=1
	s_or_b64 exec, exec, s[0:1]
	v_add_u32_e32 v3, 2, v26
	v_cmp_gt_i32_e32 vcc, s16, v3
	s_and_b64 exec, exec, vcc
	s_cbranch_execz .LBB48_2
; %bb.64:                               ;   in Loop: Header=BB48_3 Depth=1
	v_sub_u32_e32 v5, v3, v25
	v_ashrrev_i32_e32 v6, 31, v5
	v_cmp_lt_i64_e32 vcc, s[8:9], v[5:6]
	s_and_saveexec_b64 s[0:1], vcc
	s_cbranch_execz .LBB48_66
; %bb.65:                               ;   in Loop: Header=BB48_3 Depth=1
	v_lshl_add_u32 v3, s29, 1, v4
	v_ashrrev_i32_e32 v6, 31, v3
	v_mov_b32_e32 v7, s13
	v_add_co_u32_e32 v5, vcc, s12, v3
	v_addc_co_u32_e32 v6, vcc, v7, v6, vcc
	global_store_byte v[5:6], v2, off
.LBB48_66:                              ;   in Loop: Header=BB48_3 Depth=1
	s_or_b64 exec, exec, s[0:1]
	v_add_u32_e32 v3, 3, v26
	v_cmp_gt_i32_e32 vcc, s16, v3
	s_and_b64 exec, exec, vcc
	s_cbranch_execz .LBB48_2
; %bb.67:                               ;   in Loop: Header=BB48_3 Depth=1
	v_sub_u32_e32 v5, v3, v25
	v_ashrrev_i32_e32 v6, 31, v5
	v_cmp_lt_i64_e32 vcc, s[8:9], v[5:6]
	s_and_b64 exec, exec, vcc
	s_cbranch_execz .LBB48_2
; %bb.68:                               ;   in Loop: Header=BB48_3 Depth=1
	v_mad_u64_u32 v[3:4], s[0:1], s29, 3, v[4:5]
	v_mov_b32_e32 v4, s13
	v_ashrrev_i32_e32 v5, 31, v3
	v_add_co_u32_e32 v3, vcc, s12, v3
	v_addc_co_u32_e32 v4, vcc, v4, v5, vcc
	global_store_byte v[3:4], v2, off
	s_branch .LBB48_2
.LBB48_69:
	s_endpgm
	.section	.rodata,"a",@progbits
	.p2align	6, 0x0
	.amdhsa_kernel _ZN2at6native16triu_tril_kernelIbiLb0ELi4ELb1EEEvNS_4cuda6detail10TensorInfoIT_T0_EENS4_IKS5_S6_EEllS6_
		.amdhsa_group_segment_fixed_size 0
		.amdhsa_private_segment_fixed_size 0
		.amdhsa_kernarg_size 712
		.amdhsa_user_sgpr_count 6
		.amdhsa_user_sgpr_private_segment_buffer 1
		.amdhsa_user_sgpr_dispatch_ptr 0
		.amdhsa_user_sgpr_queue_ptr 0
		.amdhsa_user_sgpr_kernarg_segment_ptr 1
		.amdhsa_user_sgpr_dispatch_id 0
		.amdhsa_user_sgpr_flat_scratch_init 0
		.amdhsa_user_sgpr_private_segment_size 0
		.amdhsa_uses_dynamic_stack 0
		.amdhsa_system_sgpr_private_segment_wavefront_offset 0
		.amdhsa_system_sgpr_workgroup_id_x 1
		.amdhsa_system_sgpr_workgroup_id_y 0
		.amdhsa_system_sgpr_workgroup_id_z 0
		.amdhsa_system_sgpr_workgroup_info 0
		.amdhsa_system_vgpr_workitem_id 0
		.amdhsa_next_free_vgpr 29
		.amdhsa_next_free_sgpr 68
		.amdhsa_reserve_vcc 1
		.amdhsa_reserve_flat_scratch 0
		.amdhsa_float_round_mode_32 0
		.amdhsa_float_round_mode_16_64 0
		.amdhsa_float_denorm_mode_32 3
		.amdhsa_float_denorm_mode_16_64 3
		.amdhsa_dx10_clamp 1
		.amdhsa_ieee_mode 1
		.amdhsa_fp16_overflow 0
		.amdhsa_exception_fp_ieee_invalid_op 0
		.amdhsa_exception_fp_denorm_src 0
		.amdhsa_exception_fp_ieee_div_zero 0
		.amdhsa_exception_fp_ieee_overflow 0
		.amdhsa_exception_fp_ieee_underflow 0
		.amdhsa_exception_fp_ieee_inexact 0
		.amdhsa_exception_int_div_zero 0
	.end_amdhsa_kernel
	.section	.text._ZN2at6native16triu_tril_kernelIbiLb0ELi4ELb1EEEvNS_4cuda6detail10TensorInfoIT_T0_EENS4_IKS5_S6_EEllS6_,"axG",@progbits,_ZN2at6native16triu_tril_kernelIbiLb0ELi4ELb1EEEvNS_4cuda6detail10TensorInfoIT_T0_EENS4_IKS5_S6_EEllS6_,comdat
.Lfunc_end48:
	.size	_ZN2at6native16triu_tril_kernelIbiLb0ELi4ELb1EEEvNS_4cuda6detail10TensorInfoIT_T0_EENS4_IKS5_S6_EEllS6_, .Lfunc_end48-_ZN2at6native16triu_tril_kernelIbiLb0ELi4ELb1EEEvNS_4cuda6detail10TensorInfoIT_T0_EENS4_IKS5_S6_EEllS6_
                                        ; -- End function
	.set _ZN2at6native16triu_tril_kernelIbiLb0ELi4ELb1EEEvNS_4cuda6detail10TensorInfoIT_T0_EENS4_IKS5_S6_EEllS6_.num_vgpr, 29
	.set _ZN2at6native16triu_tril_kernelIbiLb0ELi4ELb1EEEvNS_4cuda6detail10TensorInfoIT_T0_EENS4_IKS5_S6_EEllS6_.num_agpr, 0
	.set _ZN2at6native16triu_tril_kernelIbiLb0ELi4ELb1EEEvNS_4cuda6detail10TensorInfoIT_T0_EENS4_IKS5_S6_EEllS6_.numbered_sgpr, 68
	.set _ZN2at6native16triu_tril_kernelIbiLb0ELi4ELb1EEEvNS_4cuda6detail10TensorInfoIT_T0_EENS4_IKS5_S6_EEllS6_.num_named_barrier, 0
	.set _ZN2at6native16triu_tril_kernelIbiLb0ELi4ELb1EEEvNS_4cuda6detail10TensorInfoIT_T0_EENS4_IKS5_S6_EEllS6_.private_seg_size, 0
	.set _ZN2at6native16triu_tril_kernelIbiLb0ELi4ELb1EEEvNS_4cuda6detail10TensorInfoIT_T0_EENS4_IKS5_S6_EEllS6_.uses_vcc, 1
	.set _ZN2at6native16triu_tril_kernelIbiLb0ELi4ELb1EEEvNS_4cuda6detail10TensorInfoIT_T0_EENS4_IKS5_S6_EEllS6_.uses_flat_scratch, 0
	.set _ZN2at6native16triu_tril_kernelIbiLb0ELi4ELb1EEEvNS_4cuda6detail10TensorInfoIT_T0_EENS4_IKS5_S6_EEllS6_.has_dyn_sized_stack, 0
	.set _ZN2at6native16triu_tril_kernelIbiLb0ELi4ELb1EEEvNS_4cuda6detail10TensorInfoIT_T0_EENS4_IKS5_S6_EEllS6_.has_recursion, 0
	.set _ZN2at6native16triu_tril_kernelIbiLb0ELi4ELb1EEEvNS_4cuda6detail10TensorInfoIT_T0_EENS4_IKS5_S6_EEllS6_.has_indirect_call, 0
	.section	.AMDGPU.csdata,"",@progbits
; Kernel info:
; codeLenInByte = 9468
; TotalNumSgprs: 72
; NumVgprs: 29
; ScratchSize: 0
; MemoryBound: 0
; FloatMode: 240
; IeeeMode: 1
; LDSByteSize: 0 bytes/workgroup (compile time only)
; SGPRBlocks: 8
; VGPRBlocks: 7
; NumSGPRsForWavesPerEU: 72
; NumVGPRsForWavesPerEU: 29
; Occupancy: 8
; WaveLimiterHint : 0
; COMPUTE_PGM_RSRC2:SCRATCH_EN: 0
; COMPUTE_PGM_RSRC2:USER_SGPR: 6
; COMPUTE_PGM_RSRC2:TRAP_HANDLER: 0
; COMPUTE_PGM_RSRC2:TGID_X_EN: 1
; COMPUTE_PGM_RSRC2:TGID_Y_EN: 0
; COMPUTE_PGM_RSRC2:TGID_Z_EN: 0
; COMPUTE_PGM_RSRC2:TIDIG_COMP_CNT: 0
	.section	.text._ZN2at6native16triu_tril_kernelIbiLb0ELi4ELb0EEEvNS_4cuda6detail10TensorInfoIT_T0_EENS4_IKS5_S6_EEllS6_,"axG",@progbits,_ZN2at6native16triu_tril_kernelIbiLb0ELi4ELb0EEEvNS_4cuda6detail10TensorInfoIT_T0_EENS4_IKS5_S6_EEllS6_,comdat
	.protected	_ZN2at6native16triu_tril_kernelIbiLb0ELi4ELb0EEEvNS_4cuda6detail10TensorInfoIT_T0_EENS4_IKS5_S6_EEllS6_ ; -- Begin function _ZN2at6native16triu_tril_kernelIbiLb0ELi4ELb0EEEvNS_4cuda6detail10TensorInfoIT_T0_EENS4_IKS5_S6_EEllS6_
	.globl	_ZN2at6native16triu_tril_kernelIbiLb0ELi4ELb0EEEvNS_4cuda6detail10TensorInfoIT_T0_EENS4_IKS5_S6_EEllS6_
	.p2align	8
	.type	_ZN2at6native16triu_tril_kernelIbiLb0ELi4ELb0EEEvNS_4cuda6detail10TensorInfoIT_T0_EENS4_IKS5_S6_EEllS6_,@function
_ZN2at6native16triu_tril_kernelIbiLb0ELi4ELb0EEEvNS_4cuda6detail10TensorInfoIT_T0_EENS4_IKS5_S6_EEllS6_: ; @_ZN2at6native16triu_tril_kernelIbiLb0ELi4ELb0EEEvNS_4cuda6detail10TensorInfoIT_T0_EENS4_IKS5_S6_EEllS6_
; %bb.0:
	s_load_dword s2, s[4:5], 0x1d4
	s_load_dwordx4 s[12:15], s[4:5], 0x1b0
	s_add_u32 s0, s4, 0x1c8
	v_mov_b32_e32 v2, 0
	s_addc_u32 s1, s5, 0
	s_waitcnt lgkmcnt(0)
	s_and_b32 s2, s2, 0xffff
	v_mov_b32_e32 v1, v2
	v_mov_b32_e32 v3, s6
	v_mad_u64_u32 v[0:1], s[6:7], s2, v3, v[0:1]
	v_lshlrev_b64 v[0:1], 2, v[0:1]
	v_cmp_gt_i64_e32 vcc, s[14:15], v[0:1]
	s_and_saveexec_b64 s[6:7], vcc
	s_cbranch_execz .LBB49_54
; %bb.1:
	s_load_dword s33, s[4:5], 0x1c0
	s_load_dwordx2 s[16:17], s[4:5], 0xd8
	s_load_dwordx2 s[26:27], s[4:5], 0x0
	s_load_dword s6, s[4:5], 0x1a8
	s_load_dword s3, s[0:1], 0x0
	s_add_u32 s42, s4, 0xd8
	s_addc_u32 s43, s5, 0
	s_waitcnt lgkmcnt(0)
	s_ashr_i32 s44, s33, 31
	s_ashr_i32 s7, s6, 31
	s_lshl_b64 s[0:1], s[6:7], 2
	s_add_u32 s8, s42, s0
	s_addc_u32 s9, s43, s1
	s_load_dwordx2 s[18:19], s[8:9], 0x0
	s_load_dwordx2 s[22:23], s[8:9], 0x64
	s_mul_i32 s3, s3, s2
	v_cmp_gt_i64_e64 s[20:21], s[6:7], 2
	s_mov_b32 s29, 0
	s_waitcnt lgkmcnt(0)
	s_ashr_i32 s45, s18, 31
	s_add_u32 s0, s4, s0
	s_addc_u32 s1, s5, s1
	s_load_dwordx2 s[24:25], s[0:1], 0x64
	s_add_i32 s46, s6, -3
	s_lshl_b32 s47, s3, 2
	s_and_b32 s48, s6, 3
	s_cmp_lg_u32 s48, 2
	s_cselect_b64 s[30:31], -1, 0
	s_cmp_gt_u32 s46, 2
	s_cselect_b64 s[34:35], -1, 0
	s_ashr_i32 s49, s23, 31
	s_mov_b32 s50, s23
	s_add_i32 s23, s23, s23
	s_waitcnt lgkmcnt(0)
	s_ashr_i32 s51, s25, 31
	s_mov_b32 s52, s25
	s_add_i32 s25, s25, s25
	s_mov_b64 s[36:37], 0
	s_ashr_i32 s38, s44, 31
	s_branch .LBB49_3
.LBB49_2:                               ;   in Loop: Header=BB49_3 Depth=1
	s_or_b64 exec, exec, s[0:1]
	v_add_co_u32_e32 v0, vcc, s47, v0
	v_addc_co_u32_e32 v1, vcc, 0, v1, vcc
	v_cmp_le_i64_e32 vcc, s[14:15], v[0:1]
	s_or_b64 s[36:37], vcc, s[36:37]
	s_andn2_b64 exec, exec, s[36:37]
	s_cbranch_execz .LBB49_54
.LBB49_3:                               ; =>This Loop Header: Depth=1
                                        ;     Child Loop BB49_13 Depth 2
                                        ;     Child Loop BB49_21 Depth 2
	v_or_b32_e32 v3, s44, v1
	v_cmp_ne_u64_e32 vcc, 0, v[2:3]
                                        ; implicit-def: $vgpr4_vgpr5
	s_and_saveexec_b64 s[0:1], vcc
	s_xor_b64 s[2:3], exec, s[0:1]
	s_cbranch_execz .LBB49_5
; %bb.4:                                ;   in Loop: Header=BB49_3 Depth=1
	s_add_u32 s0, s33, s38
	s_mov_b32 s39, s38
	s_addc_u32 s1, s44, s38
	s_xor_b64 s[6:7], s[0:1], s[38:39]
	v_cvt_f32_u32_e32 v3, s6
	v_cvt_f32_u32_e32 v4, s7
	s_sub_u32 s8, 0, s6
	s_subb_u32 s9, 0, s7
	v_ashrrev_i32_e32 v7, 31, v1
	v_mac_f32_e32 v3, 0x4f800000, v4
	v_rcp_f32_e32 v3, v3
	v_mul_f32_e32 v3, 0x5f7ffffc, v3
	v_mul_f32_e32 v4, 0x2f800000, v3
	v_trunc_f32_e32 v4, v4
	v_mac_f32_e32 v3, 0xcf800000, v4
	v_cvt_u32_f32_e32 v4, v4
	v_cvt_u32_f32_e32 v3, v3
	v_readfirstlane_b32 s10, v4
	v_readfirstlane_b32 s0, v3
	s_mul_i32 s1, s8, s10
	s_mul_hi_u32 s28, s8, s0
	s_mul_i32 s11, s9, s0
	s_add_i32 s1, s28, s1
	s_add_i32 s1, s1, s11
	s_mul_i32 s39, s8, s0
	s_mul_i32 s28, s0, s1
	s_mul_hi_u32 s40, s0, s39
	s_mul_hi_u32 s11, s0, s1
	s_add_u32 s28, s40, s28
	s_addc_u32 s11, 0, s11
	s_mul_hi_u32 s41, s10, s39
	s_mul_i32 s39, s10, s39
	s_add_u32 s28, s28, s39
	s_mul_hi_u32 s40, s10, s1
	s_addc_u32 s11, s11, s41
	s_addc_u32 s28, s40, 0
	s_mul_i32 s1, s10, s1
	s_add_u32 s1, s11, s1
	s_addc_u32 s11, 0, s28
	s_add_u32 s28, s0, s1
	s_cselect_b64 s[0:1], -1, 0
	s_cmp_lg_u64 s[0:1], 0
	s_addc_u32 s10, s10, s11
	s_mul_i32 s0, s8, s10
	s_mul_hi_u32 s1, s8, s28
	s_add_i32 s0, s1, s0
	s_mul_i32 s9, s9, s28
	s_add_i32 s0, s0, s9
	s_mul_i32 s8, s8, s28
	s_mul_hi_u32 s9, s10, s8
	s_mul_i32 s11, s10, s8
	s_mul_i32 s40, s28, s0
	s_mul_hi_u32 s8, s28, s8
	s_mul_hi_u32 s39, s28, s0
	s_add_u32 s8, s8, s40
	s_addc_u32 s39, 0, s39
	s_add_u32 s8, s8, s11
	s_mul_hi_u32 s1, s10, s0
	s_addc_u32 s8, s39, s9
	s_addc_u32 s1, s1, 0
	s_mul_i32 s0, s10, s0
	s_add_u32 s0, s8, s0
	s_addc_u32 s8, 0, s1
	s_add_u32 s9, s28, s0
	s_cselect_b64 s[0:1], -1, 0
	s_cmp_lg_u64 s[0:1], 0
	v_add_co_u32_e32 v3, vcc, v0, v7
	s_addc_u32 s8, s10, s8
	v_xor_b32_e32 v8, v3, v7
	v_mad_u64_u32 v[3:4], s[0:1], v8, s8, 0
	v_mul_hi_u32 v6, v8, s9
	v_addc_co_u32_e32 v5, vcc, v1, v7, vcc
	v_xor_b32_e32 v9, v5, v7
	v_add_co_u32_e32 v10, vcc, v6, v3
	v_addc_co_u32_e32 v11, vcc, 0, v4, vcc
	v_mad_u64_u32 v[3:4], s[0:1], v9, s9, 0
	v_mad_u64_u32 v[5:6], s[0:1], v9, s8, 0
	v_add_co_u32_e32 v3, vcc, v10, v3
	v_addc_co_u32_e32 v3, vcc, v11, v4, vcc
	v_addc_co_u32_e32 v4, vcc, 0, v6, vcc
	v_add_co_u32_e32 v5, vcc, v3, v5
	v_addc_co_u32_e32 v6, vcc, 0, v4, vcc
	v_mul_lo_u32 v10, s7, v5
	v_mul_lo_u32 v11, s6, v6
	v_mad_u64_u32 v[3:4], s[0:1], s6, v5, 0
	v_add3_u32 v4, v4, v11, v10
	v_sub_u32_e32 v10, v9, v4
	v_mov_b32_e32 v11, s7
	v_sub_co_u32_e32 v3, vcc, v8, v3
	v_subb_co_u32_e64 v8, s[0:1], v10, v11, vcc
	v_subrev_co_u32_e64 v10, s[0:1], s6, v3
	v_subbrev_co_u32_e64 v8, s[0:1], 0, v8, s[0:1]
	v_cmp_le_u32_e64 s[0:1], s7, v8
	v_cndmask_b32_e64 v11, 0, -1, s[0:1]
	v_cmp_le_u32_e64 s[0:1], s6, v10
	v_cndmask_b32_e64 v10, 0, -1, s[0:1]
	v_cmp_eq_u32_e64 s[0:1], s7, v8
	v_cndmask_b32_e64 v8, v11, v10, s[0:1]
	v_add_co_u32_e64 v10, s[0:1], 2, v5
	v_subb_co_u32_e32 v4, vcc, v9, v4, vcc
	v_addc_co_u32_e64 v11, s[0:1], 0, v6, s[0:1]
	v_cmp_le_u32_e32 vcc, s7, v4
	v_add_co_u32_e64 v12, s[0:1], 1, v5
	v_cndmask_b32_e64 v9, 0, -1, vcc
	v_cmp_le_u32_e32 vcc, s6, v3
	v_addc_co_u32_e64 v13, s[0:1], 0, v6, s[0:1]
	v_cndmask_b32_e64 v3, 0, -1, vcc
	v_cmp_eq_u32_e32 vcc, s7, v4
	v_cmp_ne_u32_e64 s[0:1], 0, v8
	v_cndmask_b32_e32 v3, v9, v3, vcc
	v_cmp_ne_u32_e32 vcc, 0, v3
	v_cndmask_b32_e64 v4, v12, v10, s[0:1]
	v_cndmask_b32_e64 v8, v13, v11, s[0:1]
	v_cndmask_b32_e32 v4, v5, v4, vcc
	v_xor_b32_e32 v5, s38, v7
	v_cndmask_b32_e32 v3, v6, v8, vcc
	v_xor_b32_e32 v4, v4, v5
	v_xor_b32_e32 v3, v3, v5
	v_sub_co_u32_e32 v4, vcc, v4, v5
	v_subb_co_u32_e32 v5, vcc, v3, v5, vcc
.LBB49_5:                               ;   in Loop: Header=BB49_3 Depth=1
	s_andn2_saveexec_b64 s[0:1], s[2:3]
	s_cbranch_execz .LBB49_7
; %bb.6:                                ;   in Loop: Header=BB49_3 Depth=1
	v_cvt_f32_u32_e32 v3, s33
	s_sub_i32 s2, 0, s33
	v_rcp_iflag_f32_e32 v3, v3
	v_mul_f32_e32 v3, 0x4f7ffffe, v3
	v_cvt_u32_f32_e32 v3, v3
	v_mul_lo_u32 v4, s2, v3
	v_mul_hi_u32 v4, v3, v4
	v_add_u32_e32 v3, v3, v4
	v_mul_hi_u32 v3, v0, v3
	v_mul_lo_u32 v4, v3, s33
	v_add_u32_e32 v5, 1, v3
	v_sub_u32_e32 v4, v0, v4
	v_subrev_u32_e32 v6, s33, v4
	v_cmp_le_u32_e32 vcc, s33, v4
	v_cndmask_b32_e32 v4, v4, v6, vcc
	v_cndmask_b32_e32 v3, v3, v5, vcc
	v_add_u32_e32 v5, 1, v3
	v_cmp_le_u32_e32 vcc, s33, v4
	v_cndmask_b32_e32 v4, v3, v5, vcc
	v_mov_b32_e32 v5, v2
.LBB49_7:                               ;   in Loop: Header=BB49_3 Depth=1
	s_or_b64 exec, exec, s[0:1]
	v_or_b32_e32 v3, s45, v5
	v_cmp_ne_u64_e32 vcc, 0, v[2:3]
                                        ; implicit-def: $vgpr8_vgpr9
	s_and_saveexec_b64 s[0:1], vcc
	s_xor_b64 s[2:3], exec, s[0:1]
	s_cbranch_execz .LBB49_9
; %bb.8:                                ;   in Loop: Header=BB49_3 Depth=1
	s_ashr_i32 s6, s45, 31
	s_add_u32 s0, s18, s6
	s_mov_b32 s7, s6
	s_addc_u32 s1, s45, s6
	s_xor_b64 s[8:9], s[0:1], s[6:7]
	v_cvt_f32_u32_e32 v3, s8
	v_cvt_f32_u32_e32 v6, s9
	s_sub_u32 s7, 0, s8
	s_subb_u32 s10, 0, s9
	v_mac_f32_e32 v3, 0x4f800000, v6
	v_rcp_f32_e32 v3, v3
	v_mul_f32_e32 v3, 0x5f7ffffc, v3
	v_mul_f32_e32 v6, 0x2f800000, v3
	v_trunc_f32_e32 v6, v6
	v_mac_f32_e32 v3, 0xcf800000, v6
	v_cvt_u32_f32_e32 v6, v6
	v_cvt_u32_f32_e32 v3, v3
	v_readfirstlane_b32 s11, v6
	v_readfirstlane_b32 s0, v3
	s_mul_i32 s1, s7, s11
	s_mul_hi_u32 s39, s7, s0
	s_mul_i32 s28, s10, s0
	s_add_i32 s1, s39, s1
	s_add_i32 s1, s1, s28
	s_mul_i32 s40, s7, s0
	s_mul_i32 s39, s0, s1
	s_mul_hi_u32 s41, s0, s40
	s_mul_hi_u32 s28, s0, s1
	s_add_u32 s39, s41, s39
	s_addc_u32 s28, 0, s28
	s_mul_hi_u32 s53, s11, s40
	s_mul_i32 s40, s11, s40
	s_add_u32 s39, s39, s40
	s_mul_hi_u32 s41, s11, s1
	s_addc_u32 s28, s28, s53
	s_addc_u32 s39, s41, 0
	s_mul_i32 s1, s11, s1
	s_add_u32 s1, s28, s1
	s_addc_u32 s28, 0, s39
	s_add_u32 s39, s0, s1
	s_cselect_b64 s[0:1], -1, 0
	s_cmp_lg_u64 s[0:1], 0
	s_addc_u32 s11, s11, s28
	s_mul_i32 s0, s7, s11
	s_mul_hi_u32 s1, s7, s39
	s_add_i32 s0, s1, s0
	s_mul_i32 s10, s10, s39
	s_add_i32 s0, s0, s10
	s_mul_i32 s7, s7, s39
	s_mul_hi_u32 s10, s11, s7
	s_mul_i32 s28, s11, s7
	s_mul_i32 s41, s39, s0
	s_mul_hi_u32 s7, s39, s7
	s_mul_hi_u32 s40, s39, s0
	s_add_u32 s7, s7, s41
	s_addc_u32 s40, 0, s40
	s_add_u32 s7, s7, s28
	s_mul_hi_u32 s1, s11, s0
	s_addc_u32 s7, s40, s10
	s_addc_u32 s1, s1, 0
	s_mul_i32 s0, s11, s0
	s_add_u32 s0, s7, s0
	s_addc_u32 s7, 0, s1
	s_add_u32 s10, s39, s0
	s_cselect_b64 s[0:1], -1, 0
	v_ashrrev_i32_e32 v3, 31, v5
	s_cmp_lg_u64 s[0:1], 0
	v_add_co_u32_e32 v6, vcc, v4, v3
	s_addc_u32 s7, s11, s7
	v_xor_b32_e32 v9, v6, v3
	v_addc_co_u32_e32 v7, vcc, v5, v3, vcc
	v_mad_u64_u32 v[5:6], s[0:1], v9, s7, 0
	v_mul_hi_u32 v8, v9, s10
	v_xor_b32_e32 v10, v7, v3
	v_xor_b32_e32 v3, s6, v3
	v_add_co_u32_e32 v11, vcc, v8, v5
	v_addc_co_u32_e32 v12, vcc, 0, v6, vcc
	v_mad_u64_u32 v[5:6], s[0:1], v10, s10, 0
	v_mad_u64_u32 v[7:8], s[0:1], v10, s7, 0
	v_add_co_u32_e32 v5, vcc, v11, v5
	v_addc_co_u32_e32 v5, vcc, v12, v6, vcc
	v_addc_co_u32_e32 v6, vcc, 0, v8, vcc
	v_add_co_u32_e32 v7, vcc, v5, v7
	v_addc_co_u32_e32 v8, vcc, 0, v6, vcc
	v_mul_lo_u32 v11, s9, v7
	v_mul_lo_u32 v12, s8, v8
	v_mad_u64_u32 v[5:6], s[0:1], s8, v7, 0
	v_add3_u32 v6, v6, v12, v11
	v_sub_u32_e32 v11, v10, v6
	v_mov_b32_e32 v12, s9
	v_sub_co_u32_e32 v5, vcc, v9, v5
	v_subb_co_u32_e64 v9, s[0:1], v11, v12, vcc
	v_subrev_co_u32_e64 v11, s[0:1], s8, v5
	v_subbrev_co_u32_e64 v9, s[0:1], 0, v9, s[0:1]
	v_cmp_le_u32_e64 s[0:1], s9, v9
	v_cndmask_b32_e64 v12, 0, -1, s[0:1]
	v_cmp_le_u32_e64 s[0:1], s8, v11
	v_cndmask_b32_e64 v11, 0, -1, s[0:1]
	v_cmp_eq_u32_e64 s[0:1], s9, v9
	v_cndmask_b32_e64 v9, v12, v11, s[0:1]
	v_add_co_u32_e64 v11, s[0:1], 2, v7
	v_subb_co_u32_e32 v6, vcc, v10, v6, vcc
	v_addc_co_u32_e64 v12, s[0:1], 0, v8, s[0:1]
	v_cmp_le_u32_e32 vcc, s9, v6
	v_add_co_u32_e64 v13, s[0:1], 1, v7
	v_cndmask_b32_e64 v10, 0, -1, vcc
	v_cmp_le_u32_e32 vcc, s8, v5
	v_addc_co_u32_e64 v14, s[0:1], 0, v8, s[0:1]
	v_cndmask_b32_e64 v5, 0, -1, vcc
	v_cmp_eq_u32_e32 vcc, s9, v6
	v_cmp_ne_u32_e64 s[0:1], 0, v9
	v_cndmask_b32_e32 v5, v10, v5, vcc
	v_cmp_ne_u32_e32 vcc, 0, v5
	v_cndmask_b32_e64 v6, v13, v11, s[0:1]
	v_cndmask_b32_e64 v9, v14, v12, s[0:1]
	v_cndmask_b32_e32 v6, v7, v6, vcc
	v_cndmask_b32_e32 v5, v8, v9, vcc
	v_xor_b32_e32 v6, v6, v3
	v_xor_b32_e32 v5, v5, v3
	v_sub_co_u32_e32 v8, vcc, v6, v3
	v_subb_co_u32_e32 v9, vcc, v5, v3, vcc
.LBB49_9:                               ;   in Loop: Header=BB49_3 Depth=1
	s_andn2_saveexec_b64 s[0:1], s[2:3]
	s_cbranch_execz .LBB49_11
; %bb.10:                               ;   in Loop: Header=BB49_3 Depth=1
	v_cvt_f32_u32_e32 v3, s18
	s_sub_i32 s2, 0, s18
	v_mov_b32_e32 v9, v2
	v_rcp_iflag_f32_e32 v3, v3
	v_mul_f32_e32 v3, 0x4f7ffffe, v3
	v_cvt_u32_f32_e32 v3, v3
	v_mul_lo_u32 v5, s2, v3
	v_mul_hi_u32 v5, v3, v5
	v_add_u32_e32 v3, v3, v5
	v_mul_hi_u32 v3, v4, v3
	v_mul_lo_u32 v5, v3, s18
	v_add_u32_e32 v6, 1, v3
	v_sub_u32_e32 v5, v4, v5
	v_subrev_u32_e32 v7, s18, v5
	v_cmp_le_u32_e32 vcc, s18, v5
	v_cndmask_b32_e32 v5, v5, v7, vcc
	v_cndmask_b32_e32 v3, v3, v6, vcc
	v_add_u32_e32 v6, 1, v3
	v_cmp_le_u32_e32 vcc, s18, v5
	v_cndmask_b32_e32 v8, v3, v6, vcc
.LBB49_11:                              ;   in Loop: Header=BB49_3 Depth=1
	s_or_b64 exec, exec, s[0:1]
	v_mad_u64_u32 v[5:6], s[0:1], v4, s33, 0
	v_mad_u64_u32 v[6:7], s[0:1], v8, s18, 0
	v_sub_co_u32_e32 v18, vcc, v0, v5
	v_mul_lo_u32 v3, s50, v18
	v_sub_co_u32_e32 v19, vcc, v4, v6
	v_mul_lo_u32 v4, s52, v18
	s_andn2_b64 vcc, exec, s[20:21]
	v_mad_u64_u32 v[6:7], s[0:1], s22, v19, v[3:4]
	v_mad_u64_u32 v[4:5], s[0:1], s24, v19, v[4:5]
	s_cbranch_vccnz .LBB49_39
; %bb.12:                               ;   in Loop: Header=BB49_3 Depth=1
	s_mov_b32 s39, 1
	s_andn2_b64 vcc, exec, s[30:31]
	s_mov_b32 s28, s46
	s_mov_b32 s0, s46
	s_cbranch_vccnz .LBB49_20
.LBB49_13:                              ;   Parent Loop BB49_3 Depth=1
                                        ; =>  This Inner Loop Header: Depth=2
	s_lshl_b64 s[2:3], s[28:29], 2
	s_add_u32 s6, s42, s2
	s_addc_u32 s7, s43, s3
	s_load_dword s53, s[6:7], 0x8
                                        ; implicit-def: $vgpr10_vgpr11
	s_waitcnt lgkmcnt(0)
	s_ashr_i32 s0, s53, 31
	v_or_b32_e32 v3, s0, v9
	v_cmp_ne_u64_e32 vcc, 0, v[2:3]
	s_and_saveexec_b64 s[8:9], vcc
	s_xor_b64 s[8:9], exec, s[8:9]
	s_cbranch_execz .LBB49_15
; %bb.14:                               ;   in Loop: Header=BB49_13 Depth=2
	s_ashr_i32 s10, s0, 31
	s_add_u32 s40, s53, s10
	s_mov_b32 s11, s10
	s_addc_u32 s41, s0, s10
	s_xor_b64 s[40:41], s[40:41], s[10:11]
	v_cvt_f32_u32_e32 v3, s40
	v_cvt_f32_u32_e32 v5, s41
	s_sub_u32 s11, 0, s40
	s_subb_u32 s54, 0, s41
	v_mac_f32_e32 v3, 0x4f800000, v5
	v_rcp_f32_e32 v3, v3
	v_mul_f32_e32 v3, 0x5f7ffffc, v3
	v_mul_f32_e32 v5, 0x2f800000, v3
	v_trunc_f32_e32 v5, v5
	v_mac_f32_e32 v3, 0xcf800000, v5
	v_cvt_u32_f32_e32 v5, v5
	v_cvt_u32_f32_e32 v3, v3
	v_readfirstlane_b32 s55, v5
	v_readfirstlane_b32 s0, v3
	s_mul_i32 s1, s11, s55
	s_mul_hi_u32 s57, s11, s0
	s_mul_i32 s56, s54, s0
	s_add_i32 s1, s57, s1
	s_add_i32 s1, s1, s56
	s_mul_i32 s58, s11, s0
	s_mul_i32 s57, s0, s1
	s_mul_hi_u32 s59, s0, s58
	s_mul_hi_u32 s56, s0, s1
	s_add_u32 s57, s59, s57
	s_addc_u32 s56, 0, s56
	s_mul_hi_u32 s60, s55, s58
	s_mul_i32 s58, s55, s58
	s_add_u32 s57, s57, s58
	s_mul_hi_u32 s59, s55, s1
	s_addc_u32 s56, s56, s60
	s_addc_u32 s57, s59, 0
	s_mul_i32 s1, s55, s1
	s_add_u32 s1, s56, s1
	s_addc_u32 s56, 0, s57
	s_add_u32 s57, s0, s1
	s_cselect_b64 s[0:1], -1, 0
	s_cmp_lg_u64 s[0:1], 0
	s_addc_u32 s55, s55, s56
	s_mul_i32 s0, s11, s55
	s_mul_hi_u32 s1, s11, s57
	s_add_i32 s0, s1, s0
	s_mul_i32 s54, s54, s57
	s_add_i32 s0, s0, s54
	s_mul_i32 s11, s11, s57
	s_mul_hi_u32 s54, s55, s11
	s_mul_i32 s56, s55, s11
	s_mul_i32 s59, s57, s0
	s_mul_hi_u32 s11, s57, s11
	s_mul_hi_u32 s58, s57, s0
	s_add_u32 s11, s11, s59
	s_addc_u32 s58, 0, s58
	s_add_u32 s11, s11, s56
	s_mul_hi_u32 s1, s55, s0
	s_addc_u32 s11, s58, s54
	s_addc_u32 s1, s1, 0
	s_mul_i32 s0, s55, s0
	s_add_u32 s0, s11, s0
	s_addc_u32 s11, 0, s1
	s_add_u32 s54, s57, s0
	s_cselect_b64 s[0:1], -1, 0
	v_ashrrev_i32_e32 v3, 31, v9
	s_cmp_lg_u64 s[0:1], 0
	v_add_co_u32_e32 v5, vcc, v8, v3
	s_addc_u32 s11, s55, s11
	v_xor_b32_e32 v5, v5, v3
	v_addc_co_u32_e32 v7, vcc, v9, v3, vcc
	v_mad_u64_u32 v[9:10], s[0:1], v5, s11, 0
	v_mul_hi_u32 v11, v5, s54
	v_xor_b32_e32 v7, v7, v3
	v_xor_b32_e32 v3, s10, v3
	v_add_co_u32_e32 v13, vcc, v11, v9
	v_addc_co_u32_e32 v14, vcc, 0, v10, vcc
	v_mad_u64_u32 v[9:10], s[0:1], v7, s54, 0
	v_mad_u64_u32 v[11:12], s[0:1], v7, s11, 0
	v_add_co_u32_e32 v9, vcc, v13, v9
	v_addc_co_u32_e32 v9, vcc, v14, v10, vcc
	v_addc_co_u32_e32 v10, vcc, 0, v12, vcc
	v_add_co_u32_e32 v11, vcc, v9, v11
	v_addc_co_u32_e32 v12, vcc, 0, v10, vcc
	v_mul_lo_u32 v13, s41, v11
	v_mul_lo_u32 v14, s40, v12
	v_mad_u64_u32 v[9:10], s[0:1], s40, v11, 0
	v_add3_u32 v10, v10, v14, v13
	v_sub_u32_e32 v13, v7, v10
	v_mov_b32_e32 v14, s41
	v_sub_co_u32_e32 v5, vcc, v5, v9
	v_subb_co_u32_e64 v9, s[0:1], v13, v14, vcc
	v_subrev_co_u32_e64 v13, s[0:1], s40, v5
	v_subbrev_co_u32_e64 v9, s[0:1], 0, v9, s[0:1]
	v_cmp_le_u32_e64 s[0:1], s41, v9
	v_cndmask_b32_e64 v14, 0, -1, s[0:1]
	v_cmp_le_u32_e64 s[0:1], s40, v13
	v_cndmask_b32_e64 v13, 0, -1, s[0:1]
	v_cmp_eq_u32_e64 s[0:1], s41, v9
	v_cndmask_b32_e64 v9, v14, v13, s[0:1]
	v_add_co_u32_e64 v13, s[0:1], 2, v11
	v_subb_co_u32_e32 v7, vcc, v7, v10, vcc
	v_addc_co_u32_e64 v14, s[0:1], 0, v12, s[0:1]
	v_cmp_le_u32_e32 vcc, s41, v7
	v_add_co_u32_e64 v15, s[0:1], 1, v11
	v_cndmask_b32_e64 v10, 0, -1, vcc
	v_cmp_le_u32_e32 vcc, s40, v5
	v_addc_co_u32_e64 v16, s[0:1], 0, v12, s[0:1]
	v_cndmask_b32_e64 v5, 0, -1, vcc
	v_cmp_eq_u32_e32 vcc, s41, v7
	v_cmp_ne_u32_e64 s[0:1], 0, v9
	v_cndmask_b32_e32 v5, v10, v5, vcc
	v_cmp_ne_u32_e32 vcc, 0, v5
	v_cndmask_b32_e64 v7, v15, v13, s[0:1]
	v_cndmask_b32_e64 v9, v16, v14, s[0:1]
	v_cndmask_b32_e32 v7, v11, v7, vcc
	v_cndmask_b32_e32 v5, v12, v9, vcc
	v_xor_b32_e32 v7, v7, v3
	v_xor_b32_e32 v5, v5, v3
	v_sub_co_u32_e32 v10, vcc, v7, v3
	v_subb_co_u32_e32 v11, vcc, v5, v3, vcc
.LBB49_15:                              ;   in Loop: Header=BB49_13 Depth=2
	s_andn2_saveexec_b64 s[0:1], s[8:9]
	s_cbranch_execz .LBB49_17
; %bb.16:                               ;   in Loop: Header=BB49_13 Depth=2
	v_cvt_f32_u32_e32 v3, s53
	s_sub_i32 s8, 0, s53
	v_mov_b32_e32 v11, v2
	v_rcp_iflag_f32_e32 v3, v3
	v_mul_f32_e32 v3, 0x4f7ffffe, v3
	v_cvt_u32_f32_e32 v3, v3
	v_mul_lo_u32 v5, s8, v3
	v_mul_hi_u32 v5, v3, v5
	v_add_u32_e32 v3, v3, v5
	v_mul_hi_u32 v3, v8, v3
	v_mul_lo_u32 v5, v3, s53
	v_add_u32_e32 v7, 1, v3
	v_sub_u32_e32 v5, v8, v5
	v_subrev_u32_e32 v9, s53, v5
	v_cmp_le_u32_e32 vcc, s53, v5
	v_cndmask_b32_e32 v5, v5, v9, vcc
	v_cndmask_b32_e32 v3, v3, v7, vcc
	v_add_u32_e32 v7, 1, v3
	v_cmp_le_u32_e32 vcc, s53, v5
	v_cndmask_b32_e32 v10, v3, v7, vcc
.LBB49_17:                              ;   in Loop: Header=BB49_13 Depth=2
	s_or_b64 exec, exec, s[0:1]
	s_add_u32 s0, s4, s2
	s_addc_u32 s1, s5, s3
	v_mul_lo_u32 v3, v10, s53
	s_load_dword s6, s[6:7], 0x6c
	s_add_i32 s28, s28, -1
	s_load_dword s2, s[0:1], 0x6c
	v_sub_u32_e32 v3, v8, v3
	s_waitcnt lgkmcnt(0)
	v_mad_u64_u32 v[6:7], s[0:1], s6, v3, v[6:7]
	v_mad_u64_u32 v[4:5], s[0:1], s2, v3, v[4:5]
	s_xor_b32 s0, s48, s39
	s_add_i32 s39, s39, 1
	s_cmp_lg_u32 s0, 2
	s_cbranch_scc0 .LBB49_19
; %bb.18:                               ;   in Loop: Header=BB49_13 Depth=2
	v_mov_b32_e32 v8, v10
	v_mov_b32_e32 v9, v11
	s_branch .LBB49_13
.LBB49_19:                              ;   in Loop: Header=BB49_3 Depth=1
	v_mov_b32_e32 v8, v10
	s_mov_b32 s0, s28
	v_mov_b32_e32 v9, v11
.LBB49_20:                              ;   in Loop: Header=BB49_3 Depth=1
	s_and_b64 vcc, exec, s[34:35]
	s_mov_b32 s28, s0
	s_cbranch_vccz .LBB49_39
.LBB49_21:                              ;   Parent Loop BB49_3 Depth=1
                                        ; =>  This Inner Loop Header: Depth=2
	s_lshl_b64 s[2:3], s[28:29], 2
	s_add_u32 s6, s42, s2
	s_addc_u32 s7, s43, s3
	s_load_dword s39, s[6:7], 0x8
                                        ; implicit-def: $vgpr10_vgpr11
	s_waitcnt lgkmcnt(0)
	s_ashr_i32 s0, s39, 31
	v_or_b32_e32 v3, s0, v9
	v_cmp_ne_u64_e32 vcc, 0, v[2:3]
	s_and_saveexec_b64 s[8:9], vcc
	s_xor_b64 s[8:9], exec, s[8:9]
	s_cbranch_execz .LBB49_23
; %bb.22:                               ;   in Loop: Header=BB49_21 Depth=2
	s_ashr_i32 s10, s0, 31
	s_add_u32 s40, s39, s10
	s_mov_b32 s11, s10
	s_addc_u32 s41, s0, s10
	s_xor_b64 s[40:41], s[40:41], s[10:11]
	v_cvt_f32_u32_e32 v3, s40
	v_cvt_f32_u32_e32 v5, s41
	s_sub_u32 s11, 0, s40
	s_subb_u32 s53, 0, s41
	v_mac_f32_e32 v3, 0x4f800000, v5
	v_rcp_f32_e32 v3, v3
	v_mul_f32_e32 v3, 0x5f7ffffc, v3
	v_mul_f32_e32 v5, 0x2f800000, v3
	v_trunc_f32_e32 v5, v5
	v_mac_f32_e32 v3, 0xcf800000, v5
	v_cvt_u32_f32_e32 v5, v5
	v_cvt_u32_f32_e32 v3, v3
	v_readfirstlane_b32 s54, v5
	v_readfirstlane_b32 s0, v3
	s_mul_i32 s1, s11, s54
	s_mul_hi_u32 s56, s11, s0
	s_mul_i32 s55, s53, s0
	s_add_i32 s1, s56, s1
	s_add_i32 s1, s1, s55
	s_mul_i32 s57, s11, s0
	s_mul_i32 s56, s0, s1
	s_mul_hi_u32 s58, s0, s57
	s_mul_hi_u32 s55, s0, s1
	s_add_u32 s56, s58, s56
	s_addc_u32 s55, 0, s55
	s_mul_hi_u32 s59, s54, s57
	s_mul_i32 s57, s54, s57
	s_add_u32 s56, s56, s57
	s_mul_hi_u32 s58, s54, s1
	s_addc_u32 s55, s55, s59
	s_addc_u32 s56, s58, 0
	s_mul_i32 s1, s54, s1
	s_add_u32 s1, s55, s1
	s_addc_u32 s55, 0, s56
	s_add_u32 s56, s0, s1
	s_cselect_b64 s[0:1], -1, 0
	s_cmp_lg_u64 s[0:1], 0
	s_addc_u32 s54, s54, s55
	s_mul_i32 s0, s11, s54
	s_mul_hi_u32 s1, s11, s56
	s_add_i32 s0, s1, s0
	s_mul_i32 s53, s53, s56
	s_add_i32 s0, s0, s53
	s_mul_i32 s11, s11, s56
	s_mul_hi_u32 s53, s54, s11
	s_mul_i32 s55, s54, s11
	s_mul_i32 s58, s56, s0
	s_mul_hi_u32 s11, s56, s11
	s_mul_hi_u32 s57, s56, s0
	s_add_u32 s11, s11, s58
	s_addc_u32 s57, 0, s57
	s_add_u32 s11, s11, s55
	s_mul_hi_u32 s1, s54, s0
	s_addc_u32 s11, s57, s53
	s_addc_u32 s1, s1, 0
	s_mul_i32 s0, s54, s0
	s_add_u32 s0, s11, s0
	s_addc_u32 s11, 0, s1
	s_add_u32 s53, s56, s0
	s_cselect_b64 s[0:1], -1, 0
	v_ashrrev_i32_e32 v3, 31, v9
	s_cmp_lg_u64 s[0:1], 0
	v_add_co_u32_e32 v5, vcc, v8, v3
	s_addc_u32 s11, s54, s11
	v_xor_b32_e32 v5, v5, v3
	v_addc_co_u32_e32 v7, vcc, v9, v3, vcc
	v_mad_u64_u32 v[9:10], s[0:1], v5, s11, 0
	v_mul_hi_u32 v11, v5, s53
	v_xor_b32_e32 v7, v7, v3
	v_xor_b32_e32 v3, s10, v3
	v_add_co_u32_e32 v13, vcc, v11, v9
	v_addc_co_u32_e32 v14, vcc, 0, v10, vcc
	v_mad_u64_u32 v[9:10], s[0:1], v7, s53, 0
	v_mad_u64_u32 v[11:12], s[0:1], v7, s11, 0
	v_add_co_u32_e32 v9, vcc, v13, v9
	v_addc_co_u32_e32 v9, vcc, v14, v10, vcc
	v_addc_co_u32_e32 v10, vcc, 0, v12, vcc
	v_add_co_u32_e32 v11, vcc, v9, v11
	v_addc_co_u32_e32 v12, vcc, 0, v10, vcc
	v_mul_lo_u32 v13, s41, v11
	v_mul_lo_u32 v14, s40, v12
	v_mad_u64_u32 v[9:10], s[0:1], s40, v11, 0
	v_add3_u32 v10, v10, v14, v13
	v_sub_u32_e32 v13, v7, v10
	v_mov_b32_e32 v14, s41
	v_sub_co_u32_e32 v5, vcc, v5, v9
	v_subb_co_u32_e64 v9, s[0:1], v13, v14, vcc
	v_subrev_co_u32_e64 v13, s[0:1], s40, v5
	v_subbrev_co_u32_e64 v9, s[0:1], 0, v9, s[0:1]
	v_cmp_le_u32_e64 s[0:1], s41, v9
	v_cndmask_b32_e64 v14, 0, -1, s[0:1]
	v_cmp_le_u32_e64 s[0:1], s40, v13
	v_cndmask_b32_e64 v13, 0, -1, s[0:1]
	v_cmp_eq_u32_e64 s[0:1], s41, v9
	v_cndmask_b32_e64 v9, v14, v13, s[0:1]
	v_add_co_u32_e64 v13, s[0:1], 2, v11
	v_subb_co_u32_e32 v7, vcc, v7, v10, vcc
	v_addc_co_u32_e64 v14, s[0:1], 0, v12, s[0:1]
	v_cmp_le_u32_e32 vcc, s41, v7
	v_add_co_u32_e64 v15, s[0:1], 1, v11
	v_cndmask_b32_e64 v10, 0, -1, vcc
	v_cmp_le_u32_e32 vcc, s40, v5
	v_addc_co_u32_e64 v16, s[0:1], 0, v12, s[0:1]
	v_cndmask_b32_e64 v5, 0, -1, vcc
	v_cmp_eq_u32_e32 vcc, s41, v7
	v_cmp_ne_u32_e64 s[0:1], 0, v9
	v_cndmask_b32_e32 v5, v10, v5, vcc
	v_cmp_ne_u32_e32 vcc, 0, v5
	v_cndmask_b32_e64 v7, v15, v13, s[0:1]
	v_cndmask_b32_e64 v9, v16, v14, s[0:1]
	v_cndmask_b32_e32 v7, v11, v7, vcc
	v_cndmask_b32_e32 v5, v12, v9, vcc
	v_xor_b32_e32 v7, v7, v3
	v_xor_b32_e32 v5, v5, v3
	v_sub_co_u32_e32 v10, vcc, v7, v3
	v_subb_co_u32_e32 v11, vcc, v5, v3, vcc
.LBB49_23:                              ;   in Loop: Header=BB49_21 Depth=2
	s_andn2_saveexec_b64 s[0:1], s[8:9]
	s_cbranch_execz .LBB49_25
; %bb.24:                               ;   in Loop: Header=BB49_21 Depth=2
	v_cvt_f32_u32_e32 v3, s39
	s_sub_i32 s8, 0, s39
	v_mov_b32_e32 v11, v2
	v_rcp_iflag_f32_e32 v3, v3
	v_mul_f32_e32 v3, 0x4f7ffffe, v3
	v_cvt_u32_f32_e32 v3, v3
	v_mul_lo_u32 v5, s8, v3
	v_mul_hi_u32 v5, v3, v5
	v_add_u32_e32 v3, v3, v5
	v_mul_hi_u32 v3, v8, v3
	v_mul_lo_u32 v5, v3, s39
	v_add_u32_e32 v7, 1, v3
	v_sub_u32_e32 v5, v8, v5
	v_subrev_u32_e32 v9, s39, v5
	v_cmp_le_u32_e32 vcc, s39, v5
	v_cndmask_b32_e32 v5, v5, v9, vcc
	v_cndmask_b32_e32 v3, v3, v7, vcc
	v_add_u32_e32 v7, 1, v3
	v_cmp_le_u32_e32 vcc, s39, v5
	v_cndmask_b32_e32 v10, v3, v7, vcc
.LBB49_25:                              ;   in Loop: Header=BB49_21 Depth=2
	s_or_b64 exec, exec, s[0:1]
	s_add_u32 s0, s4, s2
	s_addc_u32 s1, s5, s3
	s_add_i32 s2, s28, -1
	s_mov_b32 s3, s29
	s_lshl_b64 s[8:9], s[2:3], 2
	s_add_u32 s2, s42, s8
	s_addc_u32 s3, s43, s9
	s_load_dword s55, s[2:3], 0x8
	s_load_dword s54, s[6:7], 0x6c
	;; [unrolled: 1-line block ×3, first 2 shown]
                                        ; implicit-def: $vgpr12_vgpr13
	s_waitcnt lgkmcnt(0)
	s_ashr_i32 s0, s55, 31
	v_or_b32_e32 v3, s0, v11
	v_cmp_ne_u64_e32 vcc, 0, v[2:3]
	s_and_saveexec_b64 s[6:7], vcc
	s_xor_b64 s[6:7], exec, s[6:7]
	s_cbranch_execz .LBB49_27
; %bb.26:                               ;   in Loop: Header=BB49_21 Depth=2
	s_ashr_i32 s10, s0, 31
	s_add_u32 s40, s55, s10
	s_mov_b32 s11, s10
	s_addc_u32 s41, s0, s10
	s_xor_b64 s[40:41], s[40:41], s[10:11]
	v_cvt_f32_u32_e32 v3, s40
	v_cvt_f32_u32_e32 v5, s41
	s_sub_u32 s11, 0, s40
	s_subb_u32 s56, 0, s41
	v_mac_f32_e32 v3, 0x4f800000, v5
	v_rcp_f32_e32 v3, v3
	v_mul_f32_e32 v3, 0x5f7ffffc, v3
	v_mul_f32_e32 v5, 0x2f800000, v3
	v_trunc_f32_e32 v5, v5
	v_mac_f32_e32 v3, 0xcf800000, v5
	v_cvt_u32_f32_e32 v5, v5
	v_cvt_u32_f32_e32 v3, v3
	v_readfirstlane_b32 s57, v5
	v_readfirstlane_b32 s0, v3
	s_mul_i32 s1, s11, s57
	s_mul_hi_u32 s59, s11, s0
	s_mul_i32 s58, s56, s0
	s_add_i32 s1, s59, s1
	s_add_i32 s1, s1, s58
	s_mul_i32 s60, s11, s0
	s_mul_i32 s59, s0, s1
	s_mul_hi_u32 s61, s0, s60
	s_mul_hi_u32 s58, s0, s1
	s_add_u32 s59, s61, s59
	s_addc_u32 s58, 0, s58
	s_mul_hi_u32 s62, s57, s60
	s_mul_i32 s60, s57, s60
	s_add_u32 s59, s59, s60
	s_mul_hi_u32 s61, s57, s1
	s_addc_u32 s58, s58, s62
	s_addc_u32 s59, s61, 0
	s_mul_i32 s1, s57, s1
	s_add_u32 s1, s58, s1
	s_addc_u32 s58, 0, s59
	s_add_u32 s59, s0, s1
	s_cselect_b64 s[0:1], -1, 0
	s_cmp_lg_u64 s[0:1], 0
	s_addc_u32 s57, s57, s58
	s_mul_i32 s0, s11, s57
	s_mul_hi_u32 s1, s11, s59
	s_add_i32 s0, s1, s0
	s_mul_i32 s56, s56, s59
	s_add_i32 s0, s0, s56
	s_mul_i32 s11, s11, s59
	s_mul_hi_u32 s56, s57, s11
	s_mul_i32 s58, s57, s11
	s_mul_i32 s61, s59, s0
	s_mul_hi_u32 s11, s59, s11
	s_mul_hi_u32 s60, s59, s0
	s_add_u32 s11, s11, s61
	s_addc_u32 s60, 0, s60
	s_add_u32 s11, s11, s58
	s_mul_hi_u32 s1, s57, s0
	s_addc_u32 s11, s60, s56
	s_addc_u32 s1, s1, 0
	s_mul_i32 s0, s57, s0
	s_add_u32 s0, s11, s0
	s_addc_u32 s11, 0, s1
	s_add_u32 s56, s59, s0
	s_cselect_b64 s[0:1], -1, 0
	v_ashrrev_i32_e32 v3, 31, v11
	s_cmp_lg_u64 s[0:1], 0
	v_add_co_u32_e32 v5, vcc, v10, v3
	s_addc_u32 s11, s57, s11
	v_xor_b32_e32 v5, v5, v3
	v_addc_co_u32_e32 v7, vcc, v11, v3, vcc
	v_mad_u64_u32 v[11:12], s[0:1], v5, s11, 0
	v_mul_hi_u32 v9, v5, s56
	v_xor_b32_e32 v7, v7, v3
	v_mad_u64_u32 v[13:14], s[0:1], v7, s11, 0
	v_add_co_u32_e32 v9, vcc, v9, v11
	v_addc_co_u32_e32 v15, vcc, 0, v12, vcc
	v_mad_u64_u32 v[11:12], s[0:1], v7, s56, 0
	v_xor_b32_e32 v3, s10, v3
	v_add_co_u32_e32 v9, vcc, v9, v11
	v_addc_co_u32_e32 v9, vcc, v15, v12, vcc
	v_addc_co_u32_e32 v11, vcc, 0, v14, vcc
	v_add_co_u32_e32 v9, vcc, v9, v13
	v_addc_co_u32_e32 v13, vcc, 0, v11, vcc
	v_mul_lo_u32 v14, s41, v9
	v_mul_lo_u32 v15, s40, v13
	v_mad_u64_u32 v[11:12], s[0:1], s40, v9, 0
	v_add3_u32 v12, v12, v15, v14
	v_sub_u32_e32 v14, v7, v12
	v_mov_b32_e32 v15, s41
	v_sub_co_u32_e32 v5, vcc, v5, v11
	v_subb_co_u32_e64 v11, s[0:1], v14, v15, vcc
	v_subrev_co_u32_e64 v14, s[0:1], s40, v5
	v_subbrev_co_u32_e64 v11, s[0:1], 0, v11, s[0:1]
	v_cmp_le_u32_e64 s[0:1], s41, v11
	v_cndmask_b32_e64 v15, 0, -1, s[0:1]
	v_cmp_le_u32_e64 s[0:1], s40, v14
	v_cndmask_b32_e64 v14, 0, -1, s[0:1]
	v_cmp_eq_u32_e64 s[0:1], s41, v11
	v_cndmask_b32_e64 v11, v15, v14, s[0:1]
	v_add_co_u32_e64 v14, s[0:1], 2, v9
	v_subb_co_u32_e32 v7, vcc, v7, v12, vcc
	v_addc_co_u32_e64 v15, s[0:1], 0, v13, s[0:1]
	v_cmp_le_u32_e32 vcc, s41, v7
	v_add_co_u32_e64 v16, s[0:1], 1, v9
	v_cndmask_b32_e64 v12, 0, -1, vcc
	v_cmp_le_u32_e32 vcc, s40, v5
	v_addc_co_u32_e64 v17, s[0:1], 0, v13, s[0:1]
	v_cndmask_b32_e64 v5, 0, -1, vcc
	v_cmp_eq_u32_e32 vcc, s41, v7
	v_cmp_ne_u32_e64 s[0:1], 0, v11
	v_cndmask_b32_e32 v5, v12, v5, vcc
	v_cmp_ne_u32_e32 vcc, 0, v5
	v_cndmask_b32_e64 v7, v16, v14, s[0:1]
	v_cndmask_b32_e64 v11, v17, v15, s[0:1]
	v_cndmask_b32_e32 v7, v9, v7, vcc
	v_cndmask_b32_e32 v5, v13, v11, vcc
	v_xor_b32_e32 v7, v7, v3
	v_xor_b32_e32 v5, v5, v3
	v_sub_co_u32_e32 v12, vcc, v7, v3
	v_subb_co_u32_e32 v13, vcc, v5, v3, vcc
.LBB49_27:                              ;   in Loop: Header=BB49_21 Depth=2
	s_andn2_saveexec_b64 s[0:1], s[6:7]
	s_cbranch_execz .LBB49_29
; %bb.28:                               ;   in Loop: Header=BB49_21 Depth=2
	v_cvt_f32_u32_e32 v3, s55
	s_sub_i32 s6, 0, s55
	v_mov_b32_e32 v13, v2
	v_rcp_iflag_f32_e32 v3, v3
	v_mul_f32_e32 v3, 0x4f7ffffe, v3
	v_cvt_u32_f32_e32 v3, v3
	v_mul_lo_u32 v5, s6, v3
	v_mul_hi_u32 v5, v3, v5
	v_add_u32_e32 v3, v3, v5
	v_mul_hi_u32 v3, v10, v3
	v_mul_lo_u32 v5, v3, s55
	v_add_u32_e32 v7, 1, v3
	v_sub_u32_e32 v5, v10, v5
	v_subrev_u32_e32 v9, s55, v5
	v_cmp_le_u32_e32 vcc, s55, v5
	v_cndmask_b32_e32 v5, v5, v9, vcc
	v_cndmask_b32_e32 v3, v3, v7, vcc
	v_add_u32_e32 v7, 1, v3
	v_cmp_le_u32_e32 vcc, s55, v5
	v_cndmask_b32_e32 v12, v3, v7, vcc
.LBB49_29:                              ;   in Loop: Header=BB49_21 Depth=2
	s_or_b64 exec, exec, s[0:1]
	s_add_u32 s0, s4, s8
	s_addc_u32 s1, s5, s9
	s_add_i32 s6, s28, -2
	s_mov_b32 s7, s29
	s_lshl_b64 s[6:7], s[6:7], 2
	s_add_u32 s8, s42, s6
	s_addc_u32 s9, s43, s7
	s_load_dword s57, s[8:9], 0x8
	s_load_dword s58, s[2:3], 0x6c
	;; [unrolled: 1-line block ×3, first 2 shown]
                                        ; implicit-def: $vgpr14_vgpr15
	s_waitcnt lgkmcnt(0)
	s_ashr_i32 s0, s57, 31
	v_or_b32_e32 v3, s0, v13
	v_cmp_ne_u64_e32 vcc, 0, v[2:3]
	s_and_saveexec_b64 s[2:3], vcc
	s_xor_b64 s[2:3], exec, s[2:3]
	s_cbranch_execz .LBB49_31
; %bb.30:                               ;   in Loop: Header=BB49_21 Depth=2
	s_ashr_i32 s10, s0, 31
	s_add_u32 s40, s57, s10
	s_mov_b32 s11, s10
	s_addc_u32 s41, s0, s10
	s_xor_b64 s[40:41], s[40:41], s[10:11]
	v_cvt_f32_u32_e32 v3, s40
	v_cvt_f32_u32_e32 v5, s41
	s_sub_u32 s11, 0, s40
	s_subb_u32 s59, 0, s41
	v_mac_f32_e32 v3, 0x4f800000, v5
	v_rcp_f32_e32 v3, v3
	v_mul_f32_e32 v3, 0x5f7ffffc, v3
	v_mul_f32_e32 v5, 0x2f800000, v3
	v_trunc_f32_e32 v5, v5
	v_mac_f32_e32 v3, 0xcf800000, v5
	v_cvt_u32_f32_e32 v5, v5
	v_cvt_u32_f32_e32 v3, v3
	v_readfirstlane_b32 s60, v5
	v_readfirstlane_b32 s0, v3
	s_mul_i32 s1, s11, s60
	s_mul_hi_u32 s62, s11, s0
	s_mul_i32 s61, s59, s0
	s_add_i32 s1, s62, s1
	s_add_i32 s1, s1, s61
	s_mul_i32 s63, s11, s0
	s_mul_i32 s62, s0, s1
	s_mul_hi_u32 s64, s0, s63
	s_mul_hi_u32 s61, s0, s1
	s_add_u32 s62, s64, s62
	s_addc_u32 s61, 0, s61
	s_mul_hi_u32 s65, s60, s63
	s_mul_i32 s63, s60, s63
	s_add_u32 s62, s62, s63
	s_mul_hi_u32 s64, s60, s1
	s_addc_u32 s61, s61, s65
	s_addc_u32 s62, s64, 0
	s_mul_i32 s1, s60, s1
	s_add_u32 s1, s61, s1
	s_addc_u32 s61, 0, s62
	s_add_u32 s62, s0, s1
	s_cselect_b64 s[0:1], -1, 0
	s_cmp_lg_u64 s[0:1], 0
	s_addc_u32 s60, s60, s61
	s_mul_i32 s0, s11, s60
	s_mul_hi_u32 s1, s11, s62
	s_add_i32 s0, s1, s0
	s_mul_i32 s59, s59, s62
	s_add_i32 s0, s0, s59
	s_mul_i32 s11, s11, s62
	s_mul_hi_u32 s59, s60, s11
	s_mul_i32 s61, s60, s11
	s_mul_i32 s64, s62, s0
	s_mul_hi_u32 s11, s62, s11
	s_mul_hi_u32 s63, s62, s0
	s_add_u32 s11, s11, s64
	s_addc_u32 s63, 0, s63
	s_add_u32 s11, s11, s61
	s_mul_hi_u32 s1, s60, s0
	s_addc_u32 s11, s63, s59
	s_addc_u32 s1, s1, 0
	s_mul_i32 s0, s60, s0
	s_add_u32 s0, s11, s0
	s_addc_u32 s11, 0, s1
	s_add_u32 s59, s62, s0
	s_cselect_b64 s[0:1], -1, 0
	v_ashrrev_i32_e32 v3, 31, v13
	s_cmp_lg_u64 s[0:1], 0
	v_add_co_u32_e32 v5, vcc, v12, v3
	s_addc_u32 s11, s60, s11
	v_xor_b32_e32 v5, v5, v3
	v_addc_co_u32_e32 v7, vcc, v13, v3, vcc
	v_mad_u64_u32 v[13:14], s[0:1], v5, s11, 0
	v_mul_hi_u32 v9, v5, s59
	v_xor_b32_e32 v7, v7, v3
	v_mad_u64_u32 v[15:16], s[0:1], v7, s11, 0
	v_add_co_u32_e32 v9, vcc, v9, v13
	v_addc_co_u32_e32 v11, vcc, 0, v14, vcc
	v_mad_u64_u32 v[13:14], s[0:1], v7, s59, 0
	v_xor_b32_e32 v3, s10, v3
	v_add_co_u32_e32 v9, vcc, v9, v13
	v_addc_co_u32_e32 v9, vcc, v11, v14, vcc
	v_addc_co_u32_e32 v11, vcc, 0, v16, vcc
	v_add_co_u32_e32 v9, vcc, v9, v15
	v_addc_co_u32_e32 v11, vcc, 0, v11, vcc
	v_mul_lo_u32 v15, s41, v9
	v_mul_lo_u32 v16, s40, v11
	v_mad_u64_u32 v[13:14], s[0:1], s40, v9, 0
	v_add3_u32 v14, v14, v16, v15
	v_sub_u32_e32 v15, v7, v14
	v_mov_b32_e32 v16, s41
	v_sub_co_u32_e32 v5, vcc, v5, v13
	v_subb_co_u32_e64 v13, s[0:1], v15, v16, vcc
	v_subrev_co_u32_e64 v15, s[0:1], s40, v5
	v_subbrev_co_u32_e64 v13, s[0:1], 0, v13, s[0:1]
	v_cmp_le_u32_e64 s[0:1], s41, v13
	v_cndmask_b32_e64 v16, 0, -1, s[0:1]
	v_cmp_le_u32_e64 s[0:1], s40, v15
	v_cndmask_b32_e64 v15, 0, -1, s[0:1]
	v_cmp_eq_u32_e64 s[0:1], s41, v13
	v_cndmask_b32_e64 v13, v16, v15, s[0:1]
	v_add_co_u32_e64 v15, s[0:1], 2, v9
	v_subb_co_u32_e32 v7, vcc, v7, v14, vcc
	v_addc_co_u32_e64 v16, s[0:1], 0, v11, s[0:1]
	v_cmp_le_u32_e32 vcc, s41, v7
	v_add_co_u32_e64 v17, s[0:1], 1, v9
	v_cndmask_b32_e64 v14, 0, -1, vcc
	v_cmp_le_u32_e32 vcc, s40, v5
	v_addc_co_u32_e64 v20, s[0:1], 0, v11, s[0:1]
	v_cndmask_b32_e64 v5, 0, -1, vcc
	v_cmp_eq_u32_e32 vcc, s41, v7
	v_cmp_ne_u32_e64 s[0:1], 0, v13
	v_cndmask_b32_e32 v5, v14, v5, vcc
	v_cmp_ne_u32_e32 vcc, 0, v5
	v_cndmask_b32_e64 v7, v17, v15, s[0:1]
	v_cndmask_b32_e64 v13, v20, v16, s[0:1]
	v_cndmask_b32_e32 v7, v9, v7, vcc
	v_cndmask_b32_e32 v5, v11, v13, vcc
	v_xor_b32_e32 v7, v7, v3
	v_xor_b32_e32 v5, v5, v3
	v_sub_co_u32_e32 v14, vcc, v7, v3
	v_subb_co_u32_e32 v15, vcc, v5, v3, vcc
.LBB49_31:                              ;   in Loop: Header=BB49_21 Depth=2
	s_andn2_saveexec_b64 s[0:1], s[2:3]
	s_cbranch_execz .LBB49_33
; %bb.32:                               ;   in Loop: Header=BB49_21 Depth=2
	v_cvt_f32_u32_e32 v3, s57
	s_sub_i32 s2, 0, s57
	v_mov_b32_e32 v15, v2
	v_rcp_iflag_f32_e32 v3, v3
	v_mul_f32_e32 v3, 0x4f7ffffe, v3
	v_cvt_u32_f32_e32 v3, v3
	v_mul_lo_u32 v5, s2, v3
	v_mul_hi_u32 v5, v3, v5
	v_add_u32_e32 v3, v3, v5
	v_mul_hi_u32 v3, v12, v3
	v_mul_lo_u32 v5, v3, s57
	v_add_u32_e32 v7, 1, v3
	v_sub_u32_e32 v5, v12, v5
	v_subrev_u32_e32 v9, s57, v5
	v_cmp_le_u32_e32 vcc, s57, v5
	v_cndmask_b32_e32 v5, v5, v9, vcc
	v_cndmask_b32_e32 v3, v3, v7, vcc
	v_add_u32_e32 v7, 1, v3
	v_cmp_le_u32_e32 vcc, s57, v5
	v_cndmask_b32_e32 v14, v3, v7, vcc
.LBB49_33:                              ;   in Loop: Header=BB49_21 Depth=2
	s_or_b64 exec, exec, s[0:1]
	s_add_u32 s0, s4, s6
	s_addc_u32 s1, s5, s7
	s_add_i32 s2, s28, -3
	s_mov_b32 s3, s29
	s_lshl_b64 s[2:3], s[2:3], 2
	s_add_u32 s6, s42, s2
	s_addc_u32 s7, s43, s3
	s_load_dword s60, s[6:7], 0x8
	s_load_dword s61, s[8:9], 0x6c
	;; [unrolled: 1-line block ×3, first 2 shown]
                                        ; implicit-def: $vgpr16_vgpr17
	s_waitcnt lgkmcnt(0)
	s_ashr_i32 s0, s60, 31
	v_or_b32_e32 v3, s0, v15
	v_cmp_ne_u64_e32 vcc, 0, v[2:3]
	s_and_saveexec_b64 s[8:9], vcc
	s_xor_b64 s[8:9], exec, s[8:9]
	s_cbranch_execz .LBB49_35
; %bb.34:                               ;   in Loop: Header=BB49_21 Depth=2
	s_ashr_i32 s10, s0, 31
	s_add_u32 s40, s60, s10
	s_mov_b32 s11, s10
	s_addc_u32 s41, s0, s10
	s_xor_b64 s[40:41], s[40:41], s[10:11]
	v_cvt_f32_u32_e32 v3, s40
	v_cvt_f32_u32_e32 v5, s41
	s_sub_u32 s11, 0, s40
	s_subb_u32 s62, 0, s41
	v_mac_f32_e32 v3, 0x4f800000, v5
	v_rcp_f32_e32 v3, v3
	v_mul_f32_e32 v3, 0x5f7ffffc, v3
	v_mul_f32_e32 v5, 0x2f800000, v3
	v_trunc_f32_e32 v5, v5
	v_mac_f32_e32 v3, 0xcf800000, v5
	v_cvt_u32_f32_e32 v5, v5
	v_cvt_u32_f32_e32 v3, v3
	v_readfirstlane_b32 s63, v5
	v_readfirstlane_b32 s0, v3
	s_mul_i32 s1, s11, s63
	s_mul_hi_u32 s65, s11, s0
	s_mul_i32 s64, s62, s0
	s_add_i32 s1, s65, s1
	s_add_i32 s1, s1, s64
	s_mul_i32 s66, s11, s0
	s_mul_i32 s65, s0, s1
	s_mul_hi_u32 s67, s0, s66
	s_mul_hi_u32 s64, s0, s1
	s_add_u32 s65, s67, s65
	s_addc_u32 s64, 0, s64
	s_mul_hi_u32 s68, s63, s66
	s_mul_i32 s66, s63, s66
	s_add_u32 s65, s65, s66
	s_mul_hi_u32 s67, s63, s1
	s_addc_u32 s64, s64, s68
	s_addc_u32 s65, s67, 0
	s_mul_i32 s1, s63, s1
	s_add_u32 s1, s64, s1
	s_addc_u32 s64, 0, s65
	s_add_u32 s65, s0, s1
	s_cselect_b64 s[0:1], -1, 0
	s_cmp_lg_u64 s[0:1], 0
	s_addc_u32 s63, s63, s64
	s_mul_i32 s0, s11, s63
	s_mul_hi_u32 s1, s11, s65
	s_add_i32 s0, s1, s0
	s_mul_i32 s62, s62, s65
	s_add_i32 s0, s0, s62
	s_mul_i32 s11, s11, s65
	s_mul_hi_u32 s62, s63, s11
	s_mul_i32 s64, s63, s11
	s_mul_i32 s67, s65, s0
	s_mul_hi_u32 s11, s65, s11
	s_mul_hi_u32 s66, s65, s0
	s_add_u32 s11, s11, s67
	s_addc_u32 s66, 0, s66
	s_add_u32 s11, s11, s64
	s_mul_hi_u32 s1, s63, s0
	s_addc_u32 s11, s66, s62
	s_addc_u32 s1, s1, 0
	s_mul_i32 s0, s63, s0
	s_add_u32 s0, s11, s0
	s_addc_u32 s11, 0, s1
	s_add_u32 s62, s65, s0
	s_cselect_b64 s[0:1], -1, 0
	v_ashrrev_i32_e32 v3, 31, v15
	s_cmp_lg_u64 s[0:1], 0
	v_add_co_u32_e32 v5, vcc, v14, v3
	s_addc_u32 s11, s63, s11
	v_xor_b32_e32 v5, v5, v3
	v_addc_co_u32_e32 v7, vcc, v15, v3, vcc
	v_mad_u64_u32 v[15:16], s[0:1], v5, s11, 0
	v_mul_hi_u32 v9, v5, s62
	v_xor_b32_e32 v7, v7, v3
	v_mad_u64_u32 v[20:21], s[0:1], v7, s11, 0
	v_add_co_u32_e32 v9, vcc, v9, v15
	v_addc_co_u32_e32 v11, vcc, 0, v16, vcc
	v_mad_u64_u32 v[15:16], s[0:1], v7, s62, 0
	v_xor_b32_e32 v3, s10, v3
	v_add_co_u32_e32 v9, vcc, v9, v15
	v_addc_co_u32_e32 v9, vcc, v11, v16, vcc
	v_addc_co_u32_e32 v11, vcc, 0, v21, vcc
	v_add_co_u32_e32 v9, vcc, v9, v20
	v_addc_co_u32_e32 v11, vcc, 0, v11, vcc
	v_mul_lo_u32 v13, s41, v9
	v_mul_lo_u32 v17, s40, v11
	v_mad_u64_u32 v[15:16], s[0:1], s40, v9, 0
	v_add3_u32 v13, v16, v17, v13
	v_sub_u32_e32 v16, v7, v13
	v_mov_b32_e32 v17, s41
	v_sub_co_u32_e32 v5, vcc, v5, v15
	v_subb_co_u32_e64 v15, s[0:1], v16, v17, vcc
	v_subrev_co_u32_e64 v16, s[0:1], s40, v5
	v_subbrev_co_u32_e64 v15, s[0:1], 0, v15, s[0:1]
	v_cmp_le_u32_e64 s[0:1], s41, v15
	v_cndmask_b32_e64 v17, 0, -1, s[0:1]
	v_cmp_le_u32_e64 s[0:1], s40, v16
	v_cndmask_b32_e64 v16, 0, -1, s[0:1]
	v_cmp_eq_u32_e64 s[0:1], s41, v15
	v_cndmask_b32_e64 v15, v17, v16, s[0:1]
	v_add_co_u32_e64 v16, s[0:1], 2, v9
	v_subb_co_u32_e32 v7, vcc, v7, v13, vcc
	v_addc_co_u32_e64 v17, s[0:1], 0, v11, s[0:1]
	v_cmp_le_u32_e32 vcc, s41, v7
	v_add_co_u32_e64 v20, s[0:1], 1, v9
	v_cndmask_b32_e64 v13, 0, -1, vcc
	v_cmp_le_u32_e32 vcc, s40, v5
	v_addc_co_u32_e64 v21, s[0:1], 0, v11, s[0:1]
	v_cndmask_b32_e64 v5, 0, -1, vcc
	v_cmp_eq_u32_e32 vcc, s41, v7
	v_cmp_ne_u32_e64 s[0:1], 0, v15
	v_cndmask_b32_e32 v5, v13, v5, vcc
	v_cmp_ne_u32_e32 vcc, 0, v5
	v_cndmask_b32_e64 v7, v20, v16, s[0:1]
	v_cndmask_b32_e64 v15, v21, v17, s[0:1]
	v_cndmask_b32_e32 v7, v9, v7, vcc
	v_cndmask_b32_e32 v5, v11, v15, vcc
	v_xor_b32_e32 v7, v7, v3
	v_xor_b32_e32 v5, v5, v3
	v_sub_co_u32_e32 v16, vcc, v7, v3
	v_subb_co_u32_e32 v17, vcc, v5, v3, vcc
.LBB49_35:                              ;   in Loop: Header=BB49_21 Depth=2
	s_andn2_saveexec_b64 s[0:1], s[8:9]
	s_cbranch_execz .LBB49_37
; %bb.36:                               ;   in Loop: Header=BB49_21 Depth=2
	v_cvt_f32_u32_e32 v3, s60
	s_sub_i32 s8, 0, s60
	v_mov_b32_e32 v17, v2
	v_rcp_iflag_f32_e32 v3, v3
	v_mul_f32_e32 v3, 0x4f7ffffe, v3
	v_cvt_u32_f32_e32 v3, v3
	v_mul_lo_u32 v5, s8, v3
	v_mul_hi_u32 v5, v3, v5
	v_add_u32_e32 v3, v3, v5
	v_mul_hi_u32 v3, v14, v3
	v_mul_lo_u32 v5, v3, s60
	v_add_u32_e32 v7, 1, v3
	v_sub_u32_e32 v5, v14, v5
	v_subrev_u32_e32 v9, s60, v5
	v_cmp_le_u32_e32 vcc, s60, v5
	v_cndmask_b32_e32 v5, v5, v9, vcc
	v_cndmask_b32_e32 v3, v3, v7, vcc
	v_add_u32_e32 v7, 1, v3
	v_cmp_le_u32_e32 vcc, s60, v5
	v_cndmask_b32_e32 v16, v3, v7, vcc
.LBB49_37:                              ;   in Loop: Header=BB49_21 Depth=2
	s_or_b64 exec, exec, s[0:1]
	v_mul_lo_u32 v3, v10, s39
	v_mul_lo_u32 v5, v12, s55
	;; [unrolled: 1-line block ×3, first 2 shown]
	s_add_u32 s0, s4, s2
	v_sub_u32_e32 v3, v8, v3
	v_sub_u32_e32 v5, v10, v5
	v_mul_lo_u32 v7, s54, v3
	v_mul_lo_u32 v8, s58, v5
	s_addc_u32 s1, s5, s3
	s_load_dword s6, s[6:7], 0x6c
	v_mul_lo_u32 v3, s53, v3
	v_add3_u32 v6, v7, v6, v8
	v_sub_u32_e32 v7, v12, v9
	v_mul_lo_u32 v9, v16, s60
	s_load_dword s0, s[0:1], 0x6c
	v_mul_lo_u32 v5, s56, v5
	v_mul_lo_u32 v8, s61, v7
	v_sub_u32_e32 v9, v14, v9
	s_waitcnt lgkmcnt(0)
	v_mul_lo_u32 v10, s6, v9
	v_add3_u32 v3, v3, v4, v5
	v_mul_lo_u32 v4, s59, v7
	v_mul_lo_u32 v5, s0, v9
	s_add_i32 s28, s28, -4
	v_add3_u32 v6, v8, v6, v10
	s_cmp_eq_u32 s28, -1
	v_add3_u32 v4, v4, v3, v5
	s_cbranch_scc1 .LBB49_39
; %bb.38:                               ;   in Loop: Header=BB49_21 Depth=2
	v_mov_b32_e32 v8, v16
	v_mov_b32_e32 v9, v17
	s_branch .LBB49_21
.LBB49_39:                              ;   in Loop: Header=BB49_3 Depth=1
	v_sub_u32_e32 v7, v18, v19
	v_ashrrev_i32_e32 v8, 31, v7
	v_cmp_ge_i64_e32 vcc, s[12:13], v[7:8]
	v_mov_b32_e32 v3, 0
	s_and_saveexec_b64 s[40:41], vcc
	s_cbranch_execz .LBB49_49
; %bb.40:                               ;   in Loop: Header=BB49_3 Depth=1
	v_cmp_gt_i32_e32 vcc, s19, v18
	v_mov_b32_e32 v3, 0
	v_mov_b32_e32 v5, 0
	;; [unrolled: 1-line block ×4, first 2 shown]
	s_and_saveexec_b64 s[0:1], vcc
	s_cbranch_execz .LBB49_48
; %bb.41:                               ;   in Loop: Header=BB49_3 Depth=1
	v_ashrrev_i32_e32 v3, 31, v6
	v_mov_b32_e32 v5, s17
	v_add_co_u32_e32 v9, vcc, s16, v6
	v_addc_co_u32_e32 v10, vcc, v5, v3, vcc
	global_load_ubyte v3, v[9:10], off
	v_add_u32_e32 v11, 1, v18
	v_mov_b32_e32 v5, 0
	v_cmp_gt_i32_e32 vcc, s19, v11
	v_mov_b32_e32 v11, 0
	v_mov_b32_e32 v12, 0
	s_and_saveexec_b64 s[2:3], vcc
	s_xor_b64 s[2:3], exec, s[2:3]
	s_cbranch_execz .LBB49_47
; %bb.42:                               ;   in Loop: Header=BB49_3 Depth=1
	v_mov_b32_e32 v5, s49
	v_add_co_u32_e32 v9, vcc, s50, v9
	v_addc_co_u32_e32 v10, vcc, v10, v5, vcc
	global_load_ubyte v5, v[9:10], off
	v_add_u32_e32 v9, 2, v18
	v_mov_b32_e32 v11, 0
	v_cmp_gt_i32_e32 vcc, s19, v9
	v_mov_b32_e32 v12, 0
	s_and_saveexec_b64 s[6:7], vcc
	s_xor_b64 s[6:7], exec, s[6:7]
	s_cbranch_execz .LBB49_46
; %bb.43:                               ;   in Loop: Header=BB49_3 Depth=1
	v_add_u32_e32 v6, s23, v6
	v_ashrrev_i32_e32 v10, 31, v6
	v_mov_b32_e32 v11, s17
	v_add_co_u32_e32 v9, vcc, s16, v6
	v_addc_co_u32_e32 v10, vcc, v11, v10, vcc
	global_load_ubyte v11, v[9:10], off
	v_add_u32_e32 v9, 3, v18
	v_mov_b32_e32 v12, 0
	v_cmp_gt_i32_e32 vcc, s19, v9
	s_and_saveexec_b64 s[8:9], vcc
	s_xor_b64 s[8:9], exec, s[8:9]
	s_cbranch_execz .LBB49_45
; %bb.44:                               ;   in Loop: Header=BB49_3 Depth=1
	v_add_u32_e32 v6, s50, v6
	v_ashrrev_i32_e32 v10, 31, v6
	v_mov_b32_e32 v12, s17
	v_add_co_u32_e32 v9, vcc, s16, v6
	v_addc_co_u32_e32 v10, vcc, v12, v10, vcc
	global_load_ubyte v12, v[9:10], off
.LBB49_45:                              ;   in Loop: Header=BB49_3 Depth=1
	s_or_b64 exec, exec, s[8:9]
.LBB49_46:                              ;   in Loop: Header=BB49_3 Depth=1
	s_or_b64 exec, exec, s[6:7]
.LBB49_47:                              ;   in Loop: Header=BB49_3 Depth=1
	s_or_b64 exec, exec, s[2:3]
.LBB49_48:                              ;   in Loop: Header=BB49_3 Depth=1
	s_or_b64 exec, exec, s[0:1]
	s_waitcnt vmcnt(0)
	v_and_b32_e32 v6, 1, v12
	v_and_b32_e32 v5, 1, v5
	v_cmp_eq_u32_e64 s[0:1], 1, v6
	v_and_b32_e32 v6, 1, v11
	v_cmp_eq_u32_e64 s[6:7], 1, v5
	v_add_u32_e32 v5, 1, v7
	v_cmp_eq_u32_e64 s[2:3], 1, v6
	v_ashrrev_i32_e32 v6, 31, v5
	v_cmp_ge_i64_e32 vcc, s[12:13], v[7:8]
	v_and_b32_e32 v3, 1, v3
	v_cmp_ge_i64_e64 s[10:11], s[12:13], v[5:6]
	v_add_u32_e32 v5, 2, v7
	v_cmp_eq_u32_e64 s[8:9], 1, v3
	v_ashrrev_i32_e32 v6, 31, v5
	s_and_b64 s[8:9], vcc, s[8:9]
	v_cmp_ge_i64_e32 vcc, s[12:13], v[5:6]
	v_add_u32_e32 v5, 3, v7
	s_and_b64 s[6:7], s[10:11], s[6:7]
	v_ashrrev_i32_e32 v6, 31, v5
	v_cndmask_b32_e64 v8, 0, 1, s[6:7]
	v_cmp_ge_i64_e64 s[6:7], s[12:13], v[5:6]
	s_and_b64 s[2:3], vcc, s[2:3]
	s_and_b64 s[0:1], s[6:7], s[0:1]
	v_cndmask_b32_e64 v6, 0, 1, s[0:1]
	v_cndmask_b32_e64 v3, 0, 1, s[8:9]
	;; [unrolled: 1-line block ×3, first 2 shown]
	v_lshlrev_b16_e32 v7, 8, v8
	v_lshlrev_b16_e32 v6, 8, v6
	v_or_b32_e32 v3, v3, v7
	v_or_b32_sdwa v5, v5, v6 dst_sel:WORD_1 dst_unused:UNUSED_PAD src0_sel:DWORD src1_sel:DWORD
	v_or_b32_sdwa v3, v3, v5 dst_sel:DWORD dst_unused:UNUSED_PAD src0_sel:WORD_0 src1_sel:DWORD
.LBB49_49:                              ;   in Loop: Header=BB49_3 Depth=1
	s_or_b64 exec, exec, s[40:41]
	v_cmp_gt_i32_e32 vcc, s19, v18
	s_and_saveexec_b64 s[0:1], vcc
	s_cbranch_execz .LBB49_2
; %bb.50:                               ;   in Loop: Header=BB49_3 Depth=1
	v_ashrrev_i32_e32 v6, 31, v4
	v_mov_b32_e32 v7, s27
	v_add_co_u32_e32 v5, vcc, s26, v4
	v_addc_co_u32_e32 v6, vcc, v7, v6, vcc
	v_add_u32_e32 v7, 1, v18
	v_cmp_gt_i32_e32 vcc, s19, v7
	global_store_byte v[5:6], v3, off
	s_and_saveexec_b64 s[2:3], vcc
	s_xor_b64 s[2:3], exec, s[2:3]
	s_cbranch_execz .LBB49_2
; %bb.51:                               ;   in Loop: Header=BB49_3 Depth=1
	v_mov_b32_e32 v8, s51
	v_add_co_u32_e32 v5, vcc, s52, v5
	v_lshrrev_b32_e32 v7, 8, v3
	v_addc_co_u32_e32 v6, vcc, v6, v8, vcc
	global_store_byte v[5:6], v7, off
	v_add_u32_e32 v5, 2, v18
	v_cmp_gt_i32_e32 vcc, s19, v5
	s_and_saveexec_b64 s[2:3], vcc
	s_xor_b64 s[2:3], exec, s[2:3]
	s_cbranch_execz .LBB49_2
; %bb.52:                               ;   in Loop: Header=BB49_3 Depth=1
	v_add_u32_e32 v4, s25, v4
	v_ashrrev_i32_e32 v6, 31, v4
	v_mov_b32_e32 v7, s27
	v_add_co_u32_e32 v5, vcc, s26, v4
	v_addc_co_u32_e32 v6, vcc, v7, v6, vcc
	global_store_byte_d16_hi v[5:6], v3, off
	v_add_u32_e32 v5, 3, v18
	v_cmp_gt_i32_e32 vcc, s19, v5
	s_and_saveexec_b64 s[2:3], vcc
	s_xor_b64 s[2:3], exec, s[2:3]
	s_cbranch_execz .LBB49_2
; %bb.53:                               ;   in Loop: Header=BB49_3 Depth=1
	v_lshrrev_b32_e32 v5, 24, v3
	v_add_u32_e32 v3, s52, v4
	v_ashrrev_i32_e32 v4, 31, v3
	v_mov_b32_e32 v6, s27
	v_add_co_u32_e32 v3, vcc, s26, v3
	v_addc_co_u32_e32 v4, vcc, v6, v4, vcc
	global_store_byte v[3:4], v5, off
	s_branch .LBB49_2
.LBB49_54:
	s_endpgm
	.section	.rodata,"a",@progbits
	.p2align	6, 0x0
	.amdhsa_kernel _ZN2at6native16triu_tril_kernelIbiLb0ELi4ELb0EEEvNS_4cuda6detail10TensorInfoIT_T0_EENS4_IKS5_S6_EEllS6_
		.amdhsa_group_segment_fixed_size 0
		.amdhsa_private_segment_fixed_size 0
		.amdhsa_kernarg_size 712
		.amdhsa_user_sgpr_count 6
		.amdhsa_user_sgpr_private_segment_buffer 1
		.amdhsa_user_sgpr_dispatch_ptr 0
		.amdhsa_user_sgpr_queue_ptr 0
		.amdhsa_user_sgpr_kernarg_segment_ptr 1
		.amdhsa_user_sgpr_dispatch_id 0
		.amdhsa_user_sgpr_flat_scratch_init 0
		.amdhsa_user_sgpr_private_segment_size 0
		.amdhsa_uses_dynamic_stack 0
		.amdhsa_system_sgpr_private_segment_wavefront_offset 0
		.amdhsa_system_sgpr_workgroup_id_x 1
		.amdhsa_system_sgpr_workgroup_id_y 0
		.amdhsa_system_sgpr_workgroup_id_z 0
		.amdhsa_system_sgpr_workgroup_info 0
		.amdhsa_system_vgpr_workitem_id 0
		.amdhsa_next_free_vgpr 22
		.amdhsa_next_free_sgpr 69
		.amdhsa_reserve_vcc 1
		.amdhsa_reserve_flat_scratch 0
		.amdhsa_float_round_mode_32 0
		.amdhsa_float_round_mode_16_64 0
		.amdhsa_float_denorm_mode_32 3
		.amdhsa_float_denorm_mode_16_64 3
		.amdhsa_dx10_clamp 1
		.amdhsa_ieee_mode 1
		.amdhsa_fp16_overflow 0
		.amdhsa_exception_fp_ieee_invalid_op 0
		.amdhsa_exception_fp_denorm_src 0
		.amdhsa_exception_fp_ieee_div_zero 0
		.amdhsa_exception_fp_ieee_overflow 0
		.amdhsa_exception_fp_ieee_underflow 0
		.amdhsa_exception_fp_ieee_inexact 0
		.amdhsa_exception_int_div_zero 0
	.end_amdhsa_kernel
	.section	.text._ZN2at6native16triu_tril_kernelIbiLb0ELi4ELb0EEEvNS_4cuda6detail10TensorInfoIT_T0_EENS4_IKS5_S6_EEllS6_,"axG",@progbits,_ZN2at6native16triu_tril_kernelIbiLb0ELi4ELb0EEEvNS_4cuda6detail10TensorInfoIT_T0_EENS4_IKS5_S6_EEllS6_,comdat
.Lfunc_end49:
	.size	_ZN2at6native16triu_tril_kernelIbiLb0ELi4ELb0EEEvNS_4cuda6detail10TensorInfoIT_T0_EENS4_IKS5_S6_EEllS6_, .Lfunc_end49-_ZN2at6native16triu_tril_kernelIbiLb0ELi4ELb0EEEvNS_4cuda6detail10TensorInfoIT_T0_EENS4_IKS5_S6_EEllS6_
                                        ; -- End function
	.set _ZN2at6native16triu_tril_kernelIbiLb0ELi4ELb0EEEvNS_4cuda6detail10TensorInfoIT_T0_EENS4_IKS5_S6_EEllS6_.num_vgpr, 22
	.set _ZN2at6native16triu_tril_kernelIbiLb0ELi4ELb0EEEvNS_4cuda6detail10TensorInfoIT_T0_EENS4_IKS5_S6_EEllS6_.num_agpr, 0
	.set _ZN2at6native16triu_tril_kernelIbiLb0ELi4ELb0EEEvNS_4cuda6detail10TensorInfoIT_T0_EENS4_IKS5_S6_EEllS6_.numbered_sgpr, 69
	.set _ZN2at6native16triu_tril_kernelIbiLb0ELi4ELb0EEEvNS_4cuda6detail10TensorInfoIT_T0_EENS4_IKS5_S6_EEllS6_.num_named_barrier, 0
	.set _ZN2at6native16triu_tril_kernelIbiLb0ELi4ELb0EEEvNS_4cuda6detail10TensorInfoIT_T0_EENS4_IKS5_S6_EEllS6_.private_seg_size, 0
	.set _ZN2at6native16triu_tril_kernelIbiLb0ELi4ELb0EEEvNS_4cuda6detail10TensorInfoIT_T0_EENS4_IKS5_S6_EEllS6_.uses_vcc, 1
	.set _ZN2at6native16triu_tril_kernelIbiLb0ELi4ELb0EEEvNS_4cuda6detail10TensorInfoIT_T0_EENS4_IKS5_S6_EEllS6_.uses_flat_scratch, 0
	.set _ZN2at6native16triu_tril_kernelIbiLb0ELi4ELb0EEEvNS_4cuda6detail10TensorInfoIT_T0_EENS4_IKS5_S6_EEllS6_.has_dyn_sized_stack, 0
	.set _ZN2at6native16triu_tril_kernelIbiLb0ELi4ELb0EEEvNS_4cuda6detail10TensorInfoIT_T0_EENS4_IKS5_S6_EEllS6_.has_recursion, 0
	.set _ZN2at6native16triu_tril_kernelIbiLb0ELi4ELb0EEEvNS_4cuda6detail10TensorInfoIT_T0_EENS4_IKS5_S6_EEllS6_.has_indirect_call, 0
	.section	.AMDGPU.csdata,"",@progbits
; Kernel info:
; codeLenInByte = 6704
; TotalNumSgprs: 73
; NumVgprs: 22
; ScratchSize: 0
; MemoryBound: 0
; FloatMode: 240
; IeeeMode: 1
; LDSByteSize: 0 bytes/workgroup (compile time only)
; SGPRBlocks: 9
; VGPRBlocks: 5
; NumSGPRsForWavesPerEU: 73
; NumVGPRsForWavesPerEU: 22
; Occupancy: 10
; WaveLimiterHint : 1
; COMPUTE_PGM_RSRC2:SCRATCH_EN: 0
; COMPUTE_PGM_RSRC2:USER_SGPR: 6
; COMPUTE_PGM_RSRC2:TRAP_HANDLER: 0
; COMPUTE_PGM_RSRC2:TGID_X_EN: 1
; COMPUTE_PGM_RSRC2:TGID_Y_EN: 0
; COMPUTE_PGM_RSRC2:TGID_Z_EN: 0
; COMPUTE_PGM_RSRC2:TIDIG_COMP_CNT: 0
	.section	.text._ZN2at6native16triu_tril_kernelIblLb0ELi4ELb1EEEvNS_4cuda6detail10TensorInfoIT_T0_EENS4_IKS5_S6_EEllS6_,"axG",@progbits,_ZN2at6native16triu_tril_kernelIblLb0ELi4ELb1EEEvNS_4cuda6detail10TensorInfoIT_T0_EENS4_IKS5_S6_EEllS6_,comdat
	.protected	_ZN2at6native16triu_tril_kernelIblLb0ELi4ELb1EEEvNS_4cuda6detail10TensorInfoIT_T0_EENS4_IKS5_S6_EEllS6_ ; -- Begin function _ZN2at6native16triu_tril_kernelIblLb0ELi4ELb1EEEvNS_4cuda6detail10TensorInfoIT_T0_EENS4_IKS5_S6_EEllS6_
	.globl	_ZN2at6native16triu_tril_kernelIblLb0ELi4ELb1EEEvNS_4cuda6detail10TensorInfoIT_T0_EENS4_IKS5_S6_EEllS6_
	.p2align	8
	.type	_ZN2at6native16triu_tril_kernelIblLb0ELi4ELb1EEEvNS_4cuda6detail10TensorInfoIT_T0_EENS4_IKS5_S6_EEllS6_,@function
_ZN2at6native16triu_tril_kernelIblLb0ELi4ELb1EEEvNS_4cuda6detail10TensorInfoIT_T0_EENS4_IKS5_S6_EEllS6_: ; @_ZN2at6native16triu_tril_kernelIblLb0ELi4ELb1EEEvNS_4cuda6detail10TensorInfoIT_T0_EENS4_IKS5_S6_EEllS6_
; %bb.0:
	s_load_dword s2, s[4:5], 0x364
	s_load_dwordx4 s[8:11], s[4:5], 0x340
	s_add_u32 s0, s4, 0x358
	v_mov_b32_e32 v2, 0
	s_addc_u32 s1, s5, 0
	s_waitcnt lgkmcnt(0)
	s_and_b32 s2, s2, 0xffff
	v_mov_b32_e32 v1, v2
	v_mov_b32_e32 v3, s6
	v_mad_u64_u32 v[0:1], s[6:7], s2, v3, v[0:1]
	v_lshlrev_b64 v[0:1], 2, v[0:1]
	v_cmp_gt_i64_e32 vcc, s[10:11], v[0:1]
	s_and_saveexec_b64 s[6:7], vcc
	s_cbranch_execz .LBB50_49
; %bb.1:
	s_load_dword s1, s[0:1], 0x0
	s_add_u32 s34, s4, 0x1a0
	s_load_dword s0, s[4:5], 0x338
	s_addc_u32 s35, s5, 0
	s_load_dwordx2 s[6:7], s[4:5], 0x350
	s_load_dwordx2 s[12:13], s[4:5], 0x0
	s_waitcnt lgkmcnt(0)
	s_mul_i32 s24, s1, s2
	s_mov_b32 s25, 0
	s_add_i32 s2, s0, -2
	s_ashr_i32 s3, s2, 31
	s_ashr_i32 s1, s0, 31
	s_lshl_b64 s[16:17], s[2:3], 3
	s_add_u32 s16, s34, s16
	s_addc_u32 s17, s35, s17
	s_lshl_b64 s[22:23], s[0:1], 3
	s_add_u32 s18, s4, s22
	s_addc_u32 s19, s5, s23
	s_add_i32 s20, s0, -3
	s_ashr_i32 s21, s20, 31
	s_add_u32 s22, s34, s22
	v_cmp_gt_i64_e64 s[14:15], s[0:1], 2
	s_addc_u32 s23, s35, s23
	s_lshl_b32 s33, s24, 2
	s_and_b32 s24, s2, 3
	s_and_b32 s0, s20, 3
	s_cmp_lg_u32 s0, 3
	s_cselect_b64 s[26:27], -1, 0
	s_cmp_gt_u32 s20, 2
	s_cselect_b64 s[28:29], -1, 0
	s_lshl_b64 s[0:1], s[20:21], 3
	s_add_u32 s2, s4, s0
	s_addc_u32 s3, s5, s1
	s_add_u32 s30, s2, 0xd0
	s_addc_u32 s31, s3, 0
	;; [unrolled: 2-line block ×3, first 2 shown]
	s_add_u32 s34, s0, 8
	s_load_dwordx2 s[16:17], s[16:17], 0x8
	s_addc_u32 s35, s1, 0
	s_add_u32 s64, s4, 0xb8
	s_addc_u32 s65, s5, 0
	s_add_u32 s66, s4, 0x190
	s_addc_u32 s67, s5, 0
	s_mov_b64 s[4:5], 0
	s_branch .LBB50_3
.LBB50_2:                               ;   in Loop: Header=BB50_3 Depth=1
	s_or_b64 exec, exec, s[36:37]
	v_add_co_u32_e32 v0, vcc, s33, v0
	v_addc_co_u32_e32 v1, vcc, 0, v1, vcc
	v_cmp_le_i64_e32 vcc, s[10:11], v[0:1]
	s_or_b64 s[4:5], vcc, s[4:5]
	s_andn2_b64 exec, exec, s[4:5]
	s_cbranch_execz .LBB50_49
.LBB50_3:                               ; =>This Loop Header: Depth=1
                                        ;     Child Loop BB50_17 Depth 2
                                        ;     Child Loop BB50_22 Depth 2
	v_or_b32_e32 v3, s7, v1
	v_cmp_ne_u64_e32 vcc, 0, v[2:3]
                                        ; implicit-def: $vgpr6_vgpr7
	s_and_saveexec_b64 s[0:1], vcc
	s_xor_b64 s[2:3], exec, s[0:1]
	s_cbranch_execz .LBB50_5
; %bb.4:                                ;   in Loop: Header=BB50_3 Depth=1
	s_ashr_i32 s36, s7, 31
	s_add_u32 s0, s6, s36
	s_mov_b32 s37, s36
	s_addc_u32 s1, s7, s36
	s_xor_b64 s[38:39], s[0:1], s[36:37]
	v_cvt_f32_u32_e32 v3, s38
	v_cvt_f32_u32_e32 v4, s39
	s_sub_u32 s37, 0, s38
	s_subb_u32 s40, 0, s39
	v_ashrrev_i32_e32 v7, 31, v1
	v_mac_f32_e32 v3, 0x4f800000, v4
	v_rcp_f32_e32 v3, v3
	v_mul_f32_e32 v3, 0x5f7ffffc, v3
	v_mul_f32_e32 v4, 0x2f800000, v3
	v_trunc_f32_e32 v4, v4
	v_mac_f32_e32 v3, 0xcf800000, v4
	v_cvt_u32_f32_e32 v4, v4
	v_cvt_u32_f32_e32 v3, v3
	v_readfirstlane_b32 s41, v4
	v_readfirstlane_b32 s0, v3
	s_mul_i32 s1, s37, s41
	s_mul_hi_u32 s43, s37, s0
	s_mul_i32 s42, s40, s0
	s_add_i32 s1, s43, s1
	s_add_i32 s1, s1, s42
	s_mul_i32 s44, s37, s0
	s_mul_i32 s43, s0, s1
	s_mul_hi_u32 s45, s0, s44
	s_mul_hi_u32 s42, s0, s1
	s_add_u32 s43, s45, s43
	s_addc_u32 s42, 0, s42
	s_mul_hi_u32 s46, s41, s44
	s_mul_i32 s44, s41, s44
	s_add_u32 s43, s43, s44
	s_mul_hi_u32 s45, s41, s1
	s_addc_u32 s42, s42, s46
	s_addc_u32 s43, s45, 0
	s_mul_i32 s1, s41, s1
	s_add_u32 s1, s42, s1
	s_addc_u32 s42, 0, s43
	s_add_u32 s43, s0, s1
	s_cselect_b64 s[0:1], -1, 0
	s_cmp_lg_u64 s[0:1], 0
	s_addc_u32 s41, s41, s42
	s_mul_i32 s0, s37, s41
	s_mul_hi_u32 s1, s37, s43
	s_add_i32 s0, s1, s0
	s_mul_i32 s40, s40, s43
	s_add_i32 s0, s0, s40
	s_mul_i32 s37, s37, s43
	s_mul_hi_u32 s40, s41, s37
	s_mul_i32 s42, s41, s37
	s_mul_i32 s45, s43, s0
	s_mul_hi_u32 s37, s43, s37
	s_mul_hi_u32 s44, s43, s0
	s_add_u32 s37, s37, s45
	s_addc_u32 s44, 0, s44
	s_add_u32 s37, s37, s42
	s_mul_hi_u32 s1, s41, s0
	s_addc_u32 s37, s44, s40
	s_addc_u32 s1, s1, 0
	s_mul_i32 s0, s41, s0
	s_add_u32 s0, s37, s0
	s_addc_u32 s37, 0, s1
	s_add_u32 s40, s43, s0
	s_cselect_b64 s[0:1], -1, 0
	s_cmp_lg_u64 s[0:1], 0
	v_add_co_u32_e32 v3, vcc, v0, v7
	s_addc_u32 s37, s41, s37
	v_xor_b32_e32 v8, v3, v7
	v_mad_u64_u32 v[3:4], s[0:1], v8, s37, 0
	v_mul_hi_u32 v6, v8, s40
	v_addc_co_u32_e32 v5, vcc, v1, v7, vcc
	v_xor_b32_e32 v9, v5, v7
	v_add_co_u32_e32 v10, vcc, v6, v3
	v_addc_co_u32_e32 v11, vcc, 0, v4, vcc
	v_mad_u64_u32 v[3:4], s[0:1], v9, s40, 0
	v_mad_u64_u32 v[5:6], s[0:1], v9, s37, 0
	v_add_co_u32_e32 v3, vcc, v10, v3
	v_addc_co_u32_e32 v3, vcc, v11, v4, vcc
	v_addc_co_u32_e32 v4, vcc, 0, v6, vcc
	v_add_co_u32_e32 v5, vcc, v3, v5
	v_addc_co_u32_e32 v6, vcc, 0, v4, vcc
	v_mul_lo_u32 v10, s39, v5
	v_mul_lo_u32 v11, s38, v6
	v_mad_u64_u32 v[3:4], s[0:1], s38, v5, 0
	v_add3_u32 v4, v4, v11, v10
	v_sub_u32_e32 v10, v9, v4
	v_mov_b32_e32 v11, s39
	v_sub_co_u32_e32 v3, vcc, v8, v3
	v_subb_co_u32_e64 v8, s[0:1], v10, v11, vcc
	v_subrev_co_u32_e64 v10, s[0:1], s38, v3
	v_subbrev_co_u32_e64 v8, s[0:1], 0, v8, s[0:1]
	v_cmp_le_u32_e64 s[0:1], s39, v8
	v_cndmask_b32_e64 v11, 0, -1, s[0:1]
	v_cmp_le_u32_e64 s[0:1], s38, v10
	v_cndmask_b32_e64 v10, 0, -1, s[0:1]
	v_cmp_eq_u32_e64 s[0:1], s39, v8
	v_cndmask_b32_e64 v8, v11, v10, s[0:1]
	v_add_co_u32_e64 v10, s[0:1], 2, v5
	v_subb_co_u32_e32 v4, vcc, v9, v4, vcc
	v_addc_co_u32_e64 v11, s[0:1], 0, v6, s[0:1]
	v_cmp_le_u32_e32 vcc, s39, v4
	v_add_co_u32_e64 v12, s[0:1], 1, v5
	v_cndmask_b32_e64 v9, 0, -1, vcc
	v_cmp_le_u32_e32 vcc, s38, v3
	v_addc_co_u32_e64 v13, s[0:1], 0, v6, s[0:1]
	v_cndmask_b32_e64 v3, 0, -1, vcc
	v_cmp_eq_u32_e32 vcc, s39, v4
	v_cmp_ne_u32_e64 s[0:1], 0, v8
	v_cndmask_b32_e32 v3, v9, v3, vcc
	v_cmp_ne_u32_e32 vcc, 0, v3
	v_cndmask_b32_e64 v4, v12, v10, s[0:1]
	v_cndmask_b32_e64 v8, v13, v11, s[0:1]
	v_cndmask_b32_e32 v4, v5, v4, vcc
	v_xor_b32_e32 v5, s36, v7
	v_cndmask_b32_e32 v3, v6, v8, vcc
	v_xor_b32_e32 v4, v4, v5
	v_xor_b32_e32 v3, v3, v5
	v_sub_co_u32_e32 v6, vcc, v4, v5
	v_subb_co_u32_e32 v7, vcc, v3, v5, vcc
.LBB50_5:                               ;   in Loop: Header=BB50_3 Depth=1
	s_andn2_saveexec_b64 s[0:1], s[2:3]
	s_cbranch_execz .LBB50_7
; %bb.6:                                ;   in Loop: Header=BB50_3 Depth=1
	v_cvt_f32_u32_e32 v3, s6
	s_sub_i32 s2, 0, s6
	v_mov_b32_e32 v7, v2
	v_rcp_iflag_f32_e32 v3, v3
	v_mul_f32_e32 v3, 0x4f7ffffe, v3
	v_cvt_u32_f32_e32 v3, v3
	v_mul_lo_u32 v4, s2, v3
	v_mul_hi_u32 v4, v3, v4
	v_add_u32_e32 v3, v3, v4
	v_mul_hi_u32 v3, v0, v3
	v_mul_lo_u32 v4, v3, s6
	v_add_u32_e32 v5, 1, v3
	v_sub_u32_e32 v4, v0, v4
	v_subrev_u32_e32 v6, s6, v4
	v_cmp_le_u32_e32 vcc, s6, v4
	v_cndmask_b32_e32 v4, v4, v6, vcc
	v_cndmask_b32_e32 v3, v3, v5, vcc
	v_add_u32_e32 v5, 1, v3
	v_cmp_le_u32_e32 vcc, s6, v4
	v_cndmask_b32_e32 v6, v3, v5, vcc
.LBB50_7:                               ;   in Loop: Header=BB50_3 Depth=1
	s_or_b64 exec, exec, s[0:1]
	s_waitcnt lgkmcnt(0)
	v_or_b32_e32 v3, s17, v7
	v_cmp_ne_u64_e32 vcc, 0, v[2:3]
                                        ; implicit-def: $vgpr10_vgpr11
	s_and_saveexec_b64 s[0:1], vcc
	s_xor_b64 s[2:3], exec, s[0:1]
	s_cbranch_execz .LBB50_9
; %bb.8:                                ;   in Loop: Header=BB50_3 Depth=1
	s_ashr_i32 s36, s17, 31
	s_add_u32 s0, s16, s36
	s_mov_b32 s37, s36
	s_addc_u32 s1, s17, s36
	s_xor_b64 s[38:39], s[0:1], s[36:37]
	v_cvt_f32_u32_e32 v3, s38
	v_cvt_f32_u32_e32 v4, s39
	s_sub_u32 s37, 0, s38
	s_subb_u32 s40, 0, s39
	v_ashrrev_i32_e32 v5, 31, v7
	v_mac_f32_e32 v3, 0x4f800000, v4
	v_rcp_f32_e32 v3, v3
	v_mul_f32_e32 v3, 0x5f7ffffc, v3
	v_mul_f32_e32 v4, 0x2f800000, v3
	v_trunc_f32_e32 v4, v4
	v_mac_f32_e32 v3, 0xcf800000, v4
	v_cvt_u32_f32_e32 v4, v4
	v_cvt_u32_f32_e32 v3, v3
	v_readfirstlane_b32 s41, v4
	v_readfirstlane_b32 s0, v3
	s_mul_i32 s1, s37, s41
	s_mul_hi_u32 s43, s37, s0
	s_mul_i32 s42, s40, s0
	s_add_i32 s1, s43, s1
	s_add_i32 s1, s1, s42
	s_mul_i32 s44, s37, s0
	s_mul_i32 s43, s0, s1
	s_mul_hi_u32 s45, s0, s44
	s_mul_hi_u32 s42, s0, s1
	s_add_u32 s43, s45, s43
	s_addc_u32 s42, 0, s42
	s_mul_hi_u32 s46, s41, s44
	s_mul_i32 s44, s41, s44
	s_add_u32 s43, s43, s44
	s_mul_hi_u32 s45, s41, s1
	s_addc_u32 s42, s42, s46
	s_addc_u32 s43, s45, 0
	s_mul_i32 s1, s41, s1
	s_add_u32 s1, s42, s1
	s_addc_u32 s42, 0, s43
	s_add_u32 s43, s0, s1
	s_cselect_b64 s[0:1], -1, 0
	s_cmp_lg_u64 s[0:1], 0
	s_addc_u32 s41, s41, s42
	s_mul_i32 s0, s37, s41
	s_mul_hi_u32 s1, s37, s43
	s_add_i32 s0, s1, s0
	s_mul_i32 s40, s40, s43
	s_add_i32 s0, s0, s40
	s_mul_i32 s37, s37, s43
	s_mul_hi_u32 s40, s41, s37
	s_mul_i32 s42, s41, s37
	s_mul_i32 s45, s43, s0
	s_mul_hi_u32 s37, s43, s37
	s_mul_hi_u32 s44, s43, s0
	s_add_u32 s37, s37, s45
	s_addc_u32 s44, 0, s44
	s_add_u32 s37, s37, s42
	s_mul_hi_u32 s1, s41, s0
	s_addc_u32 s37, s44, s40
	s_addc_u32 s1, s1, 0
	s_mul_i32 s0, s41, s0
	s_add_u32 s0, s37, s0
	s_addc_u32 s37, 0, s1
	s_add_u32 s40, s43, s0
	s_cselect_b64 s[0:1], -1, 0
	s_cmp_lg_u64 s[0:1], 0
	v_add_co_u32_e32 v3, vcc, v6, v5
	s_addc_u32 s37, s41, s37
	v_xor_b32_e32 v10, v3, v5
	v_mad_u64_u32 v[3:4], s[0:1], v10, s37, 0
	v_mul_hi_u32 v9, v10, s40
	v_addc_co_u32_e32 v8, vcc, v7, v5, vcc
	v_xor_b32_e32 v11, v8, v5
	v_add_co_u32_e32 v12, vcc, v9, v3
	v_addc_co_u32_e32 v13, vcc, 0, v4, vcc
	v_mad_u64_u32 v[3:4], s[0:1], v11, s40, 0
	v_mad_u64_u32 v[8:9], s[0:1], v11, s37, 0
	v_add_co_u32_e32 v3, vcc, v12, v3
	v_addc_co_u32_e32 v3, vcc, v13, v4, vcc
	v_addc_co_u32_e32 v4, vcc, 0, v9, vcc
	v_add_co_u32_e32 v8, vcc, v3, v8
	v_addc_co_u32_e32 v9, vcc, 0, v4, vcc
	v_mul_lo_u32 v12, s39, v8
	v_mul_lo_u32 v13, s38, v9
	v_mad_u64_u32 v[3:4], s[0:1], s38, v8, 0
	v_xor_b32_e32 v5, s36, v5
	v_add3_u32 v4, v4, v13, v12
	v_sub_u32_e32 v12, v11, v4
	v_mov_b32_e32 v13, s39
	v_sub_co_u32_e32 v3, vcc, v10, v3
	v_subb_co_u32_e64 v10, s[0:1], v12, v13, vcc
	v_subrev_co_u32_e64 v12, s[0:1], s38, v3
	v_subbrev_co_u32_e64 v10, s[0:1], 0, v10, s[0:1]
	v_cmp_le_u32_e64 s[0:1], s39, v10
	v_cndmask_b32_e64 v13, 0, -1, s[0:1]
	v_cmp_le_u32_e64 s[0:1], s38, v12
	v_cndmask_b32_e64 v12, 0, -1, s[0:1]
	v_cmp_eq_u32_e64 s[0:1], s39, v10
	v_cndmask_b32_e64 v10, v13, v12, s[0:1]
	v_add_co_u32_e64 v12, s[0:1], 2, v8
	v_subb_co_u32_e32 v4, vcc, v11, v4, vcc
	v_addc_co_u32_e64 v13, s[0:1], 0, v9, s[0:1]
	v_cmp_le_u32_e32 vcc, s39, v4
	v_add_co_u32_e64 v14, s[0:1], 1, v8
	v_cndmask_b32_e64 v11, 0, -1, vcc
	v_cmp_le_u32_e32 vcc, s38, v3
	v_addc_co_u32_e64 v15, s[0:1], 0, v9, s[0:1]
	v_cndmask_b32_e64 v3, 0, -1, vcc
	v_cmp_eq_u32_e32 vcc, s39, v4
	v_cmp_ne_u32_e64 s[0:1], 0, v10
	v_cndmask_b32_e32 v3, v11, v3, vcc
	v_cmp_ne_u32_e32 vcc, 0, v3
	v_cndmask_b32_e64 v4, v14, v12, s[0:1]
	v_cndmask_b32_e64 v10, v15, v13, s[0:1]
	v_cndmask_b32_e32 v4, v8, v4, vcc
	v_cndmask_b32_e32 v3, v9, v10, vcc
	v_xor_b32_e32 v4, v4, v5
	v_xor_b32_e32 v3, v3, v5
	v_sub_co_u32_e32 v10, vcc, v4, v5
	v_subb_co_u32_e32 v11, vcc, v3, v5, vcc
.LBB50_9:                               ;   in Loop: Header=BB50_3 Depth=1
	s_andn2_saveexec_b64 s[0:1], s[2:3]
	s_cbranch_execz .LBB50_11
; %bb.10:                               ;   in Loop: Header=BB50_3 Depth=1
	v_cvt_f32_u32_e32 v3, s16
	s_sub_i32 s2, 0, s16
	v_mov_b32_e32 v11, v2
	v_rcp_iflag_f32_e32 v3, v3
	v_mul_f32_e32 v3, 0x4f7ffffe, v3
	v_cvt_u32_f32_e32 v3, v3
	v_mul_lo_u32 v4, s2, v3
	v_mul_hi_u32 v4, v3, v4
	v_add_u32_e32 v3, v3, v4
	v_mul_hi_u32 v3, v6, v3
	v_mul_lo_u32 v4, v3, s16
	v_add_u32_e32 v5, 1, v3
	v_sub_u32_e32 v4, v6, v4
	v_subrev_u32_e32 v8, s16, v4
	v_cmp_le_u32_e32 vcc, s16, v4
	v_cndmask_b32_e32 v4, v4, v8, vcc
	v_cndmask_b32_e32 v3, v3, v5, vcc
	v_add_u32_e32 v5, 1, v3
	v_cmp_le_u32_e32 vcc, s16, v4
	v_cndmask_b32_e32 v10, v3, v5, vcc
.LBB50_11:                              ;   in Loop: Header=BB50_3 Depth=1
	s_or_b64 exec, exec, s[0:1]
	v_mul_lo_u32 v5, v7, s6
	v_mul_lo_u32 v8, v6, s7
	v_mad_u64_u32 v[3:4], s[0:1], v6, s6, 0
	v_mul_lo_u32 v12, v11, s16
	v_mul_lo_u32 v13, v10, s17
	v_add3_u32 v5, v4, v8, v5
	v_mad_u64_u32 v[8:9], s[0:1], v10, s16, 0
	v_sub_co_u32_e32 v4, vcc, v0, v3
	v_subb_co_u32_e32 v5, vcc, v1, v5, vcc
	v_add3_u32 v3, v9, v13, v12
	v_sub_co_u32_e32 v20, vcc, v6, v8
	v_subb_co_u32_e32 v21, vcc, v7, v3, vcc
	v_sub_co_u32_e32 v6, vcc, v4, v20
	v_subb_co_u32_e32 v7, vcc, v5, v21, vcc
	v_add_co_u32_e32 v8, vcc, 4, v6
	v_addc_co_u32_e32 v9, vcc, 0, v7, vcc
	v_cmp_lt_i64_e32 vcc, s[8:9], v[8:9]
	s_and_saveexec_b64 s[36:37], vcc
	s_cbranch_execz .LBB50_2
; %bb.12:                               ;   in Loop: Header=BB50_3 Depth=1
	s_load_dwordx4 s[0:3], s[18:19], 0xc0
	s_andn2_b64 vcc, exec, s[14:15]
	s_waitcnt lgkmcnt(0)
	v_mul_lo_u32 v3, s3, v4
	v_mul_lo_u32 v12, s2, v5
	v_mad_u64_u32 v[8:9], s[38:39], s2, v4, 0
	v_mul_lo_u32 v13, s0, v21
	v_add3_u32 v9, v9, v12, v3
	v_mad_u64_u32 v[8:9], s[38:39], s0, v20, v[8:9]
	v_mul_lo_u32 v3, s1, v20
	v_add3_u32 v9, v3, v9, v13
	s_cbranch_vccnz .LBB50_38
; %bb.13:                               ;   in Loop: Header=BB50_3 Depth=1
	s_andn2_b64 vcc, exec, s[26:27]
	s_mov_b64 s[38:39], s[24:25]
	s_mov_b64 s[40:41], s[34:35]
	;; [unrolled: 1-line block ×4, first 2 shown]
	s_cbranch_vccz .LBB50_17
.LBB50_14:                              ;   in Loop: Header=BB50_3 Depth=1
	s_andn2_b64 vcc, exec, s[28:29]
	s_cbranch_vccnz .LBB50_38
; %bb.15:                               ;   in Loop: Header=BB50_3 Depth=1
	s_lshl_b64 s[0:1], s[42:43], 3
	s_add_u32 s38, s64, s0
	s_addc_u32 s39, s65, s1
	s_add_u32 s40, s66, s0
	s_addc_u32 s41, s67, s1
	;; [unrolled: 2-line block ×3, first 2 shown]
	s_branch .LBB50_22
.LBB50_16:                              ;   in Loop: Header=BB50_17 Depth=2
	s_or_b64 exec, exec, s[0:1]
	v_mul_lo_u32 v3, v13, s46
	v_mul_lo_u32 v16, v12, s47
	v_mad_u64_u32 v[14:15], s[0:1], v12, s46, 0
	s_load_dwordx2 s[0:1], s[44:45], 0x0
	s_add_u32 s42, s42, -1
	v_add3_u32 v3, v15, v16, v3
	v_sub_co_u32_e32 v10, vcc, v10, v14
	s_addc_u32 s43, s43, -1
	v_subb_co_u32_e32 v3, vcc, v11, v3, vcc
	s_add_u32 s44, s44, -8
	s_waitcnt lgkmcnt(0)
	v_mul_lo_u32 v3, s0, v3
	v_mul_lo_u32 v11, s1, v10
	v_mad_u64_u32 v[8:9], s[0:1], s0, v10, v[8:9]
	s_addc_u32 s45, s45, -1
	s_add_u32 s40, s40, -8
	s_addc_u32 s41, s41, -1
	s_add_u32 s38, s38, -1
	s_addc_u32 s39, s39, -1
	v_add3_u32 v9, v11, v9, v3
	v_mov_b32_e32 v10, v12
	s_cmp_lg_u64 s[38:39], 0
	v_mov_b32_e32 v11, v13
	s_cbranch_scc0 .LBB50_14
.LBB50_17:                              ;   Parent Loop BB50_3 Depth=1
                                        ; =>  This Inner Loop Header: Depth=2
	s_load_dwordx2 s[46:47], s[40:41], 0x0
                                        ; implicit-def: $vgpr12_vgpr13
	s_waitcnt lgkmcnt(0)
	v_or_b32_e32 v3, s47, v11
	v_cmp_ne_u64_e32 vcc, 0, v[2:3]
	s_and_saveexec_b64 s[0:1], vcc
	s_xor_b64 s[48:49], exec, s[0:1]
	s_cbranch_execz .LBB50_19
; %bb.18:                               ;   in Loop: Header=BB50_17 Depth=2
	s_ashr_i32 s50, s47, 31
	s_add_u32 s0, s46, s50
	s_mov_b32 s51, s50
	s_addc_u32 s1, s47, s50
	s_xor_b64 s[52:53], s[0:1], s[50:51]
	v_cvt_f32_u32_e32 v3, s52
	v_cvt_f32_u32_e32 v12, s53
	s_sub_u32 s51, 0, s52
	s_subb_u32 s54, 0, s53
	v_mac_f32_e32 v3, 0x4f800000, v12
	v_rcp_f32_e32 v3, v3
	v_mul_f32_e32 v3, 0x5f7ffffc, v3
	v_mul_f32_e32 v12, 0x2f800000, v3
	v_trunc_f32_e32 v12, v12
	v_mac_f32_e32 v3, 0xcf800000, v12
	v_cvt_u32_f32_e32 v12, v12
	v_cvt_u32_f32_e32 v3, v3
	v_readfirstlane_b32 s55, v12
	v_readfirstlane_b32 s0, v3
	s_mul_i32 s1, s51, s55
	s_mul_hi_u32 s57, s51, s0
	s_mul_i32 s56, s54, s0
	s_add_i32 s1, s57, s1
	s_add_i32 s1, s1, s56
	s_mul_i32 s58, s51, s0
	s_mul_i32 s57, s0, s1
	s_mul_hi_u32 s59, s0, s58
	s_mul_hi_u32 s56, s0, s1
	s_add_u32 s57, s59, s57
	s_addc_u32 s56, 0, s56
	s_mul_hi_u32 s60, s55, s58
	s_mul_i32 s58, s55, s58
	s_add_u32 s57, s57, s58
	s_mul_hi_u32 s59, s55, s1
	s_addc_u32 s56, s56, s60
	s_addc_u32 s57, s59, 0
	s_mul_i32 s1, s55, s1
	s_add_u32 s1, s56, s1
	s_addc_u32 s56, 0, s57
	s_add_u32 s57, s0, s1
	s_cselect_b64 s[0:1], -1, 0
	s_cmp_lg_u64 s[0:1], 0
	s_addc_u32 s55, s55, s56
	s_mul_i32 s0, s51, s55
	s_mul_hi_u32 s1, s51, s57
	s_add_i32 s0, s1, s0
	s_mul_i32 s54, s54, s57
	s_add_i32 s0, s0, s54
	s_mul_i32 s51, s51, s57
	s_mul_hi_u32 s54, s55, s51
	s_mul_i32 s56, s55, s51
	s_mul_i32 s59, s57, s0
	s_mul_hi_u32 s51, s57, s51
	s_mul_hi_u32 s58, s57, s0
	s_add_u32 s51, s51, s59
	s_addc_u32 s58, 0, s58
	s_add_u32 s51, s51, s56
	s_mul_hi_u32 s1, s55, s0
	s_addc_u32 s51, s58, s54
	s_addc_u32 s1, s1, 0
	s_mul_i32 s0, s55, s0
	s_add_u32 s0, s51, s0
	s_addc_u32 s51, 0, s1
	s_add_u32 s54, s57, s0
	s_cselect_b64 s[0:1], -1, 0
	v_ashrrev_i32_e32 v3, 31, v11
	s_cmp_lg_u64 s[0:1], 0
	v_add_co_u32_e32 v12, vcc, v10, v3
	s_addc_u32 s51, s55, s51
	v_xor_b32_e32 v16, v12, v3
	v_mad_u64_u32 v[12:13], s[0:1], v16, s51, 0
	v_mul_hi_u32 v15, v16, s54
	v_addc_co_u32_e32 v14, vcc, v11, v3, vcc
	v_xor_b32_e32 v17, v14, v3
	v_add_co_u32_e32 v18, vcc, v15, v12
	v_addc_co_u32_e32 v19, vcc, 0, v13, vcc
	v_mad_u64_u32 v[12:13], s[0:1], v17, s54, 0
	v_mad_u64_u32 v[14:15], s[0:1], v17, s51, 0
	v_add_co_u32_e32 v12, vcc, v18, v12
	v_addc_co_u32_e32 v12, vcc, v19, v13, vcc
	v_addc_co_u32_e32 v13, vcc, 0, v15, vcc
	v_add_co_u32_e32 v14, vcc, v12, v14
	v_addc_co_u32_e32 v15, vcc, 0, v13, vcc
	v_mul_lo_u32 v18, s53, v14
	v_mul_lo_u32 v19, s52, v15
	v_mad_u64_u32 v[12:13], s[0:1], s52, v14, 0
	v_xor_b32_e32 v3, s50, v3
	v_add3_u32 v13, v13, v19, v18
	v_sub_u32_e32 v18, v17, v13
	v_mov_b32_e32 v19, s53
	v_sub_co_u32_e32 v12, vcc, v16, v12
	v_subb_co_u32_e64 v16, s[0:1], v18, v19, vcc
	v_subrev_co_u32_e64 v18, s[0:1], s52, v12
	v_subbrev_co_u32_e64 v16, s[0:1], 0, v16, s[0:1]
	v_cmp_le_u32_e64 s[0:1], s53, v16
	v_cndmask_b32_e64 v19, 0, -1, s[0:1]
	v_cmp_le_u32_e64 s[0:1], s52, v18
	v_cndmask_b32_e64 v18, 0, -1, s[0:1]
	v_cmp_eq_u32_e64 s[0:1], s53, v16
	v_cndmask_b32_e64 v16, v19, v18, s[0:1]
	v_add_co_u32_e64 v18, s[0:1], 2, v14
	v_subb_co_u32_e32 v13, vcc, v17, v13, vcc
	v_addc_co_u32_e64 v19, s[0:1], 0, v15, s[0:1]
	v_cmp_le_u32_e32 vcc, s53, v13
	v_add_co_u32_e64 v22, s[0:1], 1, v14
	v_cndmask_b32_e64 v17, 0, -1, vcc
	v_cmp_le_u32_e32 vcc, s52, v12
	v_addc_co_u32_e64 v23, s[0:1], 0, v15, s[0:1]
	v_cndmask_b32_e64 v12, 0, -1, vcc
	v_cmp_eq_u32_e32 vcc, s53, v13
	v_cmp_ne_u32_e64 s[0:1], 0, v16
	v_cndmask_b32_e32 v12, v17, v12, vcc
	v_cndmask_b32_e64 v16, v23, v19, s[0:1]
	v_cmp_ne_u32_e32 vcc, 0, v12
	v_cndmask_b32_e64 v13, v22, v18, s[0:1]
	v_cndmask_b32_e32 v12, v15, v16, vcc
	v_cndmask_b32_e32 v13, v14, v13, vcc
	v_xor_b32_e32 v14, v12, v3
	v_xor_b32_e32 v12, v13, v3
	v_sub_co_u32_e32 v12, vcc, v12, v3
	v_subb_co_u32_e32 v13, vcc, v14, v3, vcc
.LBB50_19:                              ;   in Loop: Header=BB50_17 Depth=2
	s_andn2_saveexec_b64 s[0:1], s[48:49]
	s_cbranch_execz .LBB50_16
; %bb.20:                               ;   in Loop: Header=BB50_17 Depth=2
	v_cvt_f32_u32_e32 v3, s46
	s_sub_i32 s48, 0, s46
	v_rcp_iflag_f32_e32 v3, v3
	v_mul_f32_e32 v3, 0x4f7ffffe, v3
	v_cvt_u32_f32_e32 v3, v3
	v_mul_lo_u32 v12, s48, v3
	v_mul_hi_u32 v12, v3, v12
	v_add_u32_e32 v3, v3, v12
	v_mul_hi_u32 v3, v10, v3
	v_mul_lo_u32 v12, v3, s46
	v_add_u32_e32 v13, 1, v3
	v_sub_u32_e32 v12, v10, v12
	v_subrev_u32_e32 v14, s46, v12
	v_cmp_le_u32_e32 vcc, s46, v12
	v_cndmask_b32_e32 v12, v12, v14, vcc
	v_cndmask_b32_e32 v3, v3, v13, vcc
	v_add_u32_e32 v13, 1, v3
	v_cmp_le_u32_e32 vcc, s46, v12
	v_cndmask_b32_e32 v12, v3, v13, vcc
	v_mov_b32_e32 v13, v2
	s_branch .LBB50_16
.LBB50_21:                              ;   in Loop: Header=BB50_22 Depth=2
	s_or_b64 exec, exec, s[0:1]
	v_mul_lo_u32 v3, v13, s44
	v_mul_lo_u32 v24, v12, s45
	v_mad_u64_u32 v[22:23], s[0:1], v12, s44, 0
	v_add3_u32 v3, v23, v24, v3
	v_sub_co_u32_e32 v10, vcc, v10, v22
	v_subb_co_u32_e32 v3, vcc, v11, v3, vcc
	v_mul_lo_u32 v3, s48, v3
	v_mul_lo_u32 v22, s49, v10
	v_mad_u64_u32 v[8:9], s[0:1], s48, v10, v[8:9]
	v_mul_lo_u32 v23, v15, s46
	v_mul_lo_u32 v24, v14, s47
	v_mad_u64_u32 v[10:11], s[0:1], v14, s46, 0
	v_add3_u32 v9, v22, v9, v3
	v_mul_lo_u32 v22, v16, s51
	v_add3_u32 v3, v11, v24, v23
	v_sub_co_u32_e32 v10, vcc, v12, v10
	v_subb_co_u32_e32 v3, vcc, v13, v3, vcc
	v_mad_u64_u32 v[8:9], s[0:1], s52, v10, v[8:9]
	v_mul_lo_u32 v3, s52, v3
	v_mul_lo_u32 v12, s53, v10
	;; [unrolled: 1-line block ×3, first 2 shown]
	v_mad_u64_u32 v[10:11], s[0:1], v16, s50, 0
	v_add3_u32 v9, v12, v9, v3
	v_add3_u32 v3, v11, v22, v13
	v_sub_co_u32_e32 v10, vcc, v14, v10
	v_subb_co_u32_e32 v3, vcc, v15, v3, vcc
	v_mad_u64_u32 v[8:9], s[0:1], s56, v10, v[8:9]
	v_mul_lo_u32 v3, s56, v3
	v_mul_lo_u32 v12, s57, v10
	;; [unrolled: 1-line block ×4, first 2 shown]
	v_mad_u64_u32 v[10:11], s[0:1], v18, s54, 0
	s_load_dwordx2 s[0:1], s[38:39], 0x0
	v_add3_u32 v9, v12, v9, v3
	v_add3_u32 v3, v11, v14, v13
	v_sub_co_u32_e32 v10, vcc, v16, v10
	v_subb_co_u32_e32 v3, vcc, v17, v3, vcc
	s_add_u32 s38, s38, 0xffffffe0
	s_waitcnt lgkmcnt(0)
	v_mad_u64_u32 v[8:9], s[44:45], s0, v10, v[8:9]
	v_mul_lo_u32 v3, s0, v3
	v_mul_lo_u32 v10, s1, v10
	s_addc_u32 s39, s39, -1
	s_add_u32 s40, s40, 0xffffffe0
	s_addc_u32 s41, s41, -1
	s_add_u32 s42, s42, -4
	v_add3_u32 v9, v10, v9, v3
	s_addc_u32 s43, s43, -1
	v_mov_b32_e32 v10, v18
	s_cmp_eq_u64 s[42:43], 0
	v_mov_b32_e32 v11, v19
	s_cbranch_scc1 .LBB50_38
.LBB50_22:                              ;   Parent Loop BB50_3 Depth=1
                                        ; =>  This Inner Loop Header: Depth=2
	s_load_dwordx2 s[44:45], s[40:41], 0x18
                                        ; implicit-def: $vgpr12_vgpr13
	s_waitcnt lgkmcnt(0)
	v_or_b32_e32 v3, s45, v11
	v_cmp_ne_u64_e32 vcc, 0, v[2:3]
	s_and_saveexec_b64 s[0:1], vcc
	s_xor_b64 s[46:47], exec, s[0:1]
	s_cbranch_execz .LBB50_24
; %bb.23:                               ;   in Loop: Header=BB50_22 Depth=2
	s_ashr_i32 s48, s45, 31
	s_add_u32 s0, s44, s48
	s_mov_b32 s49, s48
	s_addc_u32 s1, s45, s48
	s_xor_b64 s[50:51], s[0:1], s[48:49]
	v_cvt_f32_u32_e32 v3, s50
	v_cvt_f32_u32_e32 v12, s51
	s_sub_u32 s49, 0, s50
	s_subb_u32 s52, 0, s51
	v_mac_f32_e32 v3, 0x4f800000, v12
	v_rcp_f32_e32 v3, v3
	v_mul_f32_e32 v3, 0x5f7ffffc, v3
	v_mul_f32_e32 v12, 0x2f800000, v3
	v_trunc_f32_e32 v12, v12
	v_mac_f32_e32 v3, 0xcf800000, v12
	v_cvt_u32_f32_e32 v12, v12
	v_cvt_u32_f32_e32 v3, v3
	v_readfirstlane_b32 s53, v12
	v_readfirstlane_b32 s0, v3
	s_mul_i32 s1, s49, s53
	s_mul_hi_u32 s55, s49, s0
	s_mul_i32 s54, s52, s0
	s_add_i32 s1, s55, s1
	s_add_i32 s1, s1, s54
	s_mul_i32 s56, s49, s0
	s_mul_i32 s55, s0, s1
	s_mul_hi_u32 s57, s0, s56
	s_mul_hi_u32 s54, s0, s1
	s_add_u32 s55, s57, s55
	s_addc_u32 s54, 0, s54
	s_mul_hi_u32 s58, s53, s56
	s_mul_i32 s56, s53, s56
	s_add_u32 s55, s55, s56
	s_mul_hi_u32 s57, s53, s1
	s_addc_u32 s54, s54, s58
	s_addc_u32 s55, s57, 0
	s_mul_i32 s1, s53, s1
	s_add_u32 s1, s54, s1
	s_addc_u32 s54, 0, s55
	s_add_u32 s55, s0, s1
	s_cselect_b64 s[0:1], -1, 0
	s_cmp_lg_u64 s[0:1], 0
	s_addc_u32 s53, s53, s54
	s_mul_i32 s0, s49, s53
	s_mul_hi_u32 s1, s49, s55
	s_add_i32 s0, s1, s0
	s_mul_i32 s52, s52, s55
	s_add_i32 s0, s0, s52
	s_mul_i32 s49, s49, s55
	s_mul_hi_u32 s52, s53, s49
	s_mul_i32 s54, s53, s49
	s_mul_i32 s57, s55, s0
	s_mul_hi_u32 s49, s55, s49
	s_mul_hi_u32 s56, s55, s0
	s_add_u32 s49, s49, s57
	s_addc_u32 s56, 0, s56
	s_add_u32 s49, s49, s54
	s_mul_hi_u32 s1, s53, s0
	s_addc_u32 s49, s56, s52
	s_addc_u32 s1, s1, 0
	s_mul_i32 s0, s53, s0
	s_add_u32 s0, s49, s0
	s_addc_u32 s49, 0, s1
	s_add_u32 s52, s55, s0
	s_cselect_b64 s[0:1], -1, 0
	v_ashrrev_i32_e32 v3, 31, v11
	s_cmp_lg_u64 s[0:1], 0
	v_add_co_u32_e32 v12, vcc, v10, v3
	s_addc_u32 s49, s53, s49
	v_xor_b32_e32 v16, v12, v3
	v_mad_u64_u32 v[12:13], s[0:1], v16, s49, 0
	v_mul_hi_u32 v15, v16, s52
	v_addc_co_u32_e32 v14, vcc, v11, v3, vcc
	v_xor_b32_e32 v17, v14, v3
	v_add_co_u32_e32 v18, vcc, v15, v12
	v_addc_co_u32_e32 v19, vcc, 0, v13, vcc
	v_mad_u64_u32 v[12:13], s[0:1], v17, s52, 0
	v_mad_u64_u32 v[14:15], s[0:1], v17, s49, 0
	v_add_co_u32_e32 v12, vcc, v18, v12
	v_addc_co_u32_e32 v12, vcc, v19, v13, vcc
	v_addc_co_u32_e32 v13, vcc, 0, v15, vcc
	v_add_co_u32_e32 v14, vcc, v12, v14
	v_addc_co_u32_e32 v15, vcc, 0, v13, vcc
	v_mul_lo_u32 v18, s51, v14
	v_mul_lo_u32 v19, s50, v15
	v_mad_u64_u32 v[12:13], s[0:1], s50, v14, 0
	v_xor_b32_e32 v3, s48, v3
	v_add3_u32 v13, v13, v19, v18
	v_sub_u32_e32 v18, v17, v13
	v_mov_b32_e32 v19, s51
	v_sub_co_u32_e32 v12, vcc, v16, v12
	v_subb_co_u32_e64 v16, s[0:1], v18, v19, vcc
	v_subrev_co_u32_e64 v18, s[0:1], s50, v12
	v_subbrev_co_u32_e64 v16, s[0:1], 0, v16, s[0:1]
	v_cmp_le_u32_e64 s[0:1], s51, v16
	v_cndmask_b32_e64 v19, 0, -1, s[0:1]
	v_cmp_le_u32_e64 s[0:1], s50, v18
	v_cndmask_b32_e64 v18, 0, -1, s[0:1]
	v_cmp_eq_u32_e64 s[0:1], s51, v16
	v_cndmask_b32_e64 v16, v19, v18, s[0:1]
	v_add_co_u32_e64 v18, s[0:1], 2, v14
	v_subb_co_u32_e32 v13, vcc, v17, v13, vcc
	v_addc_co_u32_e64 v19, s[0:1], 0, v15, s[0:1]
	v_cmp_le_u32_e32 vcc, s51, v13
	v_add_co_u32_e64 v22, s[0:1], 1, v14
	v_cndmask_b32_e64 v17, 0, -1, vcc
	v_cmp_le_u32_e32 vcc, s50, v12
	v_addc_co_u32_e64 v23, s[0:1], 0, v15, s[0:1]
	v_cndmask_b32_e64 v12, 0, -1, vcc
	v_cmp_eq_u32_e32 vcc, s51, v13
	v_cmp_ne_u32_e64 s[0:1], 0, v16
	v_cndmask_b32_e32 v12, v17, v12, vcc
	v_cndmask_b32_e64 v16, v23, v19, s[0:1]
	v_cmp_ne_u32_e32 vcc, 0, v12
	v_cndmask_b32_e64 v13, v22, v18, s[0:1]
	v_cndmask_b32_e32 v12, v15, v16, vcc
	v_cndmask_b32_e32 v13, v14, v13, vcc
	v_xor_b32_e32 v14, v12, v3
	v_xor_b32_e32 v12, v13, v3
	v_sub_co_u32_e32 v12, vcc, v12, v3
	v_subb_co_u32_e32 v13, vcc, v14, v3, vcc
.LBB50_24:                              ;   in Loop: Header=BB50_22 Depth=2
	s_andn2_saveexec_b64 s[0:1], s[46:47]
	s_cbranch_execz .LBB50_26
; %bb.25:                               ;   in Loop: Header=BB50_22 Depth=2
	v_cvt_f32_u32_e32 v3, s44
	s_sub_i32 s46, 0, s44
	v_rcp_iflag_f32_e32 v3, v3
	v_mul_f32_e32 v3, 0x4f7ffffe, v3
	v_cvt_u32_f32_e32 v3, v3
	v_mul_lo_u32 v12, s46, v3
	v_mul_hi_u32 v12, v3, v12
	v_add_u32_e32 v3, v3, v12
	v_mul_hi_u32 v3, v10, v3
	v_mul_lo_u32 v12, v3, s44
	v_add_u32_e32 v13, 1, v3
	v_sub_u32_e32 v12, v10, v12
	v_subrev_u32_e32 v14, s44, v12
	v_cmp_le_u32_e32 vcc, s44, v12
	v_cndmask_b32_e32 v12, v12, v14, vcc
	v_cndmask_b32_e32 v3, v3, v13, vcc
	v_add_u32_e32 v13, 1, v3
	v_cmp_le_u32_e32 vcc, s44, v12
	v_cndmask_b32_e32 v12, v3, v13, vcc
	v_mov_b32_e32 v13, v2
.LBB50_26:                              ;   in Loop: Header=BB50_22 Depth=2
	s_or_b64 exec, exec, s[0:1]
	s_load_dwordx2 s[46:47], s[40:41], 0x10
	s_load_dwordx2 s[48:49], s[38:39], 0x18
                                        ; implicit-def: $vgpr14_vgpr15
	s_waitcnt lgkmcnt(0)
	v_or_b32_e32 v3, s47, v13
	v_cmp_ne_u64_e32 vcc, 0, v[2:3]
	s_and_saveexec_b64 s[0:1], vcc
	s_xor_b64 s[50:51], exec, s[0:1]
	s_cbranch_execz .LBB50_28
; %bb.27:                               ;   in Loop: Header=BB50_22 Depth=2
	s_ashr_i32 s52, s47, 31
	s_add_u32 s0, s46, s52
	s_mov_b32 s53, s52
	s_addc_u32 s1, s47, s52
	s_xor_b64 s[54:55], s[0:1], s[52:53]
	v_cvt_f32_u32_e32 v3, s54
	v_cvt_f32_u32_e32 v14, s55
	s_sub_u32 s53, 0, s54
	s_subb_u32 s56, 0, s55
	v_mac_f32_e32 v3, 0x4f800000, v14
	v_rcp_f32_e32 v3, v3
	v_mul_f32_e32 v3, 0x5f7ffffc, v3
	v_mul_f32_e32 v14, 0x2f800000, v3
	v_trunc_f32_e32 v14, v14
	v_mac_f32_e32 v3, 0xcf800000, v14
	v_cvt_u32_f32_e32 v14, v14
	v_cvt_u32_f32_e32 v3, v3
	v_readfirstlane_b32 s57, v14
	v_readfirstlane_b32 s0, v3
	s_mul_i32 s1, s53, s57
	s_mul_hi_u32 s59, s53, s0
	s_mul_i32 s58, s56, s0
	s_add_i32 s1, s59, s1
	s_add_i32 s1, s1, s58
	s_mul_i32 s60, s53, s0
	s_mul_i32 s59, s0, s1
	s_mul_hi_u32 s61, s0, s60
	s_mul_hi_u32 s58, s0, s1
	s_add_u32 s59, s61, s59
	s_addc_u32 s58, 0, s58
	s_mul_hi_u32 s62, s57, s60
	s_mul_i32 s60, s57, s60
	s_add_u32 s59, s59, s60
	s_mul_hi_u32 s61, s57, s1
	s_addc_u32 s58, s58, s62
	s_addc_u32 s59, s61, 0
	s_mul_i32 s1, s57, s1
	s_add_u32 s1, s58, s1
	s_addc_u32 s58, 0, s59
	s_add_u32 s59, s0, s1
	s_cselect_b64 s[0:1], -1, 0
	s_cmp_lg_u64 s[0:1], 0
	s_addc_u32 s57, s57, s58
	s_mul_i32 s0, s53, s57
	s_mul_hi_u32 s1, s53, s59
	s_add_i32 s0, s1, s0
	s_mul_i32 s56, s56, s59
	s_add_i32 s0, s0, s56
	s_mul_i32 s53, s53, s59
	s_mul_hi_u32 s56, s57, s53
	s_mul_i32 s58, s57, s53
	s_mul_i32 s61, s59, s0
	s_mul_hi_u32 s53, s59, s53
	s_mul_hi_u32 s60, s59, s0
	s_add_u32 s53, s53, s61
	s_addc_u32 s60, 0, s60
	s_add_u32 s53, s53, s58
	s_mul_hi_u32 s1, s57, s0
	s_addc_u32 s53, s60, s56
	s_addc_u32 s1, s1, 0
	s_mul_i32 s0, s57, s0
	s_add_u32 s0, s53, s0
	s_addc_u32 s53, 0, s1
	s_add_u32 s56, s59, s0
	s_cselect_b64 s[0:1], -1, 0
	v_ashrrev_i32_e32 v3, 31, v13
	s_cmp_lg_u64 s[0:1], 0
	v_add_co_u32_e32 v14, vcc, v12, v3
	s_addc_u32 s53, s57, s53
	v_xor_b32_e32 v18, v14, v3
	v_mad_u64_u32 v[14:15], s[0:1], v18, s53, 0
	v_mul_hi_u32 v17, v18, s56
	v_addc_co_u32_e32 v16, vcc, v13, v3, vcc
	v_xor_b32_e32 v19, v16, v3
	v_add_co_u32_e32 v22, vcc, v17, v14
	v_addc_co_u32_e32 v23, vcc, 0, v15, vcc
	v_mad_u64_u32 v[14:15], s[0:1], v19, s56, 0
	v_mad_u64_u32 v[16:17], s[0:1], v19, s53, 0
	v_add_co_u32_e32 v14, vcc, v22, v14
	v_addc_co_u32_e32 v14, vcc, v23, v15, vcc
	v_addc_co_u32_e32 v15, vcc, 0, v17, vcc
	v_add_co_u32_e32 v16, vcc, v14, v16
	v_addc_co_u32_e32 v17, vcc, 0, v15, vcc
	v_mul_lo_u32 v22, s55, v16
	v_mul_lo_u32 v23, s54, v17
	v_mad_u64_u32 v[14:15], s[0:1], s54, v16, 0
	v_xor_b32_e32 v3, s52, v3
	v_add3_u32 v15, v15, v23, v22
	v_sub_u32_e32 v22, v19, v15
	v_mov_b32_e32 v23, s55
	v_sub_co_u32_e32 v14, vcc, v18, v14
	v_subb_co_u32_e64 v18, s[0:1], v22, v23, vcc
	v_subrev_co_u32_e64 v22, s[0:1], s54, v14
	v_subbrev_co_u32_e64 v18, s[0:1], 0, v18, s[0:1]
	v_cmp_le_u32_e64 s[0:1], s55, v18
	v_cndmask_b32_e64 v23, 0, -1, s[0:1]
	v_cmp_le_u32_e64 s[0:1], s54, v22
	v_cndmask_b32_e64 v22, 0, -1, s[0:1]
	v_cmp_eq_u32_e64 s[0:1], s55, v18
	v_cndmask_b32_e64 v18, v23, v22, s[0:1]
	v_add_co_u32_e64 v22, s[0:1], 2, v16
	v_subb_co_u32_e32 v15, vcc, v19, v15, vcc
	v_addc_co_u32_e64 v23, s[0:1], 0, v17, s[0:1]
	v_cmp_le_u32_e32 vcc, s55, v15
	v_add_co_u32_e64 v24, s[0:1], 1, v16
	v_cndmask_b32_e64 v19, 0, -1, vcc
	v_cmp_le_u32_e32 vcc, s54, v14
	v_addc_co_u32_e64 v25, s[0:1], 0, v17, s[0:1]
	v_cndmask_b32_e64 v14, 0, -1, vcc
	v_cmp_eq_u32_e32 vcc, s55, v15
	v_cmp_ne_u32_e64 s[0:1], 0, v18
	v_cndmask_b32_e32 v14, v19, v14, vcc
	v_cndmask_b32_e64 v18, v25, v23, s[0:1]
	v_cmp_ne_u32_e32 vcc, 0, v14
	v_cndmask_b32_e64 v15, v24, v22, s[0:1]
	v_cndmask_b32_e32 v14, v17, v18, vcc
	v_cndmask_b32_e32 v15, v16, v15, vcc
	v_xor_b32_e32 v16, v14, v3
	v_xor_b32_e32 v14, v15, v3
	v_sub_co_u32_e32 v14, vcc, v14, v3
	v_subb_co_u32_e32 v15, vcc, v16, v3, vcc
.LBB50_28:                              ;   in Loop: Header=BB50_22 Depth=2
	s_andn2_saveexec_b64 s[0:1], s[50:51]
	s_cbranch_execz .LBB50_30
; %bb.29:                               ;   in Loop: Header=BB50_22 Depth=2
	v_cvt_f32_u32_e32 v3, s46
	s_sub_i32 s50, 0, s46
	v_rcp_iflag_f32_e32 v3, v3
	v_mul_f32_e32 v3, 0x4f7ffffe, v3
	v_cvt_u32_f32_e32 v3, v3
	v_mul_lo_u32 v14, s50, v3
	v_mul_hi_u32 v14, v3, v14
	v_add_u32_e32 v3, v3, v14
	v_mul_hi_u32 v3, v12, v3
	v_mul_lo_u32 v14, v3, s46
	v_add_u32_e32 v15, 1, v3
	v_sub_u32_e32 v14, v12, v14
	v_subrev_u32_e32 v16, s46, v14
	v_cmp_le_u32_e32 vcc, s46, v14
	v_cndmask_b32_e32 v14, v14, v16, vcc
	v_cndmask_b32_e32 v3, v3, v15, vcc
	v_add_u32_e32 v15, 1, v3
	v_cmp_le_u32_e32 vcc, s46, v14
	v_cndmask_b32_e32 v14, v3, v15, vcc
	v_mov_b32_e32 v15, v2
.LBB50_30:                              ;   in Loop: Header=BB50_22 Depth=2
	s_or_b64 exec, exec, s[0:1]
	s_load_dwordx2 s[50:51], s[40:41], 0x8
	s_load_dwordx2 s[52:53], s[38:39], 0x10
                                        ; implicit-def: $vgpr16_vgpr17
	s_waitcnt lgkmcnt(0)
	v_or_b32_e32 v3, s51, v15
	v_cmp_ne_u64_e32 vcc, 0, v[2:3]
	s_and_saveexec_b64 s[0:1], vcc
	s_xor_b64 s[54:55], exec, s[0:1]
	s_cbranch_execz .LBB50_32
; %bb.31:                               ;   in Loop: Header=BB50_22 Depth=2
	s_ashr_i32 s56, s51, 31
	s_add_u32 s0, s50, s56
	s_mov_b32 s57, s56
	s_addc_u32 s1, s51, s56
	s_xor_b64 s[58:59], s[0:1], s[56:57]
	v_cvt_f32_u32_e32 v3, s58
	v_cvt_f32_u32_e32 v16, s59
	s_sub_u32 s57, 0, s58
	s_subb_u32 s60, 0, s59
	v_mac_f32_e32 v3, 0x4f800000, v16
	v_rcp_f32_e32 v3, v3
	v_mul_f32_e32 v3, 0x5f7ffffc, v3
	v_mul_f32_e32 v16, 0x2f800000, v3
	v_trunc_f32_e32 v16, v16
	v_mac_f32_e32 v3, 0xcf800000, v16
	v_cvt_u32_f32_e32 v16, v16
	v_cvt_u32_f32_e32 v3, v3
	v_readfirstlane_b32 s61, v16
	v_readfirstlane_b32 s0, v3
	s_mul_i32 s1, s57, s61
	s_mul_hi_u32 s63, s57, s0
	s_mul_i32 s62, s60, s0
	s_add_i32 s1, s63, s1
	s_add_i32 s1, s1, s62
	s_mul_i32 s68, s57, s0
	s_mul_i32 s63, s0, s1
	s_mul_hi_u32 s69, s0, s68
	s_mul_hi_u32 s62, s0, s1
	s_add_u32 s63, s69, s63
	s_addc_u32 s62, 0, s62
	s_mul_hi_u32 s70, s61, s68
	s_mul_i32 s68, s61, s68
	s_add_u32 s63, s63, s68
	s_mul_hi_u32 s69, s61, s1
	s_addc_u32 s62, s62, s70
	s_addc_u32 s63, s69, 0
	s_mul_i32 s1, s61, s1
	s_add_u32 s1, s62, s1
	s_addc_u32 s62, 0, s63
	s_add_u32 s63, s0, s1
	s_cselect_b64 s[0:1], -1, 0
	s_cmp_lg_u64 s[0:1], 0
	s_addc_u32 s61, s61, s62
	s_mul_i32 s0, s57, s61
	s_mul_hi_u32 s1, s57, s63
	s_add_i32 s0, s1, s0
	s_mul_i32 s60, s60, s63
	s_add_i32 s0, s0, s60
	s_mul_i32 s57, s57, s63
	s_mul_hi_u32 s60, s61, s57
	s_mul_i32 s62, s61, s57
	s_mul_i32 s69, s63, s0
	s_mul_hi_u32 s57, s63, s57
	s_mul_hi_u32 s68, s63, s0
	s_add_u32 s57, s57, s69
	s_addc_u32 s68, 0, s68
	s_add_u32 s57, s57, s62
	s_mul_hi_u32 s1, s61, s0
	s_addc_u32 s57, s68, s60
	s_addc_u32 s1, s1, 0
	s_mul_i32 s0, s61, s0
	s_add_u32 s0, s57, s0
	s_addc_u32 s57, 0, s1
	s_add_u32 s60, s63, s0
	s_cselect_b64 s[0:1], -1, 0
	v_ashrrev_i32_e32 v3, 31, v15
	s_cmp_lg_u64 s[0:1], 0
	v_add_co_u32_e32 v16, vcc, v14, v3
	s_addc_u32 s57, s61, s57
	v_xor_b32_e32 v22, v16, v3
	v_mad_u64_u32 v[16:17], s[0:1], v22, s57, 0
	v_mul_hi_u32 v19, v22, s60
	v_addc_co_u32_e32 v18, vcc, v15, v3, vcc
	v_xor_b32_e32 v23, v18, v3
	v_add_co_u32_e32 v24, vcc, v19, v16
	v_addc_co_u32_e32 v25, vcc, 0, v17, vcc
	v_mad_u64_u32 v[16:17], s[0:1], v23, s60, 0
	v_mad_u64_u32 v[18:19], s[0:1], v23, s57, 0
	v_add_co_u32_e32 v16, vcc, v24, v16
	v_addc_co_u32_e32 v16, vcc, v25, v17, vcc
	v_addc_co_u32_e32 v17, vcc, 0, v19, vcc
	v_add_co_u32_e32 v18, vcc, v16, v18
	v_addc_co_u32_e32 v19, vcc, 0, v17, vcc
	v_mul_lo_u32 v24, s59, v18
	v_mul_lo_u32 v25, s58, v19
	v_mad_u64_u32 v[16:17], s[0:1], s58, v18, 0
	v_xor_b32_e32 v3, s56, v3
	v_add3_u32 v17, v17, v25, v24
	v_sub_u32_e32 v24, v23, v17
	v_mov_b32_e32 v25, s59
	v_sub_co_u32_e32 v16, vcc, v22, v16
	v_subb_co_u32_e64 v22, s[0:1], v24, v25, vcc
	v_subrev_co_u32_e64 v24, s[0:1], s58, v16
	v_subbrev_co_u32_e64 v22, s[0:1], 0, v22, s[0:1]
	v_cmp_le_u32_e64 s[0:1], s59, v22
	v_cndmask_b32_e64 v25, 0, -1, s[0:1]
	v_cmp_le_u32_e64 s[0:1], s58, v24
	v_cndmask_b32_e64 v24, 0, -1, s[0:1]
	v_cmp_eq_u32_e64 s[0:1], s59, v22
	v_cndmask_b32_e64 v22, v25, v24, s[0:1]
	v_add_co_u32_e64 v24, s[0:1], 2, v18
	v_subb_co_u32_e32 v17, vcc, v23, v17, vcc
	v_addc_co_u32_e64 v25, s[0:1], 0, v19, s[0:1]
	v_cmp_le_u32_e32 vcc, s59, v17
	v_add_co_u32_e64 v26, s[0:1], 1, v18
	v_cndmask_b32_e64 v23, 0, -1, vcc
	v_cmp_le_u32_e32 vcc, s58, v16
	v_addc_co_u32_e64 v27, s[0:1], 0, v19, s[0:1]
	v_cndmask_b32_e64 v16, 0, -1, vcc
	v_cmp_eq_u32_e32 vcc, s59, v17
	v_cmp_ne_u32_e64 s[0:1], 0, v22
	v_cndmask_b32_e32 v16, v23, v16, vcc
	v_cndmask_b32_e64 v22, v27, v25, s[0:1]
	v_cmp_ne_u32_e32 vcc, 0, v16
	v_cndmask_b32_e64 v17, v26, v24, s[0:1]
	v_cndmask_b32_e32 v16, v19, v22, vcc
	v_cndmask_b32_e32 v17, v18, v17, vcc
	v_xor_b32_e32 v18, v16, v3
	v_xor_b32_e32 v16, v17, v3
	v_sub_co_u32_e32 v16, vcc, v16, v3
	v_subb_co_u32_e32 v17, vcc, v18, v3, vcc
.LBB50_32:                              ;   in Loop: Header=BB50_22 Depth=2
	s_andn2_saveexec_b64 s[0:1], s[54:55]
	s_cbranch_execz .LBB50_34
; %bb.33:                               ;   in Loop: Header=BB50_22 Depth=2
	v_cvt_f32_u32_e32 v3, s50
	s_sub_i32 s54, 0, s50
	v_rcp_iflag_f32_e32 v3, v3
	v_mul_f32_e32 v3, 0x4f7ffffe, v3
	v_cvt_u32_f32_e32 v3, v3
	v_mul_lo_u32 v16, s54, v3
	v_mul_hi_u32 v16, v3, v16
	v_add_u32_e32 v3, v3, v16
	v_mul_hi_u32 v3, v14, v3
	v_mul_lo_u32 v16, v3, s50
	v_add_u32_e32 v17, 1, v3
	v_sub_u32_e32 v16, v14, v16
	v_subrev_u32_e32 v18, s50, v16
	v_cmp_le_u32_e32 vcc, s50, v16
	v_cndmask_b32_e32 v16, v16, v18, vcc
	v_cndmask_b32_e32 v3, v3, v17, vcc
	v_add_u32_e32 v17, 1, v3
	v_cmp_le_u32_e32 vcc, s50, v16
	v_cndmask_b32_e32 v16, v3, v17, vcc
	v_mov_b32_e32 v17, v2
.LBB50_34:                              ;   in Loop: Header=BB50_22 Depth=2
	s_or_b64 exec, exec, s[0:1]
	s_load_dwordx2 s[54:55], s[40:41], 0x0
	s_load_dwordx2 s[56:57], s[38:39], 0x8
                                        ; implicit-def: $vgpr18_vgpr19
	s_waitcnt lgkmcnt(0)
	v_or_b32_e32 v3, s55, v17
	v_cmp_ne_u64_e32 vcc, 0, v[2:3]
	s_and_saveexec_b64 s[0:1], vcc
	s_xor_b64 s[58:59], exec, s[0:1]
	s_cbranch_execz .LBB50_36
; %bb.35:                               ;   in Loop: Header=BB50_22 Depth=2
	s_ashr_i32 s60, s55, 31
	s_add_u32 s0, s54, s60
	s_mov_b32 s61, s60
	s_addc_u32 s1, s55, s60
	s_xor_b64 s[62:63], s[0:1], s[60:61]
	v_cvt_f32_u32_e32 v3, s62
	v_cvt_f32_u32_e32 v18, s63
	s_sub_u32 s61, 0, s62
	s_subb_u32 s68, 0, s63
	v_mac_f32_e32 v3, 0x4f800000, v18
	v_rcp_f32_e32 v3, v3
	v_mul_f32_e32 v3, 0x5f7ffffc, v3
	v_mul_f32_e32 v18, 0x2f800000, v3
	v_trunc_f32_e32 v18, v18
	v_mac_f32_e32 v3, 0xcf800000, v18
	v_cvt_u32_f32_e32 v18, v18
	v_cvt_u32_f32_e32 v3, v3
	v_readfirstlane_b32 s69, v18
	v_readfirstlane_b32 s0, v3
	s_mul_i32 s1, s61, s69
	s_mul_hi_u32 s71, s61, s0
	s_mul_i32 s70, s68, s0
	s_add_i32 s1, s71, s1
	s_add_i32 s1, s1, s70
	s_mul_i32 s72, s61, s0
	s_mul_i32 s71, s0, s1
	s_mul_hi_u32 s73, s0, s72
	s_mul_hi_u32 s70, s0, s1
	s_add_u32 s71, s73, s71
	s_addc_u32 s70, 0, s70
	s_mul_hi_u32 s74, s69, s72
	s_mul_i32 s72, s69, s72
	s_add_u32 s71, s71, s72
	s_mul_hi_u32 s73, s69, s1
	s_addc_u32 s70, s70, s74
	s_addc_u32 s71, s73, 0
	s_mul_i32 s1, s69, s1
	s_add_u32 s1, s70, s1
	s_addc_u32 s70, 0, s71
	s_add_u32 s71, s0, s1
	s_cselect_b64 s[0:1], -1, 0
	s_cmp_lg_u64 s[0:1], 0
	s_addc_u32 s69, s69, s70
	s_mul_i32 s0, s61, s69
	s_mul_hi_u32 s1, s61, s71
	s_add_i32 s0, s1, s0
	s_mul_i32 s68, s68, s71
	s_add_i32 s0, s0, s68
	s_mul_i32 s61, s61, s71
	s_mul_hi_u32 s68, s69, s61
	s_mul_i32 s70, s69, s61
	s_mul_i32 s73, s71, s0
	s_mul_hi_u32 s61, s71, s61
	s_mul_hi_u32 s72, s71, s0
	s_add_u32 s61, s61, s73
	s_addc_u32 s72, 0, s72
	s_add_u32 s61, s61, s70
	s_mul_hi_u32 s1, s69, s0
	s_addc_u32 s61, s72, s68
	s_addc_u32 s1, s1, 0
	s_mul_i32 s0, s69, s0
	s_add_u32 s0, s61, s0
	s_addc_u32 s61, 0, s1
	s_add_u32 s68, s71, s0
	s_cselect_b64 s[0:1], -1, 0
	v_ashrrev_i32_e32 v3, 31, v17
	s_cmp_lg_u64 s[0:1], 0
	v_add_co_u32_e32 v18, vcc, v16, v3
	s_addc_u32 s61, s69, s61
	v_xor_b32_e32 v24, v18, v3
	v_mad_u64_u32 v[18:19], s[0:1], v24, s61, 0
	v_mul_hi_u32 v23, v24, s68
	v_addc_co_u32_e32 v22, vcc, v17, v3, vcc
	v_xor_b32_e32 v25, v22, v3
	v_add_co_u32_e32 v26, vcc, v23, v18
	v_addc_co_u32_e32 v27, vcc, 0, v19, vcc
	v_mad_u64_u32 v[18:19], s[0:1], v25, s68, 0
	v_mad_u64_u32 v[22:23], s[0:1], v25, s61, 0
	v_add_co_u32_e32 v18, vcc, v26, v18
	v_addc_co_u32_e32 v18, vcc, v27, v19, vcc
	v_addc_co_u32_e32 v19, vcc, 0, v23, vcc
	v_add_co_u32_e32 v22, vcc, v18, v22
	v_addc_co_u32_e32 v23, vcc, 0, v19, vcc
	v_mul_lo_u32 v26, s63, v22
	v_mul_lo_u32 v27, s62, v23
	v_mad_u64_u32 v[18:19], s[0:1], s62, v22, 0
	v_xor_b32_e32 v3, s60, v3
	v_add3_u32 v19, v19, v27, v26
	v_sub_u32_e32 v26, v25, v19
	v_mov_b32_e32 v27, s63
	v_sub_co_u32_e32 v18, vcc, v24, v18
	v_subb_co_u32_e64 v24, s[0:1], v26, v27, vcc
	v_subrev_co_u32_e64 v26, s[0:1], s62, v18
	v_subbrev_co_u32_e64 v24, s[0:1], 0, v24, s[0:1]
	v_cmp_le_u32_e64 s[0:1], s63, v24
	v_cndmask_b32_e64 v27, 0, -1, s[0:1]
	v_cmp_le_u32_e64 s[0:1], s62, v26
	v_cndmask_b32_e64 v26, 0, -1, s[0:1]
	v_cmp_eq_u32_e64 s[0:1], s63, v24
	v_cndmask_b32_e64 v24, v27, v26, s[0:1]
	v_add_co_u32_e64 v26, s[0:1], 2, v22
	v_subb_co_u32_e32 v19, vcc, v25, v19, vcc
	v_addc_co_u32_e64 v27, s[0:1], 0, v23, s[0:1]
	v_cmp_le_u32_e32 vcc, s63, v19
	v_add_co_u32_e64 v28, s[0:1], 1, v22
	v_cndmask_b32_e64 v25, 0, -1, vcc
	v_cmp_le_u32_e32 vcc, s62, v18
	v_addc_co_u32_e64 v29, s[0:1], 0, v23, s[0:1]
	v_cndmask_b32_e64 v18, 0, -1, vcc
	v_cmp_eq_u32_e32 vcc, s63, v19
	v_cmp_ne_u32_e64 s[0:1], 0, v24
	v_cndmask_b32_e32 v18, v25, v18, vcc
	v_cndmask_b32_e64 v24, v29, v27, s[0:1]
	v_cmp_ne_u32_e32 vcc, 0, v18
	v_cndmask_b32_e64 v19, v28, v26, s[0:1]
	v_cndmask_b32_e32 v18, v23, v24, vcc
	v_cndmask_b32_e32 v19, v22, v19, vcc
	v_xor_b32_e32 v22, v18, v3
	v_xor_b32_e32 v18, v19, v3
	v_sub_co_u32_e32 v18, vcc, v18, v3
	v_subb_co_u32_e32 v19, vcc, v22, v3, vcc
.LBB50_36:                              ;   in Loop: Header=BB50_22 Depth=2
	s_andn2_saveexec_b64 s[0:1], s[58:59]
	s_cbranch_execz .LBB50_21
; %bb.37:                               ;   in Loop: Header=BB50_22 Depth=2
	v_cvt_f32_u32_e32 v3, s54
	s_sub_i32 s58, 0, s54
	v_rcp_iflag_f32_e32 v3, v3
	v_mul_f32_e32 v3, 0x4f7ffffe, v3
	v_cvt_u32_f32_e32 v3, v3
	v_mul_lo_u32 v18, s58, v3
	v_mul_hi_u32 v18, v3, v18
	v_add_u32_e32 v3, v3, v18
	v_mul_hi_u32 v3, v16, v3
	v_mul_lo_u32 v18, v3, s54
	v_add_u32_e32 v19, 1, v3
	v_sub_u32_e32 v18, v16, v18
	v_subrev_u32_e32 v22, s54, v18
	v_cmp_le_u32_e32 vcc, s54, v18
	v_cndmask_b32_e32 v18, v18, v22, vcc
	v_cndmask_b32_e32 v3, v3, v19, vcc
	v_add_u32_e32 v19, 1, v3
	v_cmp_le_u32_e32 vcc, s54, v18
	v_cndmask_b32_e32 v18, v3, v19, vcc
	v_mov_b32_e32 v19, v2
	s_branch .LBB50_21
.LBB50_38:                              ;   in Loop: Header=BB50_3 Depth=1
	s_load_dwordx2 s[38:39], s[22:23], 0x0
	s_waitcnt lgkmcnt(0)
	v_cmp_gt_i64_e32 vcc, s[38:39], v[4:5]
	s_and_b64 exec, exec, vcc
	s_cbranch_execz .LBB50_2
; %bb.39:                               ;   in Loop: Header=BB50_3 Depth=1
	v_mov_b32_e32 v3, s13
	v_cmp_lt_i64_e32 vcc, s[8:9], v[6:7]
	v_add_co_u32_e64 v6, s[0:1], s12, v8
	v_addc_co_u32_e64 v7, s[0:1], v3, v9, s[0:1]
	s_and_saveexec_b64 s[0:1], vcc
	s_cbranch_execz .LBB50_41
; %bb.40:                               ;   in Loop: Header=BB50_3 Depth=1
	global_store_byte v[6:7], v2, off
.LBB50_41:                              ;   in Loop: Header=BB50_3 Depth=1
	s_or_b64 exec, exec, s[0:1]
	v_add_co_u32_e32 v8, vcc, 1, v4
	v_addc_co_u32_e32 v9, vcc, 0, v5, vcc
	v_cmp_gt_i64_e32 vcc, s[38:39], v[8:9]
	s_and_b64 exec, exec, vcc
	s_cbranch_execz .LBB50_2
; %bb.42:                               ;   in Loop: Header=BB50_3 Depth=1
	v_sub_co_u32_e32 v8, vcc, v8, v20
	v_subb_co_u32_e32 v9, vcc, v9, v21, vcc
	v_cmp_lt_i64_e32 vcc, s[8:9], v[8:9]
	s_and_saveexec_b64 s[0:1], vcc
	s_cbranch_execz .LBB50_44
; %bb.43:                               ;   in Loop: Header=BB50_3 Depth=1
	v_mov_b32_e32 v3, s3
	v_add_co_u32_e32 v8, vcc, s2, v6
	v_addc_co_u32_e32 v9, vcc, v7, v3, vcc
	global_store_byte v[8:9], v2, off
.LBB50_44:                              ;   in Loop: Header=BB50_3 Depth=1
	s_or_b64 exec, exec, s[0:1]
	v_add_co_u32_e32 v8, vcc, 2, v4
	v_addc_co_u32_e32 v9, vcc, 0, v5, vcc
	v_cmp_gt_i64_e32 vcc, s[38:39], v[8:9]
	s_and_b64 exec, exec, vcc
	s_cbranch_execz .LBB50_2
; %bb.45:                               ;   in Loop: Header=BB50_3 Depth=1
	v_sub_co_u32_e32 v8, vcc, v8, v20
	v_subb_co_u32_e32 v9, vcc, v9, v21, vcc
	v_cmp_lt_i64_e32 vcc, s[8:9], v[8:9]
	s_and_saveexec_b64 s[0:1], vcc
	s_cbranch_execz .LBB50_47
; %bb.46:                               ;   in Loop: Header=BB50_3 Depth=1
	s_lshl_b64 s[40:41], s[2:3], 1
	v_mov_b32_e32 v3, s41
	v_add_co_u32_e32 v8, vcc, s40, v6
	v_addc_co_u32_e32 v9, vcc, v7, v3, vcc
	global_store_byte v[8:9], v2, off
.LBB50_47:                              ;   in Loop: Header=BB50_3 Depth=1
	s_or_b64 exec, exec, s[0:1]
	v_add_co_u32_e32 v3, vcc, 3, v4
	v_addc_co_u32_e32 v4, vcc, 0, v5, vcc
	v_cmp_gt_i64_e32 vcc, s[38:39], v[3:4]
	v_sub_co_u32_e64 v3, s[0:1], v3, v20
	v_subb_co_u32_e64 v4, s[0:1], v4, v21, s[0:1]
	v_cmp_lt_i64_e64 s[0:1], s[8:9], v[3:4]
	s_and_b64 s[0:1], vcc, s[0:1]
	s_and_b64 exec, exec, s[0:1]
	s_cbranch_execz .LBB50_2
; %bb.48:                               ;   in Loop: Header=BB50_3 Depth=1
	v_mad_u64_u32 v[3:4], s[0:1], s2, 3, v[6:7]
	v_mad_u64_u32 v[4:5], s[0:1], s3, 3, v[4:5]
	global_store_byte v[3:4], v2, off
	s_branch .LBB50_2
.LBB50_49:
	s_endpgm
	.section	.rodata,"a",@progbits
	.p2align	6, 0x0
	.amdhsa_kernel _ZN2at6native16triu_tril_kernelIblLb0ELi4ELb1EEEvNS_4cuda6detail10TensorInfoIT_T0_EENS4_IKS5_S6_EEllS6_
		.amdhsa_group_segment_fixed_size 0
		.amdhsa_private_segment_fixed_size 0
		.amdhsa_kernarg_size 1112
		.amdhsa_user_sgpr_count 6
		.amdhsa_user_sgpr_private_segment_buffer 1
		.amdhsa_user_sgpr_dispatch_ptr 0
		.amdhsa_user_sgpr_queue_ptr 0
		.amdhsa_user_sgpr_kernarg_segment_ptr 1
		.amdhsa_user_sgpr_dispatch_id 0
		.amdhsa_user_sgpr_flat_scratch_init 0
		.amdhsa_user_sgpr_private_segment_size 0
		.amdhsa_uses_dynamic_stack 0
		.amdhsa_system_sgpr_private_segment_wavefront_offset 0
		.amdhsa_system_sgpr_workgroup_id_x 1
		.amdhsa_system_sgpr_workgroup_id_y 0
		.amdhsa_system_sgpr_workgroup_id_z 0
		.amdhsa_system_sgpr_workgroup_info 0
		.amdhsa_system_vgpr_workitem_id 0
		.amdhsa_next_free_vgpr 30
		.amdhsa_next_free_sgpr 75
		.amdhsa_reserve_vcc 1
		.amdhsa_reserve_flat_scratch 0
		.amdhsa_float_round_mode_32 0
		.amdhsa_float_round_mode_16_64 0
		.amdhsa_float_denorm_mode_32 3
		.amdhsa_float_denorm_mode_16_64 3
		.amdhsa_dx10_clamp 1
		.amdhsa_ieee_mode 1
		.amdhsa_fp16_overflow 0
		.amdhsa_exception_fp_ieee_invalid_op 0
		.amdhsa_exception_fp_denorm_src 0
		.amdhsa_exception_fp_ieee_div_zero 0
		.amdhsa_exception_fp_ieee_overflow 0
		.amdhsa_exception_fp_ieee_underflow 0
		.amdhsa_exception_fp_ieee_inexact 0
		.amdhsa_exception_int_div_zero 0
	.end_amdhsa_kernel
	.section	.text._ZN2at6native16triu_tril_kernelIblLb0ELi4ELb1EEEvNS_4cuda6detail10TensorInfoIT_T0_EENS4_IKS5_S6_EEllS6_,"axG",@progbits,_ZN2at6native16triu_tril_kernelIblLb0ELi4ELb1EEEvNS_4cuda6detail10TensorInfoIT_T0_EENS4_IKS5_S6_EEllS6_,comdat
.Lfunc_end50:
	.size	_ZN2at6native16triu_tril_kernelIblLb0ELi4ELb1EEEvNS_4cuda6detail10TensorInfoIT_T0_EENS4_IKS5_S6_EEllS6_, .Lfunc_end50-_ZN2at6native16triu_tril_kernelIblLb0ELi4ELb1EEEvNS_4cuda6detail10TensorInfoIT_T0_EENS4_IKS5_S6_EEllS6_
                                        ; -- End function
	.set _ZN2at6native16triu_tril_kernelIblLb0ELi4ELb1EEEvNS_4cuda6detail10TensorInfoIT_T0_EENS4_IKS5_S6_EEllS6_.num_vgpr, 30
	.set _ZN2at6native16triu_tril_kernelIblLb0ELi4ELb1EEEvNS_4cuda6detail10TensorInfoIT_T0_EENS4_IKS5_S6_EEllS6_.num_agpr, 0
	.set _ZN2at6native16triu_tril_kernelIblLb0ELi4ELb1EEEvNS_4cuda6detail10TensorInfoIT_T0_EENS4_IKS5_S6_EEllS6_.numbered_sgpr, 75
	.set _ZN2at6native16triu_tril_kernelIblLb0ELi4ELb1EEEvNS_4cuda6detail10TensorInfoIT_T0_EENS4_IKS5_S6_EEllS6_.num_named_barrier, 0
	.set _ZN2at6native16triu_tril_kernelIblLb0ELi4ELb1EEEvNS_4cuda6detail10TensorInfoIT_T0_EENS4_IKS5_S6_EEllS6_.private_seg_size, 0
	.set _ZN2at6native16triu_tril_kernelIblLb0ELi4ELb1EEEvNS_4cuda6detail10TensorInfoIT_T0_EENS4_IKS5_S6_EEllS6_.uses_vcc, 1
	.set _ZN2at6native16triu_tril_kernelIblLb0ELi4ELb1EEEvNS_4cuda6detail10TensorInfoIT_T0_EENS4_IKS5_S6_EEllS6_.uses_flat_scratch, 0
	.set _ZN2at6native16triu_tril_kernelIblLb0ELi4ELb1EEEvNS_4cuda6detail10TensorInfoIT_T0_EENS4_IKS5_S6_EEllS6_.has_dyn_sized_stack, 0
	.set _ZN2at6native16triu_tril_kernelIblLb0ELi4ELb1EEEvNS_4cuda6detail10TensorInfoIT_T0_EENS4_IKS5_S6_EEllS6_.has_recursion, 0
	.set _ZN2at6native16triu_tril_kernelIblLb0ELi4ELb1EEEvNS_4cuda6detail10TensorInfoIT_T0_EENS4_IKS5_S6_EEllS6_.has_indirect_call, 0
	.section	.AMDGPU.csdata,"",@progbits
; Kernel info:
; codeLenInByte = 6596
; TotalNumSgprs: 79
; NumVgprs: 30
; ScratchSize: 0
; MemoryBound: 0
; FloatMode: 240
; IeeeMode: 1
; LDSByteSize: 0 bytes/workgroup (compile time only)
; SGPRBlocks: 9
; VGPRBlocks: 7
; NumSGPRsForWavesPerEU: 79
; NumVGPRsForWavesPerEU: 30
; Occupancy: 8
; WaveLimiterHint : 0
; COMPUTE_PGM_RSRC2:SCRATCH_EN: 0
; COMPUTE_PGM_RSRC2:USER_SGPR: 6
; COMPUTE_PGM_RSRC2:TRAP_HANDLER: 0
; COMPUTE_PGM_RSRC2:TGID_X_EN: 1
; COMPUTE_PGM_RSRC2:TGID_Y_EN: 0
; COMPUTE_PGM_RSRC2:TGID_Z_EN: 0
; COMPUTE_PGM_RSRC2:TIDIG_COMP_CNT: 0
	.section	.text._ZN2at6native16triu_tril_kernelIblLb0ELi4ELb0EEEvNS_4cuda6detail10TensorInfoIT_T0_EENS4_IKS5_S6_EEllS6_,"axG",@progbits,_ZN2at6native16triu_tril_kernelIblLb0ELi4ELb0EEEvNS_4cuda6detail10TensorInfoIT_T0_EENS4_IKS5_S6_EEllS6_,comdat
	.protected	_ZN2at6native16triu_tril_kernelIblLb0ELi4ELb0EEEvNS_4cuda6detail10TensorInfoIT_T0_EENS4_IKS5_S6_EEllS6_ ; -- Begin function _ZN2at6native16triu_tril_kernelIblLb0ELi4ELb0EEEvNS_4cuda6detail10TensorInfoIT_T0_EENS4_IKS5_S6_EEllS6_
	.globl	_ZN2at6native16triu_tril_kernelIblLb0ELi4ELb0EEEvNS_4cuda6detail10TensorInfoIT_T0_EENS4_IKS5_S6_EEllS6_
	.p2align	8
	.type	_ZN2at6native16triu_tril_kernelIblLb0ELi4ELb0EEEvNS_4cuda6detail10TensorInfoIT_T0_EENS4_IKS5_S6_EEllS6_,@function
_ZN2at6native16triu_tril_kernelIblLb0ELi4ELb0EEEvNS_4cuda6detail10TensorInfoIT_T0_EENS4_IKS5_S6_EEllS6_: ; @_ZN2at6native16triu_tril_kernelIblLb0ELi4ELb0EEEvNS_4cuda6detail10TensorInfoIT_T0_EENS4_IKS5_S6_EEllS6_
; %bb.0:
	s_load_dword s2, s[4:5], 0x364
	s_load_dwordx4 s[8:11], s[4:5], 0x340
	s_add_u32 s0, s4, 0x358
	v_mov_b32_e32 v2, 0
	s_addc_u32 s1, s5, 0
	s_waitcnt lgkmcnt(0)
	s_and_b32 s2, s2, 0xffff
	v_mov_b32_e32 v1, v2
	v_mov_b32_e32 v3, s6
	v_mad_u64_u32 v[0:1], s[6:7], s2, v3, v[0:1]
	s_mov_b32 s33, 0xffff
	v_lshlrev_b64 v[0:1], 2, v[0:1]
	v_cmp_gt_i64_e32 vcc, s[10:11], v[0:1]
	s_and_saveexec_b64 s[6:7], vcc
	s_cbranch_execz .LBB51_44
; %bb.1:
	s_load_dword s3, s[0:1], 0x0
	s_load_dword s26, s[4:5], 0x338
	s_add_u32 s62, s4, 0x1a0
	s_addc_u32 s63, s5, 0
	s_load_dwordx2 s[6:7], s[4:5], 0x1a0
	s_waitcnt lgkmcnt(0)
	s_mul_i32 s34, s3, s2
	s_ashr_i32 s27, s26, 31
	s_lshl_b64 s[0:1], s[26:27], 3
	s_add_u32 s2, s62, s0
	s_addc_u32 s3, s63, s1
	s_add_u32 s20, s2, -8
	s_addc_u32 s21, s3, -1
	s_add_u32 s0, s4, s0
	v_cmp_gt_i64_e64 s[24:25], s[26:27], 2
	s_addc_u32 s1, s5, s1
	s_add_i32 s26, s26, -3
	s_ashr_i32 s27, s26, 31
	s_lshl_b32 s64, s34, 2
	s_bitcmp0_b32 s26, 0
	s_load_dwordx4 s[12:15], s[20:21], 0x0
	s_load_dwordx4 s[16:19], s[2:3], 0xc0
	s_cselect_b64 s[34:35], -1, 0
	s_load_dwordx4 s[20:23], s[0:1], 0xc0
	s_lshl_b64 s[0:1], s[26:27], 3
	s_add_u32 s36, s62, s0
	s_addc_u32 s37, s63, s1
	s_add_u32 s38, s4, s0
	s_addc_u32 s39, s5, s1
	s_load_dwordx2 s[28:29], s[4:5], 0x350
	s_load_dwordx2 s[30:31], s[4:5], 0x0
	s_add_u32 s40, s26, -1
	s_addc_u32 s41, s27, -1
	s_cmp_lg_u32 s26, 0
	s_cselect_b64 s[42:43], -1, 0
	s_add_u32 s65, s4, 0xc8
	s_addc_u32 s66, s5, 0
	s_mov_b64 s[44:45], 0
	v_mov_b32_e32 v16, 1
	s_branch .LBB51_3
.LBB51_2:                               ;   in Loop: Header=BB51_3 Depth=1
	s_or_b64 exec, exec, s[0:1]
	v_add_co_u32_e32 v0, vcc, s64, v0
	v_addc_co_u32_e32 v1, vcc, 0, v1, vcc
	v_cmp_le_i64_e32 vcc, s[10:11], v[0:1]
	s_or_b64 s[44:45], vcc, s[44:45]
	s_andn2_b64 exec, exec, s[44:45]
	s_cbranch_execz .LBB51_44
.LBB51_3:                               ; =>This Loop Header: Depth=1
                                        ;     Child Loop BB51_21 Depth 2
	s_waitcnt lgkmcnt(0)
	v_or_b32_e32 v3, s29, v1
	v_cmp_ne_u64_e32 vcc, 0, v[2:3]
                                        ; implicit-def: $vgpr6_vgpr7
	s_and_saveexec_b64 s[0:1], vcc
	s_xor_b64 s[2:3], exec, s[0:1]
	s_cbranch_execz .LBB51_5
; %bb.4:                                ;   in Loop: Header=BB51_3 Depth=1
	s_ashr_i32 s4, s29, 31
	s_add_u32 s0, s28, s4
	s_mov_b32 s5, s4
	s_addc_u32 s1, s29, s4
	s_xor_b64 s[46:47], s[0:1], s[4:5]
	v_cvt_f32_u32_e32 v3, s46
	v_cvt_f32_u32_e32 v4, s47
	s_sub_u32 s5, 0, s46
	s_subb_u32 s48, 0, s47
	v_ashrrev_i32_e32 v7, 31, v1
	v_mac_f32_e32 v3, 0x4f800000, v4
	v_rcp_f32_e32 v3, v3
	v_mul_f32_e32 v3, 0x5f7ffffc, v3
	v_mul_f32_e32 v4, 0x2f800000, v3
	v_trunc_f32_e32 v4, v4
	v_mac_f32_e32 v3, 0xcf800000, v4
	v_cvt_u32_f32_e32 v4, v4
	v_cvt_u32_f32_e32 v3, v3
	v_readfirstlane_b32 s49, v4
	v_readfirstlane_b32 s0, v3
	s_mul_i32 s1, s5, s49
	s_mul_hi_u32 s51, s5, s0
	s_mul_i32 s50, s48, s0
	s_add_i32 s1, s51, s1
	s_add_i32 s1, s1, s50
	s_mul_i32 s52, s5, s0
	s_mul_i32 s51, s0, s1
	s_mul_hi_u32 s53, s0, s52
	s_mul_hi_u32 s50, s0, s1
	s_add_u32 s51, s53, s51
	s_addc_u32 s50, 0, s50
	s_mul_hi_u32 s54, s49, s52
	s_mul_i32 s52, s49, s52
	s_add_u32 s51, s51, s52
	s_mul_hi_u32 s53, s49, s1
	s_addc_u32 s50, s50, s54
	s_addc_u32 s51, s53, 0
	s_mul_i32 s1, s49, s1
	s_add_u32 s1, s50, s1
	s_addc_u32 s50, 0, s51
	s_add_u32 s51, s0, s1
	s_cselect_b64 s[0:1], -1, 0
	s_cmp_lg_u64 s[0:1], 0
	s_addc_u32 s49, s49, s50
	s_mul_i32 s0, s5, s49
	s_mul_hi_u32 s1, s5, s51
	s_add_i32 s0, s1, s0
	s_mul_i32 s48, s48, s51
	s_add_i32 s0, s0, s48
	s_mul_i32 s5, s5, s51
	s_mul_hi_u32 s48, s49, s5
	s_mul_i32 s50, s49, s5
	s_mul_i32 s53, s51, s0
	s_mul_hi_u32 s5, s51, s5
	s_mul_hi_u32 s52, s51, s0
	s_add_u32 s5, s5, s53
	s_addc_u32 s52, 0, s52
	s_add_u32 s5, s5, s50
	s_mul_hi_u32 s1, s49, s0
	s_addc_u32 s5, s52, s48
	s_addc_u32 s1, s1, 0
	s_mul_i32 s0, s49, s0
	s_add_u32 s0, s5, s0
	s_addc_u32 s5, 0, s1
	s_add_u32 s48, s51, s0
	s_cselect_b64 s[0:1], -1, 0
	s_cmp_lg_u64 s[0:1], 0
	v_add_co_u32_e32 v3, vcc, v0, v7
	s_addc_u32 s5, s49, s5
	v_xor_b32_e32 v8, v3, v7
	v_mad_u64_u32 v[3:4], s[0:1], v8, s5, 0
	v_mul_hi_u32 v6, v8, s48
	v_addc_co_u32_e32 v5, vcc, v1, v7, vcc
	v_xor_b32_e32 v9, v5, v7
	v_add_co_u32_e32 v10, vcc, v6, v3
	v_addc_co_u32_e32 v11, vcc, 0, v4, vcc
	v_mad_u64_u32 v[3:4], s[0:1], v9, s48, 0
	v_mad_u64_u32 v[5:6], s[0:1], v9, s5, 0
	v_add_co_u32_e32 v3, vcc, v10, v3
	v_addc_co_u32_e32 v3, vcc, v11, v4, vcc
	v_addc_co_u32_e32 v4, vcc, 0, v6, vcc
	v_add_co_u32_e32 v5, vcc, v3, v5
	v_addc_co_u32_e32 v6, vcc, 0, v4, vcc
	v_mul_lo_u32 v10, s47, v5
	v_mul_lo_u32 v11, s46, v6
	v_mad_u64_u32 v[3:4], s[0:1], s46, v5, 0
	v_add3_u32 v4, v4, v11, v10
	v_sub_u32_e32 v10, v9, v4
	v_mov_b32_e32 v11, s47
	v_sub_co_u32_e32 v3, vcc, v8, v3
	v_subb_co_u32_e64 v8, s[0:1], v10, v11, vcc
	v_subrev_co_u32_e64 v10, s[0:1], s46, v3
	v_subbrev_co_u32_e64 v8, s[0:1], 0, v8, s[0:1]
	v_cmp_le_u32_e64 s[0:1], s47, v8
	v_cndmask_b32_e64 v11, 0, -1, s[0:1]
	v_cmp_le_u32_e64 s[0:1], s46, v10
	v_cndmask_b32_e64 v10, 0, -1, s[0:1]
	v_cmp_eq_u32_e64 s[0:1], s47, v8
	v_cndmask_b32_e64 v8, v11, v10, s[0:1]
	v_add_co_u32_e64 v10, s[0:1], 2, v5
	v_subb_co_u32_e32 v4, vcc, v9, v4, vcc
	v_addc_co_u32_e64 v11, s[0:1], 0, v6, s[0:1]
	v_cmp_le_u32_e32 vcc, s47, v4
	v_add_co_u32_e64 v12, s[0:1], 1, v5
	v_cndmask_b32_e64 v9, 0, -1, vcc
	v_cmp_le_u32_e32 vcc, s46, v3
	v_addc_co_u32_e64 v13, s[0:1], 0, v6, s[0:1]
	v_cndmask_b32_e64 v3, 0, -1, vcc
	v_cmp_eq_u32_e32 vcc, s47, v4
	v_cmp_ne_u32_e64 s[0:1], 0, v8
	v_cndmask_b32_e32 v3, v9, v3, vcc
	v_cmp_ne_u32_e32 vcc, 0, v3
	v_cndmask_b32_e64 v4, v12, v10, s[0:1]
	v_cndmask_b32_e64 v8, v13, v11, s[0:1]
	v_cndmask_b32_e32 v4, v5, v4, vcc
	v_xor_b32_e32 v5, s4, v7
	v_cndmask_b32_e32 v3, v6, v8, vcc
	v_xor_b32_e32 v4, v4, v5
	v_xor_b32_e32 v3, v3, v5
	v_sub_co_u32_e32 v6, vcc, v4, v5
	v_subb_co_u32_e32 v7, vcc, v3, v5, vcc
.LBB51_5:                               ;   in Loop: Header=BB51_3 Depth=1
	s_andn2_saveexec_b64 s[0:1], s[2:3]
	s_cbranch_execz .LBB51_7
; %bb.6:                                ;   in Loop: Header=BB51_3 Depth=1
	v_cvt_f32_u32_e32 v3, s28
	s_sub_i32 s2, 0, s28
	v_mov_b32_e32 v7, v2
	v_rcp_iflag_f32_e32 v3, v3
	v_mul_f32_e32 v3, 0x4f7ffffe, v3
	v_cvt_u32_f32_e32 v3, v3
	v_mul_lo_u32 v4, s2, v3
	v_mul_hi_u32 v4, v3, v4
	v_add_u32_e32 v3, v3, v4
	v_mul_hi_u32 v3, v0, v3
	v_mul_lo_u32 v4, v3, s28
	v_add_u32_e32 v5, 1, v3
	v_sub_u32_e32 v4, v0, v4
	v_subrev_u32_e32 v6, s28, v4
	v_cmp_le_u32_e32 vcc, s28, v4
	v_cndmask_b32_e32 v4, v4, v6, vcc
	v_cndmask_b32_e32 v3, v3, v5, vcc
	v_add_u32_e32 v5, 1, v3
	v_cmp_le_u32_e32 vcc, s28, v4
	v_cndmask_b32_e32 v6, v3, v5, vcc
.LBB51_7:                               ;   in Loop: Header=BB51_3 Depth=1
	s_or_b64 exec, exec, s[0:1]
	v_or_b32_e32 v3, s13, v7
	v_cmp_ne_u64_e32 vcc, 0, v[2:3]
                                        ; implicit-def: $vgpr10_vgpr11
	s_and_saveexec_b64 s[0:1], vcc
	s_xor_b64 s[2:3], exec, s[0:1]
	s_cbranch_execz .LBB51_9
; %bb.8:                                ;   in Loop: Header=BB51_3 Depth=1
	s_ashr_i32 s4, s13, 31
	s_add_u32 s0, s12, s4
	s_mov_b32 s5, s4
	s_addc_u32 s1, s13, s4
	s_xor_b64 s[46:47], s[0:1], s[4:5]
	v_cvt_f32_u32_e32 v3, s46
	v_cvt_f32_u32_e32 v4, s47
	s_sub_u32 s5, 0, s46
	s_subb_u32 s48, 0, s47
	v_ashrrev_i32_e32 v5, 31, v7
	v_mac_f32_e32 v3, 0x4f800000, v4
	v_rcp_f32_e32 v3, v3
	v_mul_f32_e32 v3, 0x5f7ffffc, v3
	v_mul_f32_e32 v4, 0x2f800000, v3
	v_trunc_f32_e32 v4, v4
	v_mac_f32_e32 v3, 0xcf800000, v4
	v_cvt_u32_f32_e32 v4, v4
	v_cvt_u32_f32_e32 v3, v3
	v_readfirstlane_b32 s49, v4
	v_readfirstlane_b32 s0, v3
	s_mul_i32 s1, s5, s49
	s_mul_hi_u32 s51, s5, s0
	s_mul_i32 s50, s48, s0
	s_add_i32 s1, s51, s1
	s_add_i32 s1, s1, s50
	s_mul_i32 s52, s5, s0
	s_mul_i32 s51, s0, s1
	s_mul_hi_u32 s53, s0, s52
	s_mul_hi_u32 s50, s0, s1
	s_add_u32 s51, s53, s51
	s_addc_u32 s50, 0, s50
	s_mul_hi_u32 s54, s49, s52
	s_mul_i32 s52, s49, s52
	s_add_u32 s51, s51, s52
	s_mul_hi_u32 s53, s49, s1
	s_addc_u32 s50, s50, s54
	s_addc_u32 s51, s53, 0
	s_mul_i32 s1, s49, s1
	s_add_u32 s1, s50, s1
	s_addc_u32 s50, 0, s51
	s_add_u32 s51, s0, s1
	s_cselect_b64 s[0:1], -1, 0
	s_cmp_lg_u64 s[0:1], 0
	s_addc_u32 s49, s49, s50
	s_mul_i32 s0, s5, s49
	s_mul_hi_u32 s1, s5, s51
	s_add_i32 s0, s1, s0
	s_mul_i32 s48, s48, s51
	s_add_i32 s0, s0, s48
	s_mul_i32 s5, s5, s51
	s_mul_hi_u32 s48, s49, s5
	s_mul_i32 s50, s49, s5
	s_mul_i32 s53, s51, s0
	s_mul_hi_u32 s5, s51, s5
	s_mul_hi_u32 s52, s51, s0
	s_add_u32 s5, s5, s53
	s_addc_u32 s52, 0, s52
	s_add_u32 s5, s5, s50
	s_mul_hi_u32 s1, s49, s0
	s_addc_u32 s5, s52, s48
	s_addc_u32 s1, s1, 0
	s_mul_i32 s0, s49, s0
	s_add_u32 s0, s5, s0
	s_addc_u32 s5, 0, s1
	s_add_u32 s48, s51, s0
	s_cselect_b64 s[0:1], -1, 0
	s_cmp_lg_u64 s[0:1], 0
	v_add_co_u32_e32 v3, vcc, v6, v5
	s_addc_u32 s5, s49, s5
	v_xor_b32_e32 v10, v3, v5
	v_mad_u64_u32 v[3:4], s[0:1], v10, s5, 0
	v_mul_hi_u32 v9, v10, s48
	v_addc_co_u32_e32 v8, vcc, v7, v5, vcc
	v_xor_b32_e32 v11, v8, v5
	v_add_co_u32_e32 v12, vcc, v9, v3
	v_addc_co_u32_e32 v13, vcc, 0, v4, vcc
	v_mad_u64_u32 v[3:4], s[0:1], v11, s48, 0
	v_mad_u64_u32 v[8:9], s[0:1], v11, s5, 0
	v_add_co_u32_e32 v3, vcc, v12, v3
	v_addc_co_u32_e32 v3, vcc, v13, v4, vcc
	v_addc_co_u32_e32 v4, vcc, 0, v9, vcc
	v_add_co_u32_e32 v8, vcc, v3, v8
	v_addc_co_u32_e32 v9, vcc, 0, v4, vcc
	v_mul_lo_u32 v12, s47, v8
	v_mul_lo_u32 v13, s46, v9
	v_mad_u64_u32 v[3:4], s[0:1], s46, v8, 0
	v_xor_b32_e32 v5, s4, v5
	v_add3_u32 v4, v4, v13, v12
	v_sub_u32_e32 v12, v11, v4
	v_mov_b32_e32 v13, s47
	v_sub_co_u32_e32 v3, vcc, v10, v3
	v_subb_co_u32_e64 v10, s[0:1], v12, v13, vcc
	v_subrev_co_u32_e64 v12, s[0:1], s46, v3
	v_subbrev_co_u32_e64 v10, s[0:1], 0, v10, s[0:1]
	v_cmp_le_u32_e64 s[0:1], s47, v10
	v_cndmask_b32_e64 v13, 0, -1, s[0:1]
	v_cmp_le_u32_e64 s[0:1], s46, v12
	v_cndmask_b32_e64 v12, 0, -1, s[0:1]
	v_cmp_eq_u32_e64 s[0:1], s47, v10
	v_cndmask_b32_e64 v10, v13, v12, s[0:1]
	v_add_co_u32_e64 v12, s[0:1], 2, v8
	v_subb_co_u32_e32 v4, vcc, v11, v4, vcc
	v_addc_co_u32_e64 v13, s[0:1], 0, v9, s[0:1]
	v_cmp_le_u32_e32 vcc, s47, v4
	v_add_co_u32_e64 v14, s[0:1], 1, v8
	v_cndmask_b32_e64 v11, 0, -1, vcc
	v_cmp_le_u32_e32 vcc, s46, v3
	v_addc_co_u32_e64 v15, s[0:1], 0, v9, s[0:1]
	v_cndmask_b32_e64 v3, 0, -1, vcc
	v_cmp_eq_u32_e32 vcc, s47, v4
	v_cmp_ne_u32_e64 s[0:1], 0, v10
	v_cndmask_b32_e32 v3, v11, v3, vcc
	v_cmp_ne_u32_e32 vcc, 0, v3
	v_cndmask_b32_e64 v4, v14, v12, s[0:1]
	v_cndmask_b32_e64 v10, v15, v13, s[0:1]
	v_cndmask_b32_e32 v4, v8, v4, vcc
	v_cndmask_b32_e32 v3, v9, v10, vcc
	v_xor_b32_e32 v4, v4, v5
	v_xor_b32_e32 v3, v3, v5
	v_sub_co_u32_e32 v10, vcc, v4, v5
	v_subb_co_u32_e32 v11, vcc, v3, v5, vcc
.LBB51_9:                               ;   in Loop: Header=BB51_3 Depth=1
	s_andn2_saveexec_b64 s[0:1], s[2:3]
	s_cbranch_execz .LBB51_11
; %bb.10:                               ;   in Loop: Header=BB51_3 Depth=1
	v_cvt_f32_u32_e32 v3, s12
	s_sub_i32 s2, 0, s12
	v_mov_b32_e32 v11, v2
	v_rcp_iflag_f32_e32 v3, v3
	v_mul_f32_e32 v3, 0x4f7ffffe, v3
	v_cvt_u32_f32_e32 v3, v3
	v_mul_lo_u32 v4, s2, v3
	v_mul_hi_u32 v4, v3, v4
	v_add_u32_e32 v3, v3, v4
	v_mul_hi_u32 v3, v6, v3
	v_mul_lo_u32 v4, v3, s12
	v_add_u32_e32 v5, 1, v3
	v_sub_u32_e32 v4, v6, v4
	v_subrev_u32_e32 v8, s12, v4
	v_cmp_le_u32_e32 vcc, s12, v4
	v_cndmask_b32_e32 v4, v4, v8, vcc
	v_cndmask_b32_e32 v3, v3, v5, vcc
	v_add_u32_e32 v5, 1, v3
	v_cmp_le_u32_e32 vcc, s12, v4
	v_cndmask_b32_e32 v10, v3, v5, vcc
.LBB51_11:                              ;   in Loop: Header=BB51_3 Depth=1
	s_or_b64 exec, exec, s[0:1]
	v_mul_lo_u32 v5, v7, s28
	v_mul_lo_u32 v8, v6, s29
	v_mad_u64_u32 v[3:4], s[0:1], v6, s28, 0
	v_mul_lo_u32 v12, v11, s12
	v_mul_lo_u32 v13, v10, s13
	v_add3_u32 v5, v4, v8, v5
	v_mad_u64_u32 v[8:9], s[0:1], v10, s12, 0
	v_sub_co_u32_e32 v4, vcc, v0, v3
	v_subb_co_u32_e32 v5, vcc, v1, v5, vcc
	v_add3_u32 v3, v9, v13, v12
	v_mul_lo_u32 v9, s19, v4
	v_mul_lo_u32 v14, s18, v5
	v_mad_u64_u32 v[12:13], s[0:1], s18, v4, 0
	v_sub_co_u32_e32 v17, vcc, v6, v8
	v_subb_co_u32_e32 v18, vcc, v7, v3, vcc
	v_add3_u32 v13, v13, v14, v9
	v_mul_lo_u32 v3, s23, v4
	v_mul_lo_u32 v14, s22, v5
	v_mad_u64_u32 v[6:7], s[0:1], s22, v4, 0
	v_mad_u64_u32 v[8:9], s[0:1], s16, v17, v[12:13]
	v_mul_lo_u32 v12, s16, v18
	v_mul_lo_u32 v13, s17, v17
	v_add3_u32 v7, v7, v14, v3
	v_mad_u64_u32 v[6:7], s[0:1], s20, v17, v[6:7]
	v_add3_u32 v9, v13, v9, v12
	v_mul_lo_u32 v3, s20, v18
	v_mul_lo_u32 v12, s21, v17
	s_andn2_b64 vcc, exec, s[24:25]
	v_add3_u32 v7, v12, v7, v3
	s_cbranch_vccnz .LBB51_29
; %bb.12:                               ;   in Loop: Header=BB51_3 Depth=1
	s_andn2_b64 vcc, exec, s[34:35]
	s_cbranch_vccnz .LBB51_18
; %bb.13:                               ;   in Loop: Header=BB51_3 Depth=1
	s_load_dwordx2 s[2:3], s[36:37], 0x8
                                        ; implicit-def: $vgpr12_vgpr13
	s_waitcnt lgkmcnt(0)
	v_or_b32_e32 v3, s3, v11
	v_cmp_ne_u64_e32 vcc, 0, v[2:3]
	s_and_saveexec_b64 s[0:1], vcc
	s_xor_b64 s[4:5], exec, s[0:1]
	s_cbranch_execz .LBB51_15
; %bb.14:                               ;   in Loop: Header=BB51_3 Depth=1
	s_ashr_i32 s46, s3, 31
	s_add_u32 s0, s2, s46
	s_mov_b32 s47, s46
	s_addc_u32 s1, s3, s46
	s_xor_b64 s[48:49], s[0:1], s[46:47]
	v_cvt_f32_u32_e32 v3, s48
	v_cvt_f32_u32_e32 v12, s49
	s_sub_u32 s47, 0, s48
	s_subb_u32 s50, 0, s49
	v_mac_f32_e32 v3, 0x4f800000, v12
	v_rcp_f32_e32 v3, v3
	v_mul_f32_e32 v3, 0x5f7ffffc, v3
	v_mul_f32_e32 v12, 0x2f800000, v3
	v_trunc_f32_e32 v12, v12
	v_mac_f32_e32 v3, 0xcf800000, v12
	v_cvt_u32_f32_e32 v12, v12
	v_cvt_u32_f32_e32 v3, v3
	v_readfirstlane_b32 s51, v12
	v_readfirstlane_b32 s0, v3
	s_mul_i32 s1, s47, s51
	s_mul_hi_u32 s53, s47, s0
	s_mul_i32 s52, s50, s0
	s_add_i32 s1, s53, s1
	s_add_i32 s1, s1, s52
	s_mul_i32 s54, s47, s0
	s_mul_i32 s53, s0, s1
	s_mul_hi_u32 s55, s0, s54
	s_mul_hi_u32 s52, s0, s1
	s_add_u32 s53, s55, s53
	s_addc_u32 s52, 0, s52
	s_mul_hi_u32 s56, s51, s54
	s_mul_i32 s54, s51, s54
	s_add_u32 s53, s53, s54
	s_mul_hi_u32 s55, s51, s1
	s_addc_u32 s52, s52, s56
	s_addc_u32 s53, s55, 0
	s_mul_i32 s1, s51, s1
	s_add_u32 s1, s52, s1
	s_addc_u32 s52, 0, s53
	s_add_u32 s53, s0, s1
	s_cselect_b64 s[0:1], -1, 0
	s_cmp_lg_u64 s[0:1], 0
	s_addc_u32 s51, s51, s52
	s_mul_i32 s0, s47, s51
	s_mul_hi_u32 s1, s47, s53
	s_add_i32 s0, s1, s0
	s_mul_i32 s50, s50, s53
	s_add_i32 s0, s0, s50
	s_mul_i32 s47, s47, s53
	s_mul_hi_u32 s50, s51, s47
	s_mul_i32 s52, s51, s47
	s_mul_i32 s55, s53, s0
	s_mul_hi_u32 s47, s53, s47
	s_mul_hi_u32 s54, s53, s0
	s_add_u32 s47, s47, s55
	s_addc_u32 s54, 0, s54
	s_add_u32 s47, s47, s52
	s_mul_hi_u32 s1, s51, s0
	s_addc_u32 s47, s54, s50
	s_addc_u32 s1, s1, 0
	s_mul_i32 s0, s51, s0
	s_add_u32 s0, s47, s0
	s_addc_u32 s47, 0, s1
	s_add_u32 s50, s53, s0
	s_cselect_b64 s[0:1], -1, 0
	v_ashrrev_i32_e32 v3, 31, v11
	s_cmp_lg_u64 s[0:1], 0
	v_add_co_u32_e32 v12, vcc, v10, v3
	s_addc_u32 s47, s51, s47
	v_xor_b32_e32 v19, v12, v3
	v_mad_u64_u32 v[12:13], s[0:1], v19, s47, 0
	v_mul_hi_u32 v15, v19, s50
	v_addc_co_u32_e32 v14, vcc, v11, v3, vcc
	v_xor_b32_e32 v20, v14, v3
	v_add_co_u32_e32 v21, vcc, v15, v12
	v_addc_co_u32_e32 v22, vcc, 0, v13, vcc
	v_mad_u64_u32 v[12:13], s[0:1], v20, s50, 0
	v_mad_u64_u32 v[14:15], s[0:1], v20, s47, 0
	v_add_co_u32_e32 v12, vcc, v21, v12
	v_addc_co_u32_e32 v12, vcc, v22, v13, vcc
	v_addc_co_u32_e32 v13, vcc, 0, v15, vcc
	v_add_co_u32_e32 v14, vcc, v12, v14
	v_addc_co_u32_e32 v15, vcc, 0, v13, vcc
	v_mul_lo_u32 v21, s49, v14
	v_mul_lo_u32 v22, s48, v15
	v_mad_u64_u32 v[12:13], s[0:1], s48, v14, 0
	v_xor_b32_e32 v3, s46, v3
	v_add3_u32 v13, v13, v22, v21
	v_sub_u32_e32 v21, v20, v13
	v_mov_b32_e32 v22, s49
	v_sub_co_u32_e32 v12, vcc, v19, v12
	v_subb_co_u32_e64 v19, s[0:1], v21, v22, vcc
	v_subrev_co_u32_e64 v21, s[0:1], s48, v12
	v_subbrev_co_u32_e64 v19, s[0:1], 0, v19, s[0:1]
	v_cmp_le_u32_e64 s[0:1], s49, v19
	v_cndmask_b32_e64 v22, 0, -1, s[0:1]
	v_cmp_le_u32_e64 s[0:1], s48, v21
	v_cndmask_b32_e64 v21, 0, -1, s[0:1]
	v_cmp_eq_u32_e64 s[0:1], s49, v19
	v_cndmask_b32_e64 v19, v22, v21, s[0:1]
	v_add_co_u32_e64 v21, s[0:1], 2, v14
	v_subb_co_u32_e32 v13, vcc, v20, v13, vcc
	v_addc_co_u32_e64 v22, s[0:1], 0, v15, s[0:1]
	v_cmp_le_u32_e32 vcc, s49, v13
	v_add_co_u32_e64 v23, s[0:1], 1, v14
	v_cndmask_b32_e64 v20, 0, -1, vcc
	v_cmp_le_u32_e32 vcc, s48, v12
	v_addc_co_u32_e64 v24, s[0:1], 0, v15, s[0:1]
	v_cndmask_b32_e64 v12, 0, -1, vcc
	v_cmp_eq_u32_e32 vcc, s49, v13
	v_cmp_ne_u32_e64 s[0:1], 0, v19
	v_cndmask_b32_e32 v12, v20, v12, vcc
	v_cndmask_b32_e64 v19, v24, v22, s[0:1]
	v_cmp_ne_u32_e32 vcc, 0, v12
	v_cndmask_b32_e64 v13, v23, v21, s[0:1]
	v_cndmask_b32_e32 v12, v15, v19, vcc
	v_cndmask_b32_e32 v13, v14, v13, vcc
	v_xor_b32_e32 v14, v12, v3
	v_xor_b32_e32 v12, v13, v3
	v_sub_co_u32_e32 v12, vcc, v12, v3
	v_subb_co_u32_e32 v13, vcc, v14, v3, vcc
.LBB51_15:                              ;   in Loop: Header=BB51_3 Depth=1
	s_andn2_saveexec_b64 s[0:1], s[4:5]
	s_cbranch_execz .LBB51_17
; %bb.16:                               ;   in Loop: Header=BB51_3 Depth=1
	v_cvt_f32_u32_e32 v3, s2
	s_sub_i32 s4, 0, s2
	v_rcp_iflag_f32_e32 v3, v3
	v_mul_f32_e32 v3, 0x4f7ffffe, v3
	v_cvt_u32_f32_e32 v3, v3
	v_mul_lo_u32 v12, s4, v3
	v_mul_hi_u32 v12, v3, v12
	v_add_u32_e32 v3, v3, v12
	v_mul_hi_u32 v3, v10, v3
	v_mul_lo_u32 v12, v3, s2
	v_add_u32_e32 v13, 1, v3
	v_sub_u32_e32 v12, v10, v12
	v_subrev_u32_e32 v14, s2, v12
	v_cmp_le_u32_e32 vcc, s2, v12
	v_cndmask_b32_e32 v12, v12, v14, vcc
	v_cndmask_b32_e32 v3, v3, v13, vcc
	v_add_u32_e32 v13, 1, v3
	v_cmp_le_u32_e32 vcc, s2, v12
	v_cndmask_b32_e32 v12, v3, v13, vcc
	v_mov_b32_e32 v13, v2
.LBB51_17:                              ;   in Loop: Header=BB51_3 Depth=1
	s_or_b64 exec, exec, s[0:1]
	v_mul_lo_u32 v3, v13, s2
	v_mul_lo_u32 v19, v12, s3
	v_mad_u64_u32 v[14:15], s[0:1], v12, s2, 0
	s_load_dwordx2 s[0:1], s[36:37], 0xd0
	s_load_dwordx2 s[2:3], s[38:39], 0xd0
	v_add3_u32 v3, v15, v19, v3
	v_sub_co_u32_e32 v10, vcc, v10, v14
	v_subb_co_u32_e32 v3, vcc, v11, v3, vcc
	s_waitcnt lgkmcnt(0)
	v_mul_lo_u32 v11, s0, v3
	v_mul_lo_u32 v14, s1, v10
	v_mad_u64_u32 v[8:9], s[0:1], s0, v10, v[8:9]
	v_mul_lo_u32 v3, s2, v3
	v_mul_lo_u32 v15, s3, v10
	v_mad_u64_u32 v[6:7], s[0:1], s2, v10, v[6:7]
	v_add3_u32 v9, v14, v9, v11
	v_mov_b32_e32 v10, v12
	v_add3_u32 v7, v15, v7, v3
	v_mov_b32_e32 v11, v13
	s_mov_b64 s[0:1], s[40:41]
	s_andn2_b64 vcc, exec, s[42:43]
	s_cbranch_vccz .LBB51_19
	s_branch .LBB51_29
.LBB51_18:                              ;   in Loop: Header=BB51_3 Depth=1
	s_mov_b64 s[0:1], s[26:27]
	s_andn2_b64 vcc, exec, s[42:43]
	s_cbranch_vccnz .LBB51_29
.LBB51_19:                              ;   in Loop: Header=BB51_3 Depth=1
	s_lshl_b64 s[4:5], s[0:1], 3
	s_add_u32 s2, s65, s4
	s_addc_u32 s3, s66, s5
	s_add_u32 s4, s62, s4
	s_addc_u32 s5, s63, s5
	;; [unrolled: 2-line block ×3, first 2 shown]
	s_branch .LBB51_21
.LBB51_20:                              ;   in Loop: Header=BB51_21 Depth=2
	s_or_b64 exec, exec, s[0:1]
	v_mul_lo_u32 v3, v13, s48
	v_mul_lo_u32 v21, v12, s49
	v_mad_u64_u32 v[19:20], s[0:1], v12, s48, 0
	v_mul_lo_u32 v22, v15, s50
	v_mul_lo_u32 v23, v14, s51
	v_add3_u32 v3, v20, v21, v3
	v_sub_co_u32_e32 v10, vcc, v10, v19
	v_subb_co_u32_e32 v3, vcc, v11, v3, vcc
	v_mul_lo_u32 v19, s54, v3
	v_mul_lo_u32 v20, s55, v10
	v_mad_u64_u32 v[8:9], s[0:1], s54, v10, v[8:9]
	v_mul_lo_u32 v3, s52, v3
	v_mul_lo_u32 v21, s53, v10
	v_mad_u64_u32 v[6:7], s[0:1], s52, v10, v[6:7]
	v_mad_u64_u32 v[10:11], s[0:1], v14, s50, 0
	s_load_dwordx2 s[0:1], s[4:5], 0xc8
	s_load_dwordx2 s[48:49], s[2:3], 0x0
	v_add3_u32 v7, v21, v7, v3
	v_add3_u32 v3, v11, v23, v22
	v_sub_co_u32_e32 v10, vcc, v12, v10
	v_add3_u32 v9, v20, v9, v19
	v_subb_co_u32_e32 v3, vcc, v13, v3, vcc
	s_add_u32 s2, s2, -16
	s_waitcnt lgkmcnt(0)
	v_mad_u64_u32 v[8:9], s[50:51], s0, v10, v[8:9]
	v_mul_lo_u32 v11, s0, v3
	v_mul_lo_u32 v12, s1, v10
	v_mad_u64_u32 v[6:7], s[0:1], s48, v10, v[6:7]
	v_mul_lo_u32 v3, s48, v3
	v_mul_lo_u32 v10, s49, v10
	s_addc_u32 s3, s3, -1
	s_add_u32 s4, s4, -16
	s_addc_u32 s5, s5, -1
	s_add_u32 s46, s46, -2
	v_add3_u32 v9, v12, v9, v11
	v_add3_u32 v7, v10, v7, v3
	s_addc_u32 s47, s47, -1
	v_mov_b32_e32 v10, v14
	s_cmp_eq_u64 s[46:47], 0
	v_mov_b32_e32 v11, v15
	s_cbranch_scc1 .LBB51_29
.LBB51_21:                              ;   Parent Loop BB51_3 Depth=1
                                        ; =>  This Inner Loop Header: Depth=2
	s_load_dwordx2 s[48:49], s[4:5], 0x8
                                        ; implicit-def: $vgpr12_vgpr13
	s_waitcnt lgkmcnt(0)
	v_or_b32_e32 v3, s49, v11
	v_cmp_ne_u64_e32 vcc, 0, v[2:3]
	s_and_saveexec_b64 s[0:1], vcc
	s_xor_b64 s[50:51], exec, s[0:1]
	s_cbranch_execz .LBB51_23
; %bb.22:                               ;   in Loop: Header=BB51_21 Depth=2
	s_ashr_i32 s52, s49, 31
	s_add_u32 s0, s48, s52
	s_mov_b32 s53, s52
	s_addc_u32 s1, s49, s52
	s_xor_b64 s[54:55], s[0:1], s[52:53]
	v_cvt_f32_u32_e32 v3, s54
	v_cvt_f32_u32_e32 v12, s55
	s_sub_u32 s53, 0, s54
	s_subb_u32 s56, 0, s55
	v_mac_f32_e32 v3, 0x4f800000, v12
	v_rcp_f32_e32 v3, v3
	v_mul_f32_e32 v3, 0x5f7ffffc, v3
	v_mul_f32_e32 v12, 0x2f800000, v3
	v_trunc_f32_e32 v12, v12
	v_mac_f32_e32 v3, 0xcf800000, v12
	v_cvt_u32_f32_e32 v12, v12
	v_cvt_u32_f32_e32 v3, v3
	v_readfirstlane_b32 s57, v12
	v_readfirstlane_b32 s0, v3
	s_mul_i32 s1, s53, s57
	s_mul_hi_u32 s59, s53, s0
	s_mul_i32 s58, s56, s0
	s_add_i32 s1, s59, s1
	s_add_i32 s1, s1, s58
	s_mul_i32 s60, s53, s0
	s_mul_i32 s59, s0, s1
	s_mul_hi_u32 s61, s0, s60
	s_mul_hi_u32 s58, s0, s1
	s_add_u32 s59, s61, s59
	s_addc_u32 s58, 0, s58
	s_mul_hi_u32 s67, s57, s60
	s_mul_i32 s60, s57, s60
	s_add_u32 s59, s59, s60
	s_mul_hi_u32 s61, s57, s1
	s_addc_u32 s58, s58, s67
	s_addc_u32 s59, s61, 0
	s_mul_i32 s1, s57, s1
	s_add_u32 s1, s58, s1
	s_addc_u32 s58, 0, s59
	s_add_u32 s59, s0, s1
	s_cselect_b64 s[0:1], -1, 0
	s_cmp_lg_u64 s[0:1], 0
	s_addc_u32 s57, s57, s58
	s_mul_i32 s0, s53, s57
	s_mul_hi_u32 s1, s53, s59
	s_add_i32 s0, s1, s0
	s_mul_i32 s56, s56, s59
	s_add_i32 s0, s0, s56
	s_mul_i32 s53, s53, s59
	s_mul_hi_u32 s56, s57, s53
	s_mul_i32 s58, s57, s53
	s_mul_i32 s61, s59, s0
	s_mul_hi_u32 s53, s59, s53
	s_mul_hi_u32 s60, s59, s0
	s_add_u32 s53, s53, s61
	s_addc_u32 s60, 0, s60
	s_add_u32 s53, s53, s58
	s_mul_hi_u32 s1, s57, s0
	s_addc_u32 s53, s60, s56
	s_addc_u32 s1, s1, 0
	s_mul_i32 s0, s57, s0
	s_add_u32 s0, s53, s0
	s_addc_u32 s53, 0, s1
	s_add_u32 s56, s59, s0
	s_cselect_b64 s[0:1], -1, 0
	v_ashrrev_i32_e32 v3, 31, v11
	s_cmp_lg_u64 s[0:1], 0
	v_add_co_u32_e32 v12, vcc, v10, v3
	s_addc_u32 s53, s57, s53
	v_xor_b32_e32 v19, v12, v3
	v_mad_u64_u32 v[12:13], s[0:1], v19, s53, 0
	v_mul_hi_u32 v15, v19, s56
	v_addc_co_u32_e32 v14, vcc, v11, v3, vcc
	v_xor_b32_e32 v20, v14, v3
	v_add_co_u32_e32 v21, vcc, v15, v12
	v_addc_co_u32_e32 v22, vcc, 0, v13, vcc
	v_mad_u64_u32 v[12:13], s[0:1], v20, s56, 0
	v_mad_u64_u32 v[14:15], s[0:1], v20, s53, 0
	v_add_co_u32_e32 v12, vcc, v21, v12
	v_addc_co_u32_e32 v12, vcc, v22, v13, vcc
	v_addc_co_u32_e32 v13, vcc, 0, v15, vcc
	v_add_co_u32_e32 v14, vcc, v12, v14
	v_addc_co_u32_e32 v15, vcc, 0, v13, vcc
	v_mul_lo_u32 v21, s55, v14
	v_mul_lo_u32 v22, s54, v15
	v_mad_u64_u32 v[12:13], s[0:1], s54, v14, 0
	v_xor_b32_e32 v3, s52, v3
	v_add3_u32 v13, v13, v22, v21
	v_sub_u32_e32 v21, v20, v13
	v_mov_b32_e32 v22, s55
	v_sub_co_u32_e32 v12, vcc, v19, v12
	v_subb_co_u32_e64 v19, s[0:1], v21, v22, vcc
	v_subrev_co_u32_e64 v21, s[0:1], s54, v12
	v_subbrev_co_u32_e64 v19, s[0:1], 0, v19, s[0:1]
	v_cmp_le_u32_e64 s[0:1], s55, v19
	v_cndmask_b32_e64 v22, 0, -1, s[0:1]
	v_cmp_le_u32_e64 s[0:1], s54, v21
	v_cndmask_b32_e64 v21, 0, -1, s[0:1]
	v_cmp_eq_u32_e64 s[0:1], s55, v19
	v_cndmask_b32_e64 v19, v22, v21, s[0:1]
	v_add_co_u32_e64 v21, s[0:1], 2, v14
	v_subb_co_u32_e32 v13, vcc, v20, v13, vcc
	v_addc_co_u32_e64 v22, s[0:1], 0, v15, s[0:1]
	v_cmp_le_u32_e32 vcc, s55, v13
	v_add_co_u32_e64 v23, s[0:1], 1, v14
	v_cndmask_b32_e64 v20, 0, -1, vcc
	v_cmp_le_u32_e32 vcc, s54, v12
	v_addc_co_u32_e64 v24, s[0:1], 0, v15, s[0:1]
	v_cndmask_b32_e64 v12, 0, -1, vcc
	v_cmp_eq_u32_e32 vcc, s55, v13
	v_cmp_ne_u32_e64 s[0:1], 0, v19
	v_cndmask_b32_e32 v12, v20, v12, vcc
	v_cndmask_b32_e64 v19, v24, v22, s[0:1]
	v_cmp_ne_u32_e32 vcc, 0, v12
	v_cndmask_b32_e64 v13, v23, v21, s[0:1]
	v_cndmask_b32_e32 v12, v15, v19, vcc
	v_cndmask_b32_e32 v13, v14, v13, vcc
	v_xor_b32_e32 v14, v12, v3
	v_xor_b32_e32 v12, v13, v3
	v_sub_co_u32_e32 v12, vcc, v12, v3
	v_subb_co_u32_e32 v13, vcc, v14, v3, vcc
.LBB51_23:                              ;   in Loop: Header=BB51_21 Depth=2
	s_andn2_saveexec_b64 s[0:1], s[50:51]
	s_cbranch_execz .LBB51_25
; %bb.24:                               ;   in Loop: Header=BB51_21 Depth=2
	v_cvt_f32_u32_e32 v3, s48
	s_sub_i32 s50, 0, s48
	v_rcp_iflag_f32_e32 v3, v3
	v_mul_f32_e32 v3, 0x4f7ffffe, v3
	v_cvt_u32_f32_e32 v3, v3
	v_mul_lo_u32 v12, s50, v3
	v_mul_hi_u32 v12, v3, v12
	v_add_u32_e32 v3, v3, v12
	v_mul_hi_u32 v3, v10, v3
	v_mul_lo_u32 v12, v3, s48
	v_add_u32_e32 v13, 1, v3
	v_sub_u32_e32 v12, v10, v12
	v_subrev_u32_e32 v14, s48, v12
	v_cmp_le_u32_e32 vcc, s48, v12
	v_cndmask_b32_e32 v12, v12, v14, vcc
	v_cndmask_b32_e32 v3, v3, v13, vcc
	v_add_u32_e32 v13, 1, v3
	v_cmp_le_u32_e32 vcc, s48, v12
	v_cndmask_b32_e32 v12, v3, v13, vcc
	v_mov_b32_e32 v13, v2
.LBB51_25:                              ;   in Loop: Header=BB51_21 Depth=2
	s_or_b64 exec, exec, s[0:1]
	s_load_dwordx2 s[50:51], s[4:5], 0x0
	s_load_dwordx2 s[54:55], s[4:5], 0xd0
	s_load_dwordx2 s[52:53], s[2:3], 0x8
                                        ; implicit-def: $vgpr14_vgpr15
	s_waitcnt lgkmcnt(0)
	v_or_b32_e32 v3, s51, v13
	v_cmp_ne_u64_e32 vcc, 0, v[2:3]
	s_and_saveexec_b64 s[0:1], vcc
	s_xor_b64 s[56:57], exec, s[0:1]
	s_cbranch_execz .LBB51_27
; %bb.26:                               ;   in Loop: Header=BB51_21 Depth=2
	s_ashr_i32 s58, s51, 31
	s_add_u32 s0, s50, s58
	s_mov_b32 s59, s58
	s_addc_u32 s1, s51, s58
	s_xor_b64 s[60:61], s[0:1], s[58:59]
	v_cvt_f32_u32_e32 v3, s60
	v_cvt_f32_u32_e32 v14, s61
	s_sub_u32 s59, 0, s60
	s_subb_u32 s67, 0, s61
	v_mac_f32_e32 v3, 0x4f800000, v14
	v_rcp_f32_e32 v3, v3
	v_mul_f32_e32 v3, 0x5f7ffffc, v3
	v_mul_f32_e32 v14, 0x2f800000, v3
	v_trunc_f32_e32 v14, v14
	v_mac_f32_e32 v3, 0xcf800000, v14
	v_cvt_u32_f32_e32 v14, v14
	v_cvt_u32_f32_e32 v3, v3
	v_readfirstlane_b32 s68, v14
	v_readfirstlane_b32 s0, v3
	s_mul_i32 s1, s59, s68
	s_mul_hi_u32 s70, s59, s0
	s_mul_i32 s69, s67, s0
	s_add_i32 s1, s70, s1
	s_add_i32 s1, s1, s69
	s_mul_i32 s71, s59, s0
	s_mul_i32 s70, s0, s1
	s_mul_hi_u32 s72, s0, s71
	s_mul_hi_u32 s69, s0, s1
	s_add_u32 s70, s72, s70
	s_addc_u32 s69, 0, s69
	s_mul_hi_u32 s73, s68, s71
	s_mul_i32 s71, s68, s71
	s_add_u32 s70, s70, s71
	s_mul_hi_u32 s72, s68, s1
	s_addc_u32 s69, s69, s73
	s_addc_u32 s70, s72, 0
	s_mul_i32 s1, s68, s1
	s_add_u32 s1, s69, s1
	s_addc_u32 s69, 0, s70
	s_add_u32 s70, s0, s1
	s_cselect_b64 s[0:1], -1, 0
	s_cmp_lg_u64 s[0:1], 0
	s_addc_u32 s68, s68, s69
	s_mul_i32 s0, s59, s68
	s_mul_hi_u32 s1, s59, s70
	s_add_i32 s0, s1, s0
	s_mul_i32 s67, s67, s70
	s_add_i32 s0, s0, s67
	s_mul_i32 s59, s59, s70
	s_mul_hi_u32 s67, s68, s59
	s_mul_i32 s69, s68, s59
	s_mul_i32 s72, s70, s0
	s_mul_hi_u32 s59, s70, s59
	s_mul_hi_u32 s71, s70, s0
	s_add_u32 s59, s59, s72
	s_addc_u32 s71, 0, s71
	s_add_u32 s59, s59, s69
	s_mul_hi_u32 s1, s68, s0
	s_addc_u32 s59, s71, s67
	s_addc_u32 s1, s1, 0
	s_mul_i32 s0, s68, s0
	s_add_u32 s0, s59, s0
	s_addc_u32 s59, 0, s1
	s_add_u32 s67, s70, s0
	s_cselect_b64 s[0:1], -1, 0
	v_ashrrev_i32_e32 v3, 31, v13
	s_cmp_lg_u64 s[0:1], 0
	v_add_co_u32_e32 v14, vcc, v12, v3
	s_addc_u32 s59, s68, s59
	v_xor_b32_e32 v21, v14, v3
	v_mad_u64_u32 v[14:15], s[0:1], v21, s59, 0
	v_mul_hi_u32 v20, v21, s67
	v_addc_co_u32_e32 v19, vcc, v13, v3, vcc
	v_xor_b32_e32 v22, v19, v3
	v_add_co_u32_e32 v23, vcc, v20, v14
	v_addc_co_u32_e32 v24, vcc, 0, v15, vcc
	v_mad_u64_u32 v[14:15], s[0:1], v22, s67, 0
	v_mad_u64_u32 v[19:20], s[0:1], v22, s59, 0
	v_add_co_u32_e32 v14, vcc, v23, v14
	v_addc_co_u32_e32 v14, vcc, v24, v15, vcc
	v_addc_co_u32_e32 v15, vcc, 0, v20, vcc
	v_add_co_u32_e32 v19, vcc, v14, v19
	v_addc_co_u32_e32 v20, vcc, 0, v15, vcc
	v_mul_lo_u32 v23, s61, v19
	v_mul_lo_u32 v24, s60, v20
	v_mad_u64_u32 v[14:15], s[0:1], s60, v19, 0
	v_xor_b32_e32 v3, s58, v3
	v_add3_u32 v15, v15, v24, v23
	v_sub_u32_e32 v23, v22, v15
	v_mov_b32_e32 v24, s61
	v_sub_co_u32_e32 v14, vcc, v21, v14
	v_subb_co_u32_e64 v21, s[0:1], v23, v24, vcc
	v_subrev_co_u32_e64 v23, s[0:1], s60, v14
	v_subbrev_co_u32_e64 v21, s[0:1], 0, v21, s[0:1]
	v_cmp_le_u32_e64 s[0:1], s61, v21
	v_cndmask_b32_e64 v24, 0, -1, s[0:1]
	v_cmp_le_u32_e64 s[0:1], s60, v23
	v_cndmask_b32_e64 v23, 0, -1, s[0:1]
	v_cmp_eq_u32_e64 s[0:1], s61, v21
	v_cndmask_b32_e64 v21, v24, v23, s[0:1]
	v_add_co_u32_e64 v23, s[0:1], 2, v19
	v_subb_co_u32_e32 v15, vcc, v22, v15, vcc
	v_addc_co_u32_e64 v24, s[0:1], 0, v20, s[0:1]
	v_cmp_le_u32_e32 vcc, s61, v15
	v_add_co_u32_e64 v25, s[0:1], 1, v19
	v_cndmask_b32_e64 v22, 0, -1, vcc
	v_cmp_le_u32_e32 vcc, s60, v14
	v_addc_co_u32_e64 v26, s[0:1], 0, v20, s[0:1]
	v_cndmask_b32_e64 v14, 0, -1, vcc
	v_cmp_eq_u32_e32 vcc, s61, v15
	v_cmp_ne_u32_e64 s[0:1], 0, v21
	v_cndmask_b32_e32 v14, v22, v14, vcc
	v_cndmask_b32_e64 v21, v26, v24, s[0:1]
	v_cmp_ne_u32_e32 vcc, 0, v14
	v_cndmask_b32_e64 v15, v25, v23, s[0:1]
	v_cndmask_b32_e32 v14, v20, v21, vcc
	v_cndmask_b32_e32 v15, v19, v15, vcc
	v_xor_b32_e32 v19, v14, v3
	v_xor_b32_e32 v14, v15, v3
	v_sub_co_u32_e32 v14, vcc, v14, v3
	v_subb_co_u32_e32 v15, vcc, v19, v3, vcc
.LBB51_27:                              ;   in Loop: Header=BB51_21 Depth=2
	s_andn2_saveexec_b64 s[0:1], s[56:57]
	s_cbranch_execz .LBB51_20
; %bb.28:                               ;   in Loop: Header=BB51_21 Depth=2
	v_cvt_f32_u32_e32 v3, s50
	s_sub_i32 s56, 0, s50
	v_rcp_iflag_f32_e32 v3, v3
	v_mul_f32_e32 v3, 0x4f7ffffe, v3
	v_cvt_u32_f32_e32 v3, v3
	v_mul_lo_u32 v14, s56, v3
	v_mul_hi_u32 v14, v3, v14
	v_add_u32_e32 v3, v3, v14
	v_mul_hi_u32 v3, v12, v3
	v_mul_lo_u32 v14, v3, s50
	v_add_u32_e32 v15, 1, v3
	v_sub_u32_e32 v14, v12, v14
	v_subrev_u32_e32 v19, s50, v14
	v_cmp_le_u32_e32 vcc, s50, v14
	v_cndmask_b32_e32 v14, v14, v19, vcc
	v_cndmask_b32_e32 v3, v3, v15, vcc
	v_add_u32_e32 v15, 1, v3
	v_cmp_le_u32_e32 vcc, s50, v14
	v_cndmask_b32_e32 v14, v3, v15, vcc
	v_mov_b32_e32 v15, v2
	s_branch .LBB51_20
.LBB51_29:                              ;   in Loop: Header=BB51_3 Depth=1
	v_sub_co_u32_e32 v10, vcc, v4, v17
	v_subb_co_u32_e32 v11, vcc, v5, v18, vcc
	v_cmp_ge_i64_e32 vcc, s[8:9], v[10:11]
	v_mov_b32_e32 v3, 0
	s_and_saveexec_b64 s[46:47], vcc
	s_cbranch_execz .LBB51_39
; %bb.30:                               ;   in Loop: Header=BB51_3 Depth=1
	v_cmp_gt_i64_e32 vcc, s[14:15], v[4:5]
	v_mov_b32_e32 v3, 0
	s_and_saveexec_b64 s[0:1], vcc
	s_cbranch_execz .LBB51_38
; %bb.31:                               ;   in Loop: Header=BB51_3 Depth=1
	v_mov_b32_e32 v3, s7
	v_add_co_u32_e32 v8, vcc, s6, v8
	v_addc_co_u32_e32 v9, vcc, v3, v9, vcc
	global_load_ubyte v3, v[8:9], off
	v_add_co_u32_e32 v12, vcc, 1, v4
	v_addc_co_u32_e32 v13, vcc, 0, v5, vcc
	v_cmp_gt_i64_e32 vcc, s[14:15], v[12:13]
	s_and_saveexec_b64 s[2:3], vcc
	s_xor_b64 s[2:3], exec, s[2:3]
	s_cbranch_execz .LBB51_37
; %bb.32:                               ;   in Loop: Header=BB51_3 Depth=1
	v_mov_b32_e32 v12, s19
	v_add_co_u32_e32 v8, vcc, s18, v8
	v_addc_co_u32_e32 v9, vcc, v9, v12, vcc
	global_load_ubyte v14, v[8:9], off
	v_add_co_u32_e32 v12, vcc, 2, v4
	v_addc_co_u32_e32 v13, vcc, 0, v5, vcc
	v_cmp_gt_i64_e32 vcc, s[14:15], v[12:13]
	s_waitcnt vmcnt(0)
	v_lshlrev_b16_e32 v14, 8, v14
	v_or_b32_e32 v3, v3, v14
	v_and_b32_e32 v3, 0xffff, v3
	s_and_saveexec_b64 s[4:5], vcc
	s_xor_b64 s[4:5], exec, s[4:5]
	s_cbranch_execz .LBB51_36
; %bb.33:                               ;   in Loop: Header=BB51_3 Depth=1
	v_mov_b32_e32 v12, s19
	v_add_co_u32_e32 v8, vcc, s18, v8
	v_addc_co_u32_e32 v9, vcc, v9, v12, vcc
	global_load_ubyte v14, v[8:9], off
	v_add_co_u32_e32 v12, vcc, 3, v4
	v_addc_co_u32_e32 v13, vcc, 0, v5, vcc
	v_cmp_gt_i64_e32 vcc, s[14:15], v[12:13]
	s_waitcnt vmcnt(0)
	v_lshl_or_b32 v3, v14, 16, v3
	s_and_saveexec_b64 s[48:49], vcc
	s_xor_b64 s[48:49], exec, s[48:49]
	s_cbranch_execz .LBB51_35
; %bb.34:                               ;   in Loop: Header=BB51_3 Depth=1
	v_mov_b32_e32 v12, s19
	v_add_co_u32_e32 v8, vcc, s18, v8
	v_addc_co_u32_e32 v9, vcc, v9, v12, vcc
	global_load_ubyte v8, v[8:9], off
	s_waitcnt vmcnt(0)
	v_lshlrev_b16_e32 v8, 8, v8
	v_or_b32_sdwa v8, v3, v8 dst_sel:WORD_1 dst_unused:UNUSED_PAD src0_sel:WORD_1 src1_sel:DWORD
	v_and_or_b32 v3, v3, s33, v8
.LBB51_35:                              ;   in Loop: Header=BB51_3 Depth=1
	s_or_b64 exec, exec, s[48:49]
.LBB51_36:                              ;   in Loop: Header=BB51_3 Depth=1
	s_or_b64 exec, exec, s[4:5]
.LBB51_37:                              ;   in Loop: Header=BB51_3 Depth=1
	s_or_b64 exec, exec, s[2:3]
.LBB51_38:                              ;   in Loop: Header=BB51_3 Depth=1
	s_or_b64 exec, exec, s[0:1]
	s_waitcnt vmcnt(0)
	v_and_b32_sdwa v8, v16, v3 dst_sel:DWORD dst_unused:UNUSED_PAD src0_sel:DWORD src1_sel:BYTE_1
	v_cmp_eq_u32_e32 vcc, 1, v8
	v_and_b32_e32 v8, 0x1000000, v3
	v_cmp_ne_u32_e64 s[0:1], 0, v8
	v_and_b32_e32 v8, 0x10000, v3
	v_cmp_ne_u32_e64 s[2:3], 0, v8
	v_add_co_u32_e64 v8, s[4:5], 1, v10
	v_addc_co_u32_e64 v9, s[4:5], 0, v11, s[4:5]
	v_cmp_ge_i64_e64 s[4:5], s[8:9], v[8:9]
	v_and_b32_e32 v3, 1, v3
	s_and_b64 s[4:5], s[4:5], vcc
	v_add_co_u32_e32 v8, vcc, 2, v10
	v_addc_co_u32_e32 v9, vcc, 0, v11, vcc
	v_cndmask_b32_e64 v12, 0, 1, s[4:5]
	v_cmp_ge_i64_e32 vcc, s[8:9], v[8:9]
	v_add_co_u32_e64 v8, s[4:5], 3, v10
	v_addc_co_u32_e64 v9, s[4:5], 0, v11, s[4:5]
	v_cmp_ge_i64_e64 s[4:5], s[8:9], v[8:9]
	s_and_b64 s[2:3], vcc, s[2:3]
	s_and_b64 s[0:1], s[4:5], s[0:1]
	v_cndmask_b32_e64 v9, 0, 1, s[0:1]
	v_cndmask_b32_e64 v8, 0, 1, s[2:3]
	v_lshlrev_b16_e32 v10, 8, v12
	v_lshlrev_b16_e32 v9, 8, v9
	v_or_b32_e32 v3, v3, v10
	v_or_b32_sdwa v8, v8, v9 dst_sel:WORD_1 dst_unused:UNUSED_PAD src0_sel:DWORD src1_sel:DWORD
	v_or_b32_sdwa v3, v3, v8 dst_sel:DWORD dst_unused:UNUSED_PAD src0_sel:WORD_0 src1_sel:DWORD
.LBB51_39:                              ;   in Loop: Header=BB51_3 Depth=1
	s_or_b64 exec, exec, s[46:47]
	v_cmp_gt_i64_e32 vcc, s[14:15], v[4:5]
	s_and_saveexec_b64 s[0:1], vcc
	s_cbranch_execz .LBB51_2
; %bb.40:                               ;   in Loop: Header=BB51_3 Depth=1
	v_mov_b32_e32 v8, s31
	v_add_co_u32_e32 v6, vcc, s30, v6
	v_addc_co_u32_e32 v7, vcc, v8, v7, vcc
	v_add_co_u32_e32 v8, vcc, 1, v4
	v_addc_co_u32_e32 v9, vcc, 0, v5, vcc
	v_cmp_gt_i64_e32 vcc, s[14:15], v[8:9]
	global_store_byte v[6:7], v3, off
	s_and_saveexec_b64 s[2:3], vcc
	s_xor_b64 s[2:3], exec, s[2:3]
	s_cbranch_execz .LBB51_2
; %bb.41:                               ;   in Loop: Header=BB51_3 Depth=1
	v_mov_b32_e32 v8, s23
	v_add_co_u32_e32 v6, vcc, s22, v6
	v_addc_co_u32_e32 v7, vcc, v7, v8, vcc
	v_add_co_u32_e32 v8, vcc, 2, v4
	v_addc_co_u32_e32 v9, vcc, 0, v5, vcc
	v_cmp_gt_i64_e32 vcc, s[14:15], v[8:9]
	v_lshrrev_b32_e32 v10, 8, v3
	global_store_byte v[6:7], v10, off
	s_and_saveexec_b64 s[2:3], vcc
	s_xor_b64 s[2:3], exec, s[2:3]
	s_cbranch_execz .LBB51_2
; %bb.42:                               ;   in Loop: Header=BB51_3 Depth=1
	v_mov_b32_e32 v8, s23
	v_add_co_u32_e32 v6, vcc, s22, v6
	v_addc_co_u32_e32 v7, vcc, v7, v8, vcc
	v_add_co_u32_e32 v4, vcc, 3, v4
	v_addc_co_u32_e32 v5, vcc, 0, v5, vcc
	v_cmp_gt_i64_e32 vcc, s[14:15], v[4:5]
	global_store_byte_d16_hi v[6:7], v3, off
	s_and_saveexec_b64 s[2:3], vcc
	s_xor_b64 s[2:3], exec, s[2:3]
	s_cbranch_execz .LBB51_2
; %bb.43:                               ;   in Loop: Header=BB51_3 Depth=1
	v_lshrrev_b32_e32 v5, 24, v3
	v_mov_b32_e32 v4, s23
	v_add_co_u32_e32 v3, vcc, s22, v6
	v_addc_co_u32_e32 v4, vcc, v7, v4, vcc
	global_store_byte v[3:4], v5, off
	s_branch .LBB51_2
.LBB51_44:
	s_endpgm
	.section	.rodata,"a",@progbits
	.p2align	6, 0x0
	.amdhsa_kernel _ZN2at6native16triu_tril_kernelIblLb0ELi4ELb0EEEvNS_4cuda6detail10TensorInfoIT_T0_EENS4_IKS5_S6_EEllS6_
		.amdhsa_group_segment_fixed_size 0
		.amdhsa_private_segment_fixed_size 0
		.amdhsa_kernarg_size 1112
		.amdhsa_user_sgpr_count 6
		.amdhsa_user_sgpr_private_segment_buffer 1
		.amdhsa_user_sgpr_dispatch_ptr 0
		.amdhsa_user_sgpr_queue_ptr 0
		.amdhsa_user_sgpr_kernarg_segment_ptr 1
		.amdhsa_user_sgpr_dispatch_id 0
		.amdhsa_user_sgpr_flat_scratch_init 0
		.amdhsa_user_sgpr_private_segment_size 0
		.amdhsa_uses_dynamic_stack 0
		.amdhsa_system_sgpr_private_segment_wavefront_offset 0
		.amdhsa_system_sgpr_workgroup_id_x 1
		.amdhsa_system_sgpr_workgroup_id_y 0
		.amdhsa_system_sgpr_workgroup_id_z 0
		.amdhsa_system_sgpr_workgroup_info 0
		.amdhsa_system_vgpr_workitem_id 0
		.amdhsa_next_free_vgpr 27
		.amdhsa_next_free_sgpr 74
		.amdhsa_reserve_vcc 1
		.amdhsa_reserve_flat_scratch 0
		.amdhsa_float_round_mode_32 0
		.amdhsa_float_round_mode_16_64 0
		.amdhsa_float_denorm_mode_32 3
		.amdhsa_float_denorm_mode_16_64 3
		.amdhsa_dx10_clamp 1
		.amdhsa_ieee_mode 1
		.amdhsa_fp16_overflow 0
		.amdhsa_exception_fp_ieee_invalid_op 0
		.amdhsa_exception_fp_denorm_src 0
		.amdhsa_exception_fp_ieee_div_zero 0
		.amdhsa_exception_fp_ieee_overflow 0
		.amdhsa_exception_fp_ieee_underflow 0
		.amdhsa_exception_fp_ieee_inexact 0
		.amdhsa_exception_int_div_zero 0
	.end_amdhsa_kernel
	.section	.text._ZN2at6native16triu_tril_kernelIblLb0ELi4ELb0EEEvNS_4cuda6detail10TensorInfoIT_T0_EENS4_IKS5_S6_EEllS6_,"axG",@progbits,_ZN2at6native16triu_tril_kernelIblLb0ELi4ELb0EEEvNS_4cuda6detail10TensorInfoIT_T0_EENS4_IKS5_S6_EEllS6_,comdat
.Lfunc_end51:
	.size	_ZN2at6native16triu_tril_kernelIblLb0ELi4ELb0EEEvNS_4cuda6detail10TensorInfoIT_T0_EENS4_IKS5_S6_EEllS6_, .Lfunc_end51-_ZN2at6native16triu_tril_kernelIblLb0ELi4ELb0EEEvNS_4cuda6detail10TensorInfoIT_T0_EENS4_IKS5_S6_EEllS6_
                                        ; -- End function
	.set _ZN2at6native16triu_tril_kernelIblLb0ELi4ELb0EEEvNS_4cuda6detail10TensorInfoIT_T0_EENS4_IKS5_S6_EEllS6_.num_vgpr, 27
	.set _ZN2at6native16triu_tril_kernelIblLb0ELi4ELb0EEEvNS_4cuda6detail10TensorInfoIT_T0_EENS4_IKS5_S6_EEllS6_.num_agpr, 0
	.set _ZN2at6native16triu_tril_kernelIblLb0ELi4ELb0EEEvNS_4cuda6detail10TensorInfoIT_T0_EENS4_IKS5_S6_EEllS6_.numbered_sgpr, 74
	.set _ZN2at6native16triu_tril_kernelIblLb0ELi4ELb0EEEvNS_4cuda6detail10TensorInfoIT_T0_EENS4_IKS5_S6_EEllS6_.num_named_barrier, 0
	.set _ZN2at6native16triu_tril_kernelIblLb0ELi4ELb0EEEvNS_4cuda6detail10TensorInfoIT_T0_EENS4_IKS5_S6_EEllS6_.private_seg_size, 0
	.set _ZN2at6native16triu_tril_kernelIblLb0ELi4ELb0EEEvNS_4cuda6detail10TensorInfoIT_T0_EENS4_IKS5_S6_EEllS6_.uses_vcc, 1
	.set _ZN2at6native16triu_tril_kernelIblLb0ELi4ELb0EEEvNS_4cuda6detail10TensorInfoIT_T0_EENS4_IKS5_S6_EEllS6_.uses_flat_scratch, 0
	.set _ZN2at6native16triu_tril_kernelIblLb0ELi4ELb0EEEvNS_4cuda6detail10TensorInfoIT_T0_EENS4_IKS5_S6_EEllS6_.has_dyn_sized_stack, 0
	.set _ZN2at6native16triu_tril_kernelIblLb0ELi4ELb0EEEvNS_4cuda6detail10TensorInfoIT_T0_EENS4_IKS5_S6_EEllS6_.has_recursion, 0
	.set _ZN2at6native16triu_tril_kernelIblLb0ELi4ELb0EEEvNS_4cuda6detail10TensorInfoIT_T0_EENS4_IKS5_S6_EEllS6_.has_indirect_call, 0
	.section	.AMDGPU.csdata,"",@progbits
; Kernel info:
; codeLenInByte = 5368
; TotalNumSgprs: 78
; NumVgprs: 27
; ScratchSize: 0
; MemoryBound: 0
; FloatMode: 240
; IeeeMode: 1
; LDSByteSize: 0 bytes/workgroup (compile time only)
; SGPRBlocks: 9
; VGPRBlocks: 6
; NumSGPRsForWavesPerEU: 78
; NumVGPRsForWavesPerEU: 27
; Occupancy: 9
; WaveLimiterHint : 0
; COMPUTE_PGM_RSRC2:SCRATCH_EN: 0
; COMPUTE_PGM_RSRC2:USER_SGPR: 6
; COMPUTE_PGM_RSRC2:TRAP_HANDLER: 0
; COMPUTE_PGM_RSRC2:TGID_X_EN: 1
; COMPUTE_PGM_RSRC2:TGID_Y_EN: 0
; COMPUTE_PGM_RSRC2:TGID_Z_EN: 0
; COMPUTE_PGM_RSRC2:TIDIG_COMP_CNT: 0
	.section	.text._ZN2at6native16triu_tril_kernelIhiLb1ELi4ELb1EEEvNS_4cuda6detail10TensorInfoIT_T0_EENS4_IKS5_S6_EEllS6_,"axG",@progbits,_ZN2at6native16triu_tril_kernelIhiLb1ELi4ELb1EEEvNS_4cuda6detail10TensorInfoIT_T0_EENS4_IKS5_S6_EEllS6_,comdat
	.protected	_ZN2at6native16triu_tril_kernelIhiLb1ELi4ELb1EEEvNS_4cuda6detail10TensorInfoIT_T0_EENS4_IKS5_S6_EEllS6_ ; -- Begin function _ZN2at6native16triu_tril_kernelIhiLb1ELi4ELb1EEEvNS_4cuda6detail10TensorInfoIT_T0_EENS4_IKS5_S6_EEllS6_
	.globl	_ZN2at6native16triu_tril_kernelIhiLb1ELi4ELb1EEEvNS_4cuda6detail10TensorInfoIT_T0_EENS4_IKS5_S6_EEllS6_
	.p2align	8
	.type	_ZN2at6native16triu_tril_kernelIhiLb1ELi4ELb1EEEvNS_4cuda6detail10TensorInfoIT_T0_EENS4_IKS5_S6_EEllS6_,@function
_ZN2at6native16triu_tril_kernelIhiLb1ELi4ELb1EEEvNS_4cuda6detail10TensorInfoIT_T0_EENS4_IKS5_S6_EEllS6_: ; @_ZN2at6native16triu_tril_kernelIhiLb1ELi4ELb1EEEvNS_4cuda6detail10TensorInfoIT_T0_EENS4_IKS5_S6_EEllS6_
; %bb.0:
	s_load_dword s2, s[4:5], 0x1d4
	s_load_dwordx4 s[8:11], s[4:5], 0x1b0
	s_add_u32 s0, s4, 0x1c8
	v_mov_b32_e32 v2, 0
	s_addc_u32 s1, s5, 0
	s_waitcnt lgkmcnt(0)
	s_and_b32 s7, s2, 0xffff
	v_mov_b32_e32 v1, v2
	v_mov_b32_e32 v3, s6
	v_mad_u64_u32 v[0:1], s[2:3], s7, v3, v[0:1]
	v_lshlrev_b64 v[0:1], 2, v[0:1]
	v_cmp_gt_i64_e32 vcc, s[10:11], v[0:1]
	s_and_saveexec_b64 s[2:3], vcc
	s_cbranch_execz .LBB52_67
; %bb.1:
	s_load_dword s33, s[4:5], 0x1c0
	s_load_dword s16, s[4:5], 0x1a8
	s_add_u32 s42, s4, 0xd8
	s_addc_u32 s43, s5, 0
	s_load_dword s6, s[0:1], 0x0
	s_waitcnt lgkmcnt(0)
	s_ashr_i32 s44, s33, 31
	s_ashr_i32 s17, s16, 31
	s_lshl_b64 s[0:1], s[16:17], 2
	s_add_u32 s2, s42, s0
	s_addc_u32 s3, s43, s1
	s_load_dword s45, s[2:3], 0x0
	s_load_dwordx2 s[12:13], s[4:5], 0x0
	s_mul_i32 s18, s6, s7
	v_cmp_gt_i64_e64 s[6:7], s[16:17], 2
	s_mov_b32 s17, 0
	s_waitcnt lgkmcnt(0)
	s_ashr_i32 s46, s45, 31
	s_add_u32 s14, s4, s0
	s_addc_u32 s15, s5, s1
	s_add_i32 s0, s16, 6
	s_add_i32 s47, s16, -3
	s_lshl_b32 s48, s18, 2
	s_and_b32 s49, s0, 7
	s_and_b32 s0, s16, 7
	s_cmp_lg_u32 s0, 2
	s_cselect_b64 s[18:19], -1, 0
	s_cmp_gt_u32 s47, 6
	s_cselect_b64 s[20:21], -1, 0
	s_mov_b64 s[22:23], 0
	s_ashr_i32 s24, s44, 31
	s_branch .LBB52_3
.LBB52_2:                               ;   in Loop: Header=BB52_3 Depth=1
	s_or_b64 exec, exec, s[26:27]
	v_add_co_u32_e32 v0, vcc, s48, v0
	v_addc_co_u32_e32 v1, vcc, 0, v1, vcc
	v_cmp_le_i64_e32 vcc, s[10:11], v[0:1]
	s_or_b64 s[22:23], vcc, s[22:23]
	s_andn2_b64 exec, exec, s[22:23]
	s_cbranch_execz .LBB52_67
.LBB52_3:                               ; =>This Loop Header: Depth=1
                                        ;     Child Loop BB52_14 Depth 2
                                        ;     Child Loop BB52_23 Depth 2
	v_or_b32_e32 v3, s44, v1
	v_cmp_ne_u64_e32 vcc, 0, v[2:3]
                                        ; implicit-def: $vgpr4_vgpr5
	s_and_saveexec_b64 s[0:1], vcc
	s_xor_b64 s[26:27], exec, s[0:1]
	s_cbranch_execz .LBB52_5
; %bb.4:                                ;   in Loop: Header=BB52_3 Depth=1
	s_add_u32 s0, s33, s24
	s_mov_b32 s25, s24
	s_addc_u32 s1, s44, s24
	s_xor_b64 s[28:29], s[0:1], s[24:25]
	v_cvt_f32_u32_e32 v3, s28
	v_cvt_f32_u32_e32 v4, s29
	s_sub_u32 s16, 0, s28
	s_subb_u32 s25, 0, s29
	v_ashrrev_i32_e32 v7, 31, v1
	v_mac_f32_e32 v3, 0x4f800000, v4
	v_rcp_f32_e32 v3, v3
	v_mul_f32_e32 v3, 0x5f7ffffc, v3
	v_mul_f32_e32 v4, 0x2f800000, v3
	v_trunc_f32_e32 v4, v4
	v_mac_f32_e32 v3, 0xcf800000, v4
	v_cvt_u32_f32_e32 v4, v4
	v_cvt_u32_f32_e32 v3, v3
	v_readfirstlane_b32 s30, v4
	v_readfirstlane_b32 s0, v3
	s_mul_i32 s1, s16, s30
	s_mul_hi_u32 s34, s16, s0
	s_mul_i32 s31, s25, s0
	s_add_i32 s1, s34, s1
	s_add_i32 s1, s1, s31
	s_mul_i32 s35, s16, s0
	s_mul_i32 s34, s0, s1
	s_mul_hi_u32 s36, s0, s35
	s_mul_hi_u32 s31, s0, s1
	s_add_u32 s34, s36, s34
	s_addc_u32 s31, 0, s31
	s_mul_hi_u32 s37, s30, s35
	s_mul_i32 s35, s30, s35
	s_add_u32 s34, s34, s35
	s_mul_hi_u32 s36, s30, s1
	s_addc_u32 s31, s31, s37
	s_addc_u32 s34, s36, 0
	s_mul_i32 s1, s30, s1
	s_add_u32 s1, s31, s1
	s_addc_u32 s31, 0, s34
	s_add_u32 s34, s0, s1
	s_cselect_b64 s[0:1], -1, 0
	s_cmp_lg_u64 s[0:1], 0
	s_addc_u32 s30, s30, s31
	s_mul_i32 s0, s16, s30
	s_mul_hi_u32 s1, s16, s34
	s_add_i32 s0, s1, s0
	s_mul_i32 s25, s25, s34
	s_add_i32 s0, s0, s25
	s_mul_i32 s16, s16, s34
	s_mul_hi_u32 s25, s30, s16
	s_mul_i32 s31, s30, s16
	s_mul_i32 s36, s34, s0
	s_mul_hi_u32 s16, s34, s16
	s_mul_hi_u32 s35, s34, s0
	s_add_u32 s16, s16, s36
	s_addc_u32 s35, 0, s35
	s_add_u32 s16, s16, s31
	s_mul_hi_u32 s1, s30, s0
	s_addc_u32 s16, s35, s25
	s_addc_u32 s1, s1, 0
	s_mul_i32 s0, s30, s0
	s_add_u32 s0, s16, s0
	s_addc_u32 s16, 0, s1
	s_add_u32 s25, s34, s0
	s_cselect_b64 s[0:1], -1, 0
	s_cmp_lg_u64 s[0:1], 0
	v_add_co_u32_e32 v3, vcc, v0, v7
	s_addc_u32 s16, s30, s16
	v_xor_b32_e32 v8, v3, v7
	v_mad_u64_u32 v[3:4], s[0:1], v8, s16, 0
	v_mul_hi_u32 v6, v8, s25
	v_addc_co_u32_e32 v5, vcc, v1, v7, vcc
	v_xor_b32_e32 v9, v5, v7
	v_add_co_u32_e32 v10, vcc, v6, v3
	v_addc_co_u32_e32 v11, vcc, 0, v4, vcc
	v_mad_u64_u32 v[3:4], s[0:1], v9, s25, 0
	v_mad_u64_u32 v[5:6], s[0:1], v9, s16, 0
	v_add_co_u32_e32 v3, vcc, v10, v3
	v_addc_co_u32_e32 v3, vcc, v11, v4, vcc
	v_addc_co_u32_e32 v4, vcc, 0, v6, vcc
	v_add_co_u32_e32 v5, vcc, v3, v5
	v_addc_co_u32_e32 v6, vcc, 0, v4, vcc
	v_mul_lo_u32 v10, s29, v5
	v_mul_lo_u32 v11, s28, v6
	v_mad_u64_u32 v[3:4], s[0:1], s28, v5, 0
	v_add3_u32 v4, v4, v11, v10
	v_sub_u32_e32 v10, v9, v4
	v_mov_b32_e32 v11, s29
	v_sub_co_u32_e32 v3, vcc, v8, v3
	v_subb_co_u32_e64 v8, s[0:1], v10, v11, vcc
	v_subrev_co_u32_e64 v10, s[0:1], s28, v3
	v_subbrev_co_u32_e64 v8, s[0:1], 0, v8, s[0:1]
	v_cmp_le_u32_e64 s[0:1], s29, v8
	v_cndmask_b32_e64 v11, 0, -1, s[0:1]
	v_cmp_le_u32_e64 s[0:1], s28, v10
	v_cndmask_b32_e64 v10, 0, -1, s[0:1]
	v_cmp_eq_u32_e64 s[0:1], s29, v8
	v_cndmask_b32_e64 v8, v11, v10, s[0:1]
	v_add_co_u32_e64 v10, s[0:1], 2, v5
	v_subb_co_u32_e32 v4, vcc, v9, v4, vcc
	v_addc_co_u32_e64 v11, s[0:1], 0, v6, s[0:1]
	v_cmp_le_u32_e32 vcc, s29, v4
	v_add_co_u32_e64 v12, s[0:1], 1, v5
	v_cndmask_b32_e64 v9, 0, -1, vcc
	v_cmp_le_u32_e32 vcc, s28, v3
	v_addc_co_u32_e64 v13, s[0:1], 0, v6, s[0:1]
	v_cndmask_b32_e64 v3, 0, -1, vcc
	v_cmp_eq_u32_e32 vcc, s29, v4
	v_cmp_ne_u32_e64 s[0:1], 0, v8
	v_cndmask_b32_e32 v3, v9, v3, vcc
	v_cmp_ne_u32_e32 vcc, 0, v3
	v_cndmask_b32_e64 v4, v12, v10, s[0:1]
	v_cndmask_b32_e64 v8, v13, v11, s[0:1]
	v_cndmask_b32_e32 v4, v5, v4, vcc
	v_xor_b32_e32 v5, s24, v7
	v_cndmask_b32_e32 v3, v6, v8, vcc
	v_xor_b32_e32 v4, v4, v5
	v_xor_b32_e32 v3, v3, v5
	v_sub_co_u32_e32 v4, vcc, v4, v5
	v_subb_co_u32_e32 v5, vcc, v3, v5, vcc
.LBB52_5:                               ;   in Loop: Header=BB52_3 Depth=1
	s_andn2_saveexec_b64 s[0:1], s[26:27]
	s_cbranch_execz .LBB52_7
; %bb.6:                                ;   in Loop: Header=BB52_3 Depth=1
	v_cvt_f32_u32_e32 v3, s33
	s_sub_i32 s16, 0, s33
	v_rcp_iflag_f32_e32 v3, v3
	v_mul_f32_e32 v3, 0x4f7ffffe, v3
	v_cvt_u32_f32_e32 v3, v3
	v_mul_lo_u32 v4, s16, v3
	v_mul_hi_u32 v4, v3, v4
	v_add_u32_e32 v3, v3, v4
	v_mul_hi_u32 v3, v0, v3
	v_mul_lo_u32 v4, v3, s33
	v_add_u32_e32 v5, 1, v3
	v_sub_u32_e32 v4, v0, v4
	v_subrev_u32_e32 v6, s33, v4
	v_cmp_le_u32_e32 vcc, s33, v4
	v_cndmask_b32_e32 v4, v4, v6, vcc
	v_cndmask_b32_e32 v3, v3, v5, vcc
	v_add_u32_e32 v5, 1, v3
	v_cmp_le_u32_e32 vcc, s33, v4
	v_cndmask_b32_e32 v4, v3, v5, vcc
	v_mov_b32_e32 v5, v2
.LBB52_7:                               ;   in Loop: Header=BB52_3 Depth=1
	s_or_b64 exec, exec, s[0:1]
	v_or_b32_e32 v3, s46, v5
	v_cmp_ne_u64_e32 vcc, 0, v[2:3]
                                        ; implicit-def: $vgpr6_vgpr7
	s_and_saveexec_b64 s[0:1], vcc
	s_xor_b64 s[26:27], exec, s[0:1]
	s_cbranch_execz .LBB52_9
; %bb.8:                                ;   in Loop: Header=BB52_3 Depth=1
	s_ashr_i32 s28, s46, 31
	s_add_u32 s0, s45, s28
	s_mov_b32 s29, s28
	s_addc_u32 s1, s46, s28
	s_xor_b64 s[30:31], s[0:1], s[28:29]
	v_cvt_f32_u32_e32 v3, s30
	v_cvt_f32_u32_e32 v6, s31
	s_sub_u32 s16, 0, s30
	s_subb_u32 s25, 0, s31
	v_mac_f32_e32 v3, 0x4f800000, v6
	v_rcp_f32_e32 v3, v3
	v_mul_f32_e32 v3, 0x5f7ffffc, v3
	v_mul_f32_e32 v6, 0x2f800000, v3
	v_trunc_f32_e32 v6, v6
	v_mac_f32_e32 v3, 0xcf800000, v6
	v_cvt_u32_f32_e32 v6, v6
	v_cvt_u32_f32_e32 v3, v3
	v_readfirstlane_b32 s29, v6
	v_readfirstlane_b32 s0, v3
	s_mul_i32 s1, s16, s29
	s_mul_hi_u32 s35, s16, s0
	s_mul_i32 s34, s25, s0
	s_add_i32 s1, s35, s1
	s_add_i32 s1, s1, s34
	s_mul_i32 s36, s16, s0
	s_mul_i32 s35, s0, s1
	s_mul_hi_u32 s37, s0, s36
	s_mul_hi_u32 s34, s0, s1
	s_add_u32 s35, s37, s35
	s_addc_u32 s34, 0, s34
	s_mul_hi_u32 s38, s29, s36
	s_mul_i32 s36, s29, s36
	s_add_u32 s35, s35, s36
	s_mul_hi_u32 s37, s29, s1
	s_addc_u32 s34, s34, s38
	s_addc_u32 s35, s37, 0
	s_mul_i32 s1, s29, s1
	s_add_u32 s1, s34, s1
	s_addc_u32 s34, 0, s35
	s_add_u32 s35, s0, s1
	s_cselect_b64 s[0:1], -1, 0
	s_cmp_lg_u64 s[0:1], 0
	s_addc_u32 s29, s29, s34
	s_mul_i32 s0, s16, s29
	s_mul_hi_u32 s1, s16, s35
	s_add_i32 s0, s1, s0
	s_mul_i32 s25, s25, s35
	s_add_i32 s0, s0, s25
	s_mul_i32 s16, s16, s35
	s_mul_hi_u32 s25, s29, s16
	s_mul_i32 s34, s29, s16
	s_mul_i32 s37, s35, s0
	s_mul_hi_u32 s16, s35, s16
	s_mul_hi_u32 s36, s35, s0
	s_add_u32 s16, s16, s37
	s_addc_u32 s36, 0, s36
	s_add_u32 s16, s16, s34
	s_mul_hi_u32 s1, s29, s0
	s_addc_u32 s16, s36, s25
	s_addc_u32 s1, s1, 0
	s_mul_i32 s0, s29, s0
	s_add_u32 s0, s16, s0
	s_addc_u32 s16, 0, s1
	s_add_u32 s25, s35, s0
	s_cselect_b64 s[0:1], -1, 0
	v_ashrrev_i32_e32 v3, 31, v5
	s_cmp_lg_u64 s[0:1], 0
	v_add_co_u32_e32 v6, vcc, v4, v3
	s_addc_u32 s16, s29, s16
	v_xor_b32_e32 v9, v6, v3
	v_addc_co_u32_e32 v7, vcc, v5, v3, vcc
	v_mad_u64_u32 v[5:6], s[0:1], v9, s16, 0
	v_mul_hi_u32 v8, v9, s25
	v_xor_b32_e32 v10, v7, v3
	v_xor_b32_e32 v3, s28, v3
	v_add_co_u32_e32 v11, vcc, v8, v5
	v_addc_co_u32_e32 v12, vcc, 0, v6, vcc
	v_mad_u64_u32 v[5:6], s[0:1], v10, s25, 0
	v_mad_u64_u32 v[7:8], s[0:1], v10, s16, 0
	v_add_co_u32_e32 v5, vcc, v11, v5
	v_addc_co_u32_e32 v5, vcc, v12, v6, vcc
	v_addc_co_u32_e32 v6, vcc, 0, v8, vcc
	v_add_co_u32_e32 v7, vcc, v5, v7
	v_addc_co_u32_e32 v8, vcc, 0, v6, vcc
	v_mul_lo_u32 v11, s31, v7
	v_mul_lo_u32 v12, s30, v8
	v_mad_u64_u32 v[5:6], s[0:1], s30, v7, 0
	v_add3_u32 v6, v6, v12, v11
	v_sub_u32_e32 v11, v10, v6
	v_mov_b32_e32 v12, s31
	v_sub_co_u32_e32 v5, vcc, v9, v5
	v_subb_co_u32_e64 v9, s[0:1], v11, v12, vcc
	v_subrev_co_u32_e64 v11, s[0:1], s30, v5
	v_subbrev_co_u32_e64 v9, s[0:1], 0, v9, s[0:1]
	v_cmp_le_u32_e64 s[0:1], s31, v9
	v_cndmask_b32_e64 v12, 0, -1, s[0:1]
	v_cmp_le_u32_e64 s[0:1], s30, v11
	v_cndmask_b32_e64 v11, 0, -1, s[0:1]
	v_cmp_eq_u32_e64 s[0:1], s31, v9
	v_cndmask_b32_e64 v9, v12, v11, s[0:1]
	v_add_co_u32_e64 v11, s[0:1], 2, v7
	v_subb_co_u32_e32 v6, vcc, v10, v6, vcc
	v_addc_co_u32_e64 v12, s[0:1], 0, v8, s[0:1]
	v_cmp_le_u32_e32 vcc, s31, v6
	v_add_co_u32_e64 v13, s[0:1], 1, v7
	v_cndmask_b32_e64 v10, 0, -1, vcc
	v_cmp_le_u32_e32 vcc, s30, v5
	v_addc_co_u32_e64 v14, s[0:1], 0, v8, s[0:1]
	v_cndmask_b32_e64 v5, 0, -1, vcc
	v_cmp_eq_u32_e32 vcc, s31, v6
	v_cmp_ne_u32_e64 s[0:1], 0, v9
	v_cndmask_b32_e32 v5, v10, v5, vcc
	v_cmp_ne_u32_e32 vcc, 0, v5
	v_cndmask_b32_e64 v6, v13, v11, s[0:1]
	v_cndmask_b32_e64 v9, v14, v12, s[0:1]
	v_cndmask_b32_e32 v6, v7, v6, vcc
	v_cndmask_b32_e32 v5, v8, v9, vcc
	v_xor_b32_e32 v6, v6, v3
	v_xor_b32_e32 v5, v5, v3
	v_sub_co_u32_e32 v6, vcc, v6, v3
	v_subb_co_u32_e32 v7, vcc, v5, v3, vcc
.LBB52_9:                               ;   in Loop: Header=BB52_3 Depth=1
	s_andn2_saveexec_b64 s[0:1], s[26:27]
	s_cbranch_execz .LBB52_11
; %bb.10:                               ;   in Loop: Header=BB52_3 Depth=1
	v_cvt_f32_u32_e32 v3, s45
	s_sub_i32 s16, 0, s45
	v_rcp_iflag_f32_e32 v3, v3
	v_mul_f32_e32 v3, 0x4f7ffffe, v3
	v_cvt_u32_f32_e32 v3, v3
	v_mul_lo_u32 v5, s16, v3
	v_mul_hi_u32 v5, v3, v5
	v_add_u32_e32 v3, v3, v5
	v_mul_hi_u32 v3, v4, v3
	v_mul_lo_u32 v5, v3, s45
	v_add_u32_e32 v6, 1, v3
	v_sub_u32_e32 v5, v4, v5
	v_subrev_u32_e32 v7, s45, v5
	v_cmp_le_u32_e32 vcc, s45, v5
	v_cndmask_b32_e32 v5, v5, v7, vcc
	v_cndmask_b32_e32 v3, v3, v6, vcc
	v_add_u32_e32 v6, 1, v3
	v_cmp_le_u32_e32 vcc, s45, v5
	v_cndmask_b32_e32 v6, v3, v6, vcc
	v_mov_b32_e32 v7, v2
.LBB52_11:                              ;   in Loop: Header=BB52_3 Depth=1
	s_or_b64 exec, exec, s[0:1]
	v_mad_u64_u32 v[8:9], s[0:1], v4, s33, 0
	v_mad_u64_u32 v[9:10], s[0:1], v6, s45, 0
	v_sub_co_u32_e32 v25, vcc, v0, v8
	v_sub_co_u32_e32 v24, vcc, v4, v9
	v_sub_u32_e32 v3, v25, v24
	v_ashrrev_i32_e32 v4, 31, v3
	v_cmp_gt_i64_e32 vcc, s[8:9], v[3:4]
	s_and_saveexec_b64 s[26:27], vcc
	s_cbranch_execz .LBB52_2
; %bb.12:                               ;   in Loop: Header=BB52_3 Depth=1
	s_load_dwordx2 s[28:29], s[14:15], 0x64
	s_andn2_b64 vcc, exec, s[6:7]
	s_waitcnt lgkmcnt(0)
	v_mul_lo_u32 v3, s29, v25
	v_mad_u64_u32 v[4:5], s[0:1], s28, v24, v[3:4]
	s_cbranch_vccnz .LBB52_57
; %bb.13:                               ;   in Loop: Header=BB52_3 Depth=1
	s_andn2_b64 vcc, exec, s[18:19]
	s_mov_b32 s25, s49
	s_mov_b32 s16, s47
	;; [unrolled: 1-line block ×3, first 2 shown]
	s_cbranch_vccnz .LBB52_21
.LBB52_14:                              ;   Parent Loop BB52_3 Depth=1
                                        ; =>  This Inner Loop Header: Depth=2
	s_lshl_b64 s[30:31], s[16:17], 2
	s_add_u32 s0, s42, s30
	s_addc_u32 s1, s43, s31
	s_load_dword s28, s[0:1], 0x8
                                        ; implicit-def: $vgpr8_vgpr9
	s_waitcnt lgkmcnt(0)
	s_ashr_i32 s0, s28, 31
	v_or_b32_e32 v3, s0, v7
	v_cmp_ne_u64_e32 vcc, 0, v[2:3]
	s_and_saveexec_b64 s[34:35], vcc
	s_xor_b64 s[34:35], exec, s[34:35]
	s_cbranch_execz .LBB52_16
; %bb.15:                               ;   in Loop: Header=BB52_14 Depth=2
	s_ashr_i32 s36, s0, 31
	s_add_u32 s38, s28, s36
	s_mov_b32 s37, s36
	s_addc_u32 s39, s0, s36
	s_xor_b64 s[38:39], s[38:39], s[36:37]
	v_cvt_f32_u32_e32 v3, s38
	v_cvt_f32_u32_e32 v5, s39
	s_sub_u32 s37, 0, s38
	s_subb_u32 s40, 0, s39
	v_mac_f32_e32 v3, 0x4f800000, v5
	v_rcp_f32_e32 v3, v3
	v_mul_f32_e32 v3, 0x5f7ffffc, v3
	v_mul_f32_e32 v5, 0x2f800000, v3
	v_trunc_f32_e32 v5, v5
	v_mac_f32_e32 v3, 0xcf800000, v5
	v_cvt_u32_f32_e32 v5, v5
	v_cvt_u32_f32_e32 v3, v3
	v_readfirstlane_b32 s41, v5
	v_readfirstlane_b32 s0, v3
	s_mul_i32 s1, s37, s41
	s_mul_hi_u32 s51, s37, s0
	s_mul_i32 s50, s40, s0
	s_add_i32 s1, s51, s1
	s_add_i32 s1, s1, s50
	s_mul_i32 s52, s37, s0
	s_mul_i32 s51, s0, s1
	s_mul_hi_u32 s53, s0, s52
	s_mul_hi_u32 s50, s0, s1
	s_add_u32 s51, s53, s51
	s_addc_u32 s50, 0, s50
	s_mul_hi_u32 s54, s41, s52
	s_mul_i32 s52, s41, s52
	s_add_u32 s51, s51, s52
	s_mul_hi_u32 s53, s41, s1
	s_addc_u32 s50, s50, s54
	s_addc_u32 s51, s53, 0
	s_mul_i32 s1, s41, s1
	s_add_u32 s1, s50, s1
	s_addc_u32 s50, 0, s51
	s_add_u32 s51, s0, s1
	s_cselect_b64 s[0:1], -1, 0
	s_cmp_lg_u64 s[0:1], 0
	s_addc_u32 s41, s41, s50
	s_mul_i32 s0, s37, s41
	s_mul_hi_u32 s1, s37, s51
	s_add_i32 s0, s1, s0
	s_mul_i32 s40, s40, s51
	s_add_i32 s0, s0, s40
	s_mul_i32 s37, s37, s51
	s_mul_hi_u32 s40, s41, s37
	s_mul_i32 s50, s41, s37
	s_mul_i32 s53, s51, s0
	s_mul_hi_u32 s37, s51, s37
	s_mul_hi_u32 s52, s51, s0
	s_add_u32 s37, s37, s53
	s_addc_u32 s52, 0, s52
	s_add_u32 s37, s37, s50
	s_mul_hi_u32 s1, s41, s0
	s_addc_u32 s37, s52, s40
	s_addc_u32 s1, s1, 0
	s_mul_i32 s0, s41, s0
	s_add_u32 s0, s37, s0
	s_addc_u32 s37, 0, s1
	s_add_u32 s40, s51, s0
	s_cselect_b64 s[0:1], -1, 0
	v_ashrrev_i32_e32 v3, 31, v7
	s_cmp_lg_u64 s[0:1], 0
	v_add_co_u32_e32 v5, vcc, v6, v3
	s_addc_u32 s37, s41, s37
	v_xor_b32_e32 v5, v5, v3
	v_addc_co_u32_e32 v9, vcc, v7, v3, vcc
	v_mad_u64_u32 v[7:8], s[0:1], v5, s37, 0
	v_mul_hi_u32 v10, v5, s40
	v_xor_b32_e32 v11, v9, v3
	v_xor_b32_e32 v3, s36, v3
	v_add_co_u32_e32 v12, vcc, v10, v7
	v_addc_co_u32_e32 v13, vcc, 0, v8, vcc
	v_mad_u64_u32 v[7:8], s[0:1], v11, s40, 0
	v_mad_u64_u32 v[9:10], s[0:1], v11, s37, 0
	v_add_co_u32_e32 v7, vcc, v12, v7
	v_addc_co_u32_e32 v7, vcc, v13, v8, vcc
	v_addc_co_u32_e32 v8, vcc, 0, v10, vcc
	v_add_co_u32_e32 v9, vcc, v7, v9
	v_addc_co_u32_e32 v10, vcc, 0, v8, vcc
	v_mul_lo_u32 v12, s39, v9
	v_mul_lo_u32 v13, s38, v10
	v_mad_u64_u32 v[7:8], s[0:1], s38, v9, 0
	v_add3_u32 v8, v8, v13, v12
	v_sub_u32_e32 v12, v11, v8
	v_mov_b32_e32 v13, s39
	v_sub_co_u32_e32 v5, vcc, v5, v7
	v_subb_co_u32_e64 v7, s[0:1], v12, v13, vcc
	v_subrev_co_u32_e64 v12, s[0:1], s38, v5
	v_subbrev_co_u32_e64 v7, s[0:1], 0, v7, s[0:1]
	v_cmp_le_u32_e64 s[0:1], s39, v7
	v_cndmask_b32_e64 v13, 0, -1, s[0:1]
	v_cmp_le_u32_e64 s[0:1], s38, v12
	v_cndmask_b32_e64 v12, 0, -1, s[0:1]
	v_cmp_eq_u32_e64 s[0:1], s39, v7
	v_cndmask_b32_e64 v7, v13, v12, s[0:1]
	v_add_co_u32_e64 v12, s[0:1], 2, v9
	v_subb_co_u32_e32 v8, vcc, v11, v8, vcc
	v_addc_co_u32_e64 v13, s[0:1], 0, v10, s[0:1]
	v_cmp_le_u32_e32 vcc, s39, v8
	v_add_co_u32_e64 v14, s[0:1], 1, v9
	v_cndmask_b32_e64 v11, 0, -1, vcc
	v_cmp_le_u32_e32 vcc, s38, v5
	v_addc_co_u32_e64 v15, s[0:1], 0, v10, s[0:1]
	v_cndmask_b32_e64 v5, 0, -1, vcc
	v_cmp_eq_u32_e32 vcc, s39, v8
	v_cmp_ne_u32_e64 s[0:1], 0, v7
	v_cndmask_b32_e32 v5, v11, v5, vcc
	v_cndmask_b32_e64 v7, v15, v13, s[0:1]
	v_cmp_ne_u32_e32 vcc, 0, v5
	v_cndmask_b32_e32 v5, v10, v7, vcc
	v_cndmask_b32_e64 v7, v14, v12, s[0:1]
	v_cndmask_b32_e32 v7, v9, v7, vcc
	v_xor_b32_e32 v7, v7, v3
	v_xor_b32_e32 v5, v5, v3
	v_sub_co_u32_e32 v8, vcc, v7, v3
	v_subb_co_u32_e32 v9, vcc, v5, v3, vcc
.LBB52_16:                              ;   in Loop: Header=BB52_14 Depth=2
	s_andn2_saveexec_b64 s[0:1], s[34:35]
	s_cbranch_execz .LBB52_18
; %bb.17:                               ;   in Loop: Header=BB52_14 Depth=2
	v_cvt_f32_u32_e32 v3, s28
	s_sub_i32 s34, 0, s28
	v_mov_b32_e32 v9, v2
	v_rcp_iflag_f32_e32 v3, v3
	v_mul_f32_e32 v3, 0x4f7ffffe, v3
	v_cvt_u32_f32_e32 v3, v3
	v_mul_lo_u32 v5, s34, v3
	v_mul_hi_u32 v5, v3, v5
	v_add_u32_e32 v3, v3, v5
	v_mul_hi_u32 v3, v6, v3
	v_mul_lo_u32 v5, v3, s28
	v_add_u32_e32 v7, 1, v3
	v_sub_u32_e32 v5, v6, v5
	v_subrev_u32_e32 v8, s28, v5
	v_cmp_le_u32_e32 vcc, s28, v5
	v_cndmask_b32_e32 v5, v5, v8, vcc
	v_cndmask_b32_e32 v3, v3, v7, vcc
	v_add_u32_e32 v7, 1, v3
	v_cmp_le_u32_e32 vcc, s28, v5
	v_cndmask_b32_e32 v8, v3, v7, vcc
.LBB52_18:                              ;   in Loop: Header=BB52_14 Depth=2
	s_or_b64 exec, exec, s[0:1]
	s_add_u32 s0, s4, s30
	s_addc_u32 s1, s5, s31
	v_mul_lo_u32 v3, v8, s28
	s_load_dword s0, s[0:1], 0x6c
	s_add_i32 s16, s16, -1
	s_add_i32 s25, s25, -1
	v_sub_u32_e32 v3, v6, v3
	s_cmp_lg_u32 s25, 0
	s_waitcnt lgkmcnt(0)
	v_mad_u64_u32 v[4:5], s[0:1], s0, v3, v[4:5]
	s_cbranch_scc0 .LBB52_20
; %bb.19:                               ;   in Loop: Header=BB52_14 Depth=2
	v_mov_b32_e32 v6, v8
	v_mov_b32_e32 v7, v9
	s_branch .LBB52_14
.LBB52_20:                              ;   in Loop: Header=BB52_3 Depth=1
	v_mov_b32_e32 v6, v8
	s_mov_b32 s0, s16
	v_mov_b32_e32 v7, v9
.LBB52_21:                              ;   in Loop: Header=BB52_3 Depth=1
	s_andn2_b64 vcc, exec, s[20:21]
	s_cbranch_vccnz .LBB52_57
; %bb.22:                               ;   in Loop: Header=BB52_3 Depth=1
	s_add_i32 s30, s0, -7
.LBB52_23:                              ;   Parent Loop BB52_3 Depth=1
                                        ; =>  This Inner Loop Header: Depth=2
	s_add_i32 s16, s30, 7
	s_lshl_b64 s[34:35], s[16:17], 2
	s_add_u32 s0, s42, s34
	s_addc_u32 s1, s43, s35
	s_load_dword s25, s[0:1], 0x8
                                        ; implicit-def: $vgpr8_vgpr9
	s_waitcnt lgkmcnt(0)
	s_ashr_i32 s0, s25, 31
	v_or_b32_e32 v3, s0, v7
	v_cmp_ne_u64_e32 vcc, 0, v[2:3]
	s_and_saveexec_b64 s[36:37], vcc
	s_xor_b64 s[36:37], exec, s[36:37]
	s_cbranch_execz .LBB52_25
; %bb.24:                               ;   in Loop: Header=BB52_23 Depth=2
	s_ashr_i32 s38, s0, 31
	s_add_u32 s40, s25, s38
	s_mov_b32 s39, s38
	s_addc_u32 s41, s0, s38
	s_xor_b64 s[40:41], s[40:41], s[38:39]
	v_cvt_f32_u32_e32 v3, s40
	v_cvt_f32_u32_e32 v5, s41
	s_sub_u32 s16, 0, s40
	s_subb_u32 s28, 0, s41
	v_mac_f32_e32 v3, 0x4f800000, v5
	v_rcp_f32_e32 v3, v3
	v_mul_f32_e32 v3, 0x5f7ffffc, v3
	v_mul_f32_e32 v5, 0x2f800000, v3
	v_trunc_f32_e32 v5, v5
	v_mac_f32_e32 v3, 0xcf800000, v5
	v_cvt_u32_f32_e32 v5, v5
	v_cvt_u32_f32_e32 v3, v3
	v_readfirstlane_b32 s31, v5
	v_readfirstlane_b32 s0, v3
	s_mul_i32 s1, s16, s31
	s_mul_hi_u32 s50, s16, s0
	s_mul_i32 s39, s28, s0
	s_add_i32 s1, s50, s1
	s_add_i32 s1, s1, s39
	s_mul_i32 s51, s16, s0
	s_mul_i32 s50, s0, s1
	s_mul_hi_u32 s52, s0, s51
	s_mul_hi_u32 s39, s0, s1
	s_add_u32 s50, s52, s50
	s_addc_u32 s39, 0, s39
	s_mul_hi_u32 s53, s31, s51
	s_mul_i32 s51, s31, s51
	s_add_u32 s50, s50, s51
	s_mul_hi_u32 s52, s31, s1
	s_addc_u32 s39, s39, s53
	s_addc_u32 s50, s52, 0
	s_mul_i32 s1, s31, s1
	s_add_u32 s1, s39, s1
	s_addc_u32 s39, 0, s50
	s_add_u32 s50, s0, s1
	s_cselect_b64 s[0:1], -1, 0
	s_cmp_lg_u64 s[0:1], 0
	s_addc_u32 s31, s31, s39
	s_mul_i32 s0, s16, s31
	s_mul_hi_u32 s1, s16, s50
	s_add_i32 s0, s1, s0
	s_mul_i32 s28, s28, s50
	s_add_i32 s0, s0, s28
	s_mul_i32 s16, s16, s50
	s_mul_hi_u32 s28, s31, s16
	s_mul_i32 s39, s31, s16
	s_mul_i32 s52, s50, s0
	s_mul_hi_u32 s16, s50, s16
	s_mul_hi_u32 s51, s50, s0
	s_add_u32 s16, s16, s52
	s_addc_u32 s51, 0, s51
	s_add_u32 s16, s16, s39
	s_mul_hi_u32 s1, s31, s0
	s_addc_u32 s16, s51, s28
	s_addc_u32 s1, s1, 0
	s_mul_i32 s0, s31, s0
	s_add_u32 s0, s16, s0
	s_addc_u32 s16, 0, s1
	s_add_u32 s28, s50, s0
	s_cselect_b64 s[0:1], -1, 0
	v_ashrrev_i32_e32 v3, 31, v7
	s_cmp_lg_u64 s[0:1], 0
	v_add_co_u32_e32 v5, vcc, v6, v3
	s_addc_u32 s16, s31, s16
	v_xor_b32_e32 v5, v5, v3
	v_addc_co_u32_e32 v9, vcc, v7, v3, vcc
	v_mad_u64_u32 v[7:8], s[0:1], v5, s16, 0
	v_mul_hi_u32 v10, v5, s28
	v_xor_b32_e32 v11, v9, v3
	v_xor_b32_e32 v3, s38, v3
	v_add_co_u32_e32 v12, vcc, v10, v7
	v_addc_co_u32_e32 v13, vcc, 0, v8, vcc
	v_mad_u64_u32 v[7:8], s[0:1], v11, s28, 0
	v_mad_u64_u32 v[9:10], s[0:1], v11, s16, 0
	v_add_co_u32_e32 v7, vcc, v12, v7
	v_addc_co_u32_e32 v7, vcc, v13, v8, vcc
	v_addc_co_u32_e32 v8, vcc, 0, v10, vcc
	v_add_co_u32_e32 v9, vcc, v7, v9
	v_addc_co_u32_e32 v10, vcc, 0, v8, vcc
	v_mul_lo_u32 v12, s41, v9
	v_mul_lo_u32 v13, s40, v10
	v_mad_u64_u32 v[7:8], s[0:1], s40, v9, 0
	v_add3_u32 v8, v8, v13, v12
	v_sub_u32_e32 v12, v11, v8
	v_mov_b32_e32 v13, s41
	v_sub_co_u32_e32 v5, vcc, v5, v7
	v_subb_co_u32_e64 v7, s[0:1], v12, v13, vcc
	v_subrev_co_u32_e64 v12, s[0:1], s40, v5
	v_subbrev_co_u32_e64 v7, s[0:1], 0, v7, s[0:1]
	v_cmp_le_u32_e64 s[0:1], s41, v7
	v_cndmask_b32_e64 v13, 0, -1, s[0:1]
	v_cmp_le_u32_e64 s[0:1], s40, v12
	v_cndmask_b32_e64 v12, 0, -1, s[0:1]
	v_cmp_eq_u32_e64 s[0:1], s41, v7
	v_cndmask_b32_e64 v7, v13, v12, s[0:1]
	v_add_co_u32_e64 v12, s[0:1], 2, v9
	v_subb_co_u32_e32 v8, vcc, v11, v8, vcc
	v_addc_co_u32_e64 v13, s[0:1], 0, v10, s[0:1]
	v_cmp_le_u32_e32 vcc, s41, v8
	v_add_co_u32_e64 v14, s[0:1], 1, v9
	v_cndmask_b32_e64 v11, 0, -1, vcc
	v_cmp_le_u32_e32 vcc, s40, v5
	v_addc_co_u32_e64 v15, s[0:1], 0, v10, s[0:1]
	v_cndmask_b32_e64 v5, 0, -1, vcc
	v_cmp_eq_u32_e32 vcc, s41, v8
	v_cmp_ne_u32_e64 s[0:1], 0, v7
	v_cndmask_b32_e32 v5, v11, v5, vcc
	v_cndmask_b32_e64 v7, v15, v13, s[0:1]
	v_cmp_ne_u32_e32 vcc, 0, v5
	v_cndmask_b32_e32 v5, v10, v7, vcc
	v_cndmask_b32_e64 v7, v14, v12, s[0:1]
	v_cndmask_b32_e32 v7, v9, v7, vcc
	v_xor_b32_e32 v7, v7, v3
	v_xor_b32_e32 v5, v5, v3
	v_sub_co_u32_e32 v8, vcc, v7, v3
	v_subb_co_u32_e32 v9, vcc, v5, v3, vcc
.LBB52_25:                              ;   in Loop: Header=BB52_23 Depth=2
	s_andn2_saveexec_b64 s[0:1], s[36:37]
	s_cbranch_execz .LBB52_27
; %bb.26:                               ;   in Loop: Header=BB52_23 Depth=2
	v_cvt_f32_u32_e32 v3, s25
	s_sub_i32 s16, 0, s25
	v_mov_b32_e32 v9, v2
	v_rcp_iflag_f32_e32 v3, v3
	v_mul_f32_e32 v3, 0x4f7ffffe, v3
	v_cvt_u32_f32_e32 v3, v3
	v_mul_lo_u32 v5, s16, v3
	v_mul_hi_u32 v5, v3, v5
	v_add_u32_e32 v3, v3, v5
	v_mul_hi_u32 v3, v6, v3
	v_mul_lo_u32 v5, v3, s25
	v_add_u32_e32 v7, 1, v3
	v_sub_u32_e32 v5, v6, v5
	v_subrev_u32_e32 v8, s25, v5
	v_cmp_le_u32_e32 vcc, s25, v5
	v_cndmask_b32_e32 v5, v5, v8, vcc
	v_cndmask_b32_e32 v3, v3, v7, vcc
	v_add_u32_e32 v7, 1, v3
	v_cmp_le_u32_e32 vcc, s25, v5
	v_cndmask_b32_e32 v8, v3, v7, vcc
.LBB52_27:                              ;   in Loop: Header=BB52_23 Depth=2
	s_or_b64 exec, exec, s[0:1]
	s_add_u32 s0, s4, s34
	s_addc_u32 s1, s5, s35
	s_add_i32 s16, s30, 6
	s_lshl_b64 s[34:35], s[16:17], 2
	s_add_u32 s36, s42, s34
	s_addc_u32 s37, s43, s35
	s_load_dword s50, s[36:37], 0x8
	s_load_dword s28, s[0:1], 0x6c
                                        ; implicit-def: $vgpr10_vgpr11
	s_waitcnt lgkmcnt(0)
	s_ashr_i32 s0, s50, 31
	v_or_b32_e32 v3, s0, v9
	v_cmp_ne_u64_e32 vcc, 0, v[2:3]
	s_and_saveexec_b64 s[36:37], vcc
	s_xor_b64 s[36:37], exec, s[36:37]
	s_cbranch_execz .LBB52_29
; %bb.28:                               ;   in Loop: Header=BB52_23 Depth=2
	s_ashr_i32 s38, s0, 31
	s_add_u32 s40, s50, s38
	s_mov_b32 s39, s38
	s_addc_u32 s41, s0, s38
	s_xor_b64 s[40:41], s[40:41], s[38:39]
	v_cvt_f32_u32_e32 v3, s40
	v_cvt_f32_u32_e32 v5, s41
	s_sub_u32 s16, 0, s40
	s_subb_u32 s31, 0, s41
	v_mac_f32_e32 v3, 0x4f800000, v5
	v_rcp_f32_e32 v3, v3
	v_mul_f32_e32 v3, 0x5f7ffffc, v3
	v_mul_f32_e32 v5, 0x2f800000, v3
	v_trunc_f32_e32 v5, v5
	v_mac_f32_e32 v3, 0xcf800000, v5
	v_cvt_u32_f32_e32 v5, v5
	v_cvt_u32_f32_e32 v3, v3
	v_readfirstlane_b32 s39, v5
	v_readfirstlane_b32 s0, v3
	s_mul_i32 s1, s16, s39
	s_mul_hi_u32 s52, s16, s0
	s_mul_i32 s51, s31, s0
	s_add_i32 s1, s52, s1
	s_add_i32 s1, s1, s51
	s_mul_i32 s53, s16, s0
	s_mul_i32 s52, s0, s1
	s_mul_hi_u32 s54, s0, s53
	s_mul_hi_u32 s51, s0, s1
	s_add_u32 s52, s54, s52
	s_addc_u32 s51, 0, s51
	s_mul_hi_u32 s55, s39, s53
	s_mul_i32 s53, s39, s53
	s_add_u32 s52, s52, s53
	s_mul_hi_u32 s54, s39, s1
	s_addc_u32 s51, s51, s55
	s_addc_u32 s52, s54, 0
	s_mul_i32 s1, s39, s1
	s_add_u32 s1, s51, s1
	s_addc_u32 s51, 0, s52
	s_add_u32 s52, s0, s1
	s_cselect_b64 s[0:1], -1, 0
	s_cmp_lg_u64 s[0:1], 0
	s_addc_u32 s39, s39, s51
	s_mul_i32 s0, s16, s39
	s_mul_hi_u32 s1, s16, s52
	s_add_i32 s0, s1, s0
	s_mul_i32 s31, s31, s52
	s_add_i32 s0, s0, s31
	s_mul_i32 s16, s16, s52
	s_mul_hi_u32 s31, s39, s16
	s_mul_i32 s51, s39, s16
	s_mul_i32 s54, s52, s0
	s_mul_hi_u32 s16, s52, s16
	s_mul_hi_u32 s53, s52, s0
	s_add_u32 s16, s16, s54
	s_addc_u32 s53, 0, s53
	s_add_u32 s16, s16, s51
	s_mul_hi_u32 s1, s39, s0
	s_addc_u32 s16, s53, s31
	s_addc_u32 s1, s1, 0
	s_mul_i32 s0, s39, s0
	s_add_u32 s0, s16, s0
	s_addc_u32 s16, 0, s1
	s_add_u32 s31, s52, s0
	s_cselect_b64 s[0:1], -1, 0
	v_ashrrev_i32_e32 v3, 31, v9
	s_cmp_lg_u64 s[0:1], 0
	v_add_co_u32_e32 v5, vcc, v8, v3
	s_addc_u32 s16, s39, s16
	v_xor_b32_e32 v5, v5, v3
	v_addc_co_u32_e32 v7, vcc, v9, v3, vcc
	v_mad_u64_u32 v[9:10], s[0:1], v5, s16, 0
	v_mul_hi_u32 v11, v5, s31
	v_xor_b32_e32 v7, v7, v3
	v_xor_b32_e32 v3, s38, v3
	v_add_co_u32_e32 v13, vcc, v11, v9
	v_addc_co_u32_e32 v14, vcc, 0, v10, vcc
	v_mad_u64_u32 v[9:10], s[0:1], v7, s31, 0
	v_mad_u64_u32 v[11:12], s[0:1], v7, s16, 0
	v_add_co_u32_e32 v9, vcc, v13, v9
	v_addc_co_u32_e32 v9, vcc, v14, v10, vcc
	v_addc_co_u32_e32 v10, vcc, 0, v12, vcc
	v_add_co_u32_e32 v11, vcc, v9, v11
	v_addc_co_u32_e32 v12, vcc, 0, v10, vcc
	v_mul_lo_u32 v13, s41, v11
	v_mul_lo_u32 v14, s40, v12
	v_mad_u64_u32 v[9:10], s[0:1], s40, v11, 0
	v_add3_u32 v10, v10, v14, v13
	v_sub_u32_e32 v13, v7, v10
	v_mov_b32_e32 v14, s41
	v_sub_co_u32_e32 v5, vcc, v5, v9
	v_subb_co_u32_e64 v9, s[0:1], v13, v14, vcc
	v_subrev_co_u32_e64 v13, s[0:1], s40, v5
	v_subbrev_co_u32_e64 v9, s[0:1], 0, v9, s[0:1]
	v_cmp_le_u32_e64 s[0:1], s41, v9
	v_cndmask_b32_e64 v14, 0, -1, s[0:1]
	v_cmp_le_u32_e64 s[0:1], s40, v13
	v_cndmask_b32_e64 v13, 0, -1, s[0:1]
	v_cmp_eq_u32_e64 s[0:1], s41, v9
	v_cndmask_b32_e64 v9, v14, v13, s[0:1]
	v_add_co_u32_e64 v13, s[0:1], 2, v11
	v_subb_co_u32_e32 v7, vcc, v7, v10, vcc
	v_addc_co_u32_e64 v14, s[0:1], 0, v12, s[0:1]
	v_cmp_le_u32_e32 vcc, s41, v7
	v_add_co_u32_e64 v15, s[0:1], 1, v11
	v_cndmask_b32_e64 v10, 0, -1, vcc
	v_cmp_le_u32_e32 vcc, s40, v5
	v_addc_co_u32_e64 v16, s[0:1], 0, v12, s[0:1]
	v_cndmask_b32_e64 v5, 0, -1, vcc
	v_cmp_eq_u32_e32 vcc, s41, v7
	v_cmp_ne_u32_e64 s[0:1], 0, v9
	v_cndmask_b32_e32 v5, v10, v5, vcc
	v_cmp_ne_u32_e32 vcc, 0, v5
	v_cndmask_b32_e64 v7, v15, v13, s[0:1]
	v_cndmask_b32_e64 v9, v16, v14, s[0:1]
	v_cndmask_b32_e32 v7, v11, v7, vcc
	v_cndmask_b32_e32 v5, v12, v9, vcc
	v_xor_b32_e32 v7, v7, v3
	v_xor_b32_e32 v5, v5, v3
	v_sub_co_u32_e32 v10, vcc, v7, v3
	v_subb_co_u32_e32 v11, vcc, v5, v3, vcc
.LBB52_29:                              ;   in Loop: Header=BB52_23 Depth=2
	s_andn2_saveexec_b64 s[0:1], s[36:37]
	s_cbranch_execz .LBB52_31
; %bb.30:                               ;   in Loop: Header=BB52_23 Depth=2
	v_cvt_f32_u32_e32 v3, s50
	s_sub_i32 s16, 0, s50
	v_mov_b32_e32 v11, v2
	v_rcp_iflag_f32_e32 v3, v3
	v_mul_f32_e32 v3, 0x4f7ffffe, v3
	v_cvt_u32_f32_e32 v3, v3
	v_mul_lo_u32 v5, s16, v3
	v_mul_hi_u32 v5, v3, v5
	v_add_u32_e32 v3, v3, v5
	v_mul_hi_u32 v3, v8, v3
	v_mul_lo_u32 v5, v3, s50
	v_add_u32_e32 v7, 1, v3
	v_sub_u32_e32 v5, v8, v5
	v_subrev_u32_e32 v9, s50, v5
	v_cmp_le_u32_e32 vcc, s50, v5
	v_cndmask_b32_e32 v5, v5, v9, vcc
	v_cndmask_b32_e32 v3, v3, v7, vcc
	v_add_u32_e32 v7, 1, v3
	v_cmp_le_u32_e32 vcc, s50, v5
	v_cndmask_b32_e32 v10, v3, v7, vcc
.LBB52_31:                              ;   in Loop: Header=BB52_23 Depth=2
	s_or_b64 exec, exec, s[0:1]
	s_add_u32 s0, s4, s34
	s_addc_u32 s1, s5, s35
	s_add_i32 s16, s30, 5
	s_lshl_b64 s[34:35], s[16:17], 2
	s_add_u32 s36, s42, s34
	s_addc_u32 s37, s43, s35
	s_load_dword s52, s[36:37], 0x8
	s_load_dword s51, s[0:1], 0x6c
                                        ; implicit-def: $vgpr12_vgpr13
	s_waitcnt lgkmcnt(0)
	s_ashr_i32 s0, s52, 31
	v_or_b32_e32 v3, s0, v11
	v_cmp_ne_u64_e32 vcc, 0, v[2:3]
	s_and_saveexec_b64 s[36:37], vcc
	s_xor_b64 s[36:37], exec, s[36:37]
	s_cbranch_execz .LBB52_33
; %bb.32:                               ;   in Loop: Header=BB52_23 Depth=2
	s_ashr_i32 s38, s0, 31
	s_add_u32 s40, s52, s38
	s_mov_b32 s39, s38
	s_addc_u32 s41, s0, s38
	s_xor_b64 s[40:41], s[40:41], s[38:39]
	v_cvt_f32_u32_e32 v3, s40
	v_cvt_f32_u32_e32 v5, s41
	s_sub_u32 s16, 0, s40
	s_subb_u32 s31, 0, s41
	v_mac_f32_e32 v3, 0x4f800000, v5
	v_rcp_f32_e32 v3, v3
	v_mul_f32_e32 v3, 0x5f7ffffc, v3
	v_mul_f32_e32 v5, 0x2f800000, v3
	v_trunc_f32_e32 v5, v5
	v_mac_f32_e32 v3, 0xcf800000, v5
	v_cvt_u32_f32_e32 v5, v5
	v_cvt_u32_f32_e32 v3, v3
	v_readfirstlane_b32 s39, v5
	v_readfirstlane_b32 s0, v3
	s_mul_i32 s1, s16, s39
	s_mul_hi_u32 s54, s16, s0
	s_mul_i32 s53, s31, s0
	s_add_i32 s1, s54, s1
	s_add_i32 s1, s1, s53
	s_mul_i32 s55, s16, s0
	s_mul_i32 s54, s0, s1
	s_mul_hi_u32 s56, s0, s55
	s_mul_hi_u32 s53, s0, s1
	s_add_u32 s54, s56, s54
	s_addc_u32 s53, 0, s53
	s_mul_hi_u32 s57, s39, s55
	s_mul_i32 s55, s39, s55
	s_add_u32 s54, s54, s55
	s_mul_hi_u32 s56, s39, s1
	s_addc_u32 s53, s53, s57
	s_addc_u32 s54, s56, 0
	s_mul_i32 s1, s39, s1
	s_add_u32 s1, s53, s1
	s_addc_u32 s53, 0, s54
	s_add_u32 s54, s0, s1
	s_cselect_b64 s[0:1], -1, 0
	s_cmp_lg_u64 s[0:1], 0
	s_addc_u32 s39, s39, s53
	s_mul_i32 s0, s16, s39
	s_mul_hi_u32 s1, s16, s54
	s_add_i32 s0, s1, s0
	s_mul_i32 s31, s31, s54
	s_add_i32 s0, s0, s31
	s_mul_i32 s16, s16, s54
	s_mul_hi_u32 s31, s39, s16
	s_mul_i32 s53, s39, s16
	s_mul_i32 s56, s54, s0
	s_mul_hi_u32 s16, s54, s16
	s_mul_hi_u32 s55, s54, s0
	s_add_u32 s16, s16, s56
	s_addc_u32 s55, 0, s55
	s_add_u32 s16, s16, s53
	s_mul_hi_u32 s1, s39, s0
	s_addc_u32 s16, s55, s31
	s_addc_u32 s1, s1, 0
	s_mul_i32 s0, s39, s0
	s_add_u32 s0, s16, s0
	s_addc_u32 s16, 0, s1
	s_add_u32 s31, s54, s0
	s_cselect_b64 s[0:1], -1, 0
	v_ashrrev_i32_e32 v3, 31, v11
	s_cmp_lg_u64 s[0:1], 0
	v_add_co_u32_e32 v5, vcc, v10, v3
	s_addc_u32 s16, s39, s16
	v_xor_b32_e32 v5, v5, v3
	v_addc_co_u32_e32 v7, vcc, v11, v3, vcc
	v_mad_u64_u32 v[11:12], s[0:1], v5, s16, 0
	v_mul_hi_u32 v9, v5, s31
	v_xor_b32_e32 v7, v7, v3
	v_mad_u64_u32 v[13:14], s[0:1], v7, s16, 0
	v_add_co_u32_e32 v9, vcc, v9, v11
	v_addc_co_u32_e32 v15, vcc, 0, v12, vcc
	v_mad_u64_u32 v[11:12], s[0:1], v7, s31, 0
	v_xor_b32_e32 v3, s38, v3
	v_add_co_u32_e32 v9, vcc, v9, v11
	v_addc_co_u32_e32 v9, vcc, v15, v12, vcc
	v_addc_co_u32_e32 v11, vcc, 0, v14, vcc
	v_add_co_u32_e32 v9, vcc, v9, v13
	v_addc_co_u32_e32 v13, vcc, 0, v11, vcc
	v_mul_lo_u32 v14, s41, v9
	v_mul_lo_u32 v15, s40, v13
	v_mad_u64_u32 v[11:12], s[0:1], s40, v9, 0
	v_add3_u32 v12, v12, v15, v14
	v_sub_u32_e32 v14, v7, v12
	v_mov_b32_e32 v15, s41
	v_sub_co_u32_e32 v5, vcc, v5, v11
	v_subb_co_u32_e64 v11, s[0:1], v14, v15, vcc
	v_subrev_co_u32_e64 v14, s[0:1], s40, v5
	v_subbrev_co_u32_e64 v11, s[0:1], 0, v11, s[0:1]
	v_cmp_le_u32_e64 s[0:1], s41, v11
	v_cndmask_b32_e64 v15, 0, -1, s[0:1]
	v_cmp_le_u32_e64 s[0:1], s40, v14
	v_cndmask_b32_e64 v14, 0, -1, s[0:1]
	v_cmp_eq_u32_e64 s[0:1], s41, v11
	v_cndmask_b32_e64 v11, v15, v14, s[0:1]
	v_add_co_u32_e64 v14, s[0:1], 2, v9
	v_subb_co_u32_e32 v7, vcc, v7, v12, vcc
	v_addc_co_u32_e64 v15, s[0:1], 0, v13, s[0:1]
	v_cmp_le_u32_e32 vcc, s41, v7
	v_add_co_u32_e64 v16, s[0:1], 1, v9
	v_cndmask_b32_e64 v12, 0, -1, vcc
	v_cmp_le_u32_e32 vcc, s40, v5
	v_addc_co_u32_e64 v17, s[0:1], 0, v13, s[0:1]
	v_cndmask_b32_e64 v5, 0, -1, vcc
	v_cmp_eq_u32_e32 vcc, s41, v7
	v_cmp_ne_u32_e64 s[0:1], 0, v11
	v_cndmask_b32_e32 v5, v12, v5, vcc
	v_cmp_ne_u32_e32 vcc, 0, v5
	v_cndmask_b32_e64 v7, v16, v14, s[0:1]
	v_cndmask_b32_e64 v11, v17, v15, s[0:1]
	v_cndmask_b32_e32 v7, v9, v7, vcc
	v_cndmask_b32_e32 v5, v13, v11, vcc
	v_xor_b32_e32 v7, v7, v3
	v_xor_b32_e32 v5, v5, v3
	v_sub_co_u32_e32 v12, vcc, v7, v3
	v_subb_co_u32_e32 v13, vcc, v5, v3, vcc
.LBB52_33:                              ;   in Loop: Header=BB52_23 Depth=2
	s_andn2_saveexec_b64 s[0:1], s[36:37]
	s_cbranch_execz .LBB52_35
; %bb.34:                               ;   in Loop: Header=BB52_23 Depth=2
	v_cvt_f32_u32_e32 v3, s52
	s_sub_i32 s16, 0, s52
	v_mov_b32_e32 v13, v2
	v_rcp_iflag_f32_e32 v3, v3
	v_mul_f32_e32 v3, 0x4f7ffffe, v3
	v_cvt_u32_f32_e32 v3, v3
	v_mul_lo_u32 v5, s16, v3
	v_mul_hi_u32 v5, v3, v5
	v_add_u32_e32 v3, v3, v5
	v_mul_hi_u32 v3, v10, v3
	v_mul_lo_u32 v5, v3, s52
	v_add_u32_e32 v7, 1, v3
	v_sub_u32_e32 v5, v10, v5
	v_subrev_u32_e32 v9, s52, v5
	v_cmp_le_u32_e32 vcc, s52, v5
	v_cndmask_b32_e32 v5, v5, v9, vcc
	v_cndmask_b32_e32 v3, v3, v7, vcc
	v_add_u32_e32 v7, 1, v3
	v_cmp_le_u32_e32 vcc, s52, v5
	v_cndmask_b32_e32 v12, v3, v7, vcc
.LBB52_35:                              ;   in Loop: Header=BB52_23 Depth=2
	s_or_b64 exec, exec, s[0:1]
	s_add_u32 s0, s4, s34
	s_addc_u32 s1, s5, s35
	s_add_i32 s16, s30, 4
	s_lshl_b64 s[34:35], s[16:17], 2
	s_add_u32 s36, s42, s34
	s_addc_u32 s37, s43, s35
	s_load_dword s54, s[36:37], 0x8
	s_load_dword s53, s[0:1], 0x6c
                                        ; implicit-def: $vgpr14_vgpr15
	s_waitcnt lgkmcnt(0)
	s_ashr_i32 s0, s54, 31
	v_or_b32_e32 v3, s0, v13
	v_cmp_ne_u64_e32 vcc, 0, v[2:3]
	s_and_saveexec_b64 s[36:37], vcc
	s_xor_b64 s[36:37], exec, s[36:37]
	s_cbranch_execz .LBB52_37
; %bb.36:                               ;   in Loop: Header=BB52_23 Depth=2
	s_ashr_i32 s38, s0, 31
	s_add_u32 s40, s54, s38
	s_mov_b32 s39, s38
	s_addc_u32 s41, s0, s38
	s_xor_b64 s[40:41], s[40:41], s[38:39]
	v_cvt_f32_u32_e32 v3, s40
	v_cvt_f32_u32_e32 v5, s41
	s_sub_u32 s16, 0, s40
	s_subb_u32 s31, 0, s41
	v_mac_f32_e32 v3, 0x4f800000, v5
	v_rcp_f32_e32 v3, v3
	v_mul_f32_e32 v3, 0x5f7ffffc, v3
	v_mul_f32_e32 v5, 0x2f800000, v3
	v_trunc_f32_e32 v5, v5
	v_mac_f32_e32 v3, 0xcf800000, v5
	v_cvt_u32_f32_e32 v5, v5
	v_cvt_u32_f32_e32 v3, v3
	v_readfirstlane_b32 s39, v5
	v_readfirstlane_b32 s0, v3
	s_mul_i32 s1, s16, s39
	s_mul_hi_u32 s56, s16, s0
	s_mul_i32 s55, s31, s0
	s_add_i32 s1, s56, s1
	s_add_i32 s1, s1, s55
	s_mul_i32 s57, s16, s0
	s_mul_i32 s56, s0, s1
	s_mul_hi_u32 s58, s0, s57
	s_mul_hi_u32 s55, s0, s1
	s_add_u32 s56, s58, s56
	s_addc_u32 s55, 0, s55
	s_mul_hi_u32 s59, s39, s57
	s_mul_i32 s57, s39, s57
	s_add_u32 s56, s56, s57
	s_mul_hi_u32 s58, s39, s1
	s_addc_u32 s55, s55, s59
	s_addc_u32 s56, s58, 0
	s_mul_i32 s1, s39, s1
	s_add_u32 s1, s55, s1
	s_addc_u32 s55, 0, s56
	s_add_u32 s56, s0, s1
	s_cselect_b64 s[0:1], -1, 0
	s_cmp_lg_u64 s[0:1], 0
	s_addc_u32 s39, s39, s55
	s_mul_i32 s0, s16, s39
	s_mul_hi_u32 s1, s16, s56
	s_add_i32 s0, s1, s0
	s_mul_i32 s31, s31, s56
	s_add_i32 s0, s0, s31
	s_mul_i32 s16, s16, s56
	s_mul_hi_u32 s31, s39, s16
	s_mul_i32 s55, s39, s16
	s_mul_i32 s58, s56, s0
	s_mul_hi_u32 s16, s56, s16
	s_mul_hi_u32 s57, s56, s0
	s_add_u32 s16, s16, s58
	s_addc_u32 s57, 0, s57
	s_add_u32 s16, s16, s55
	s_mul_hi_u32 s1, s39, s0
	s_addc_u32 s16, s57, s31
	s_addc_u32 s1, s1, 0
	s_mul_i32 s0, s39, s0
	s_add_u32 s0, s16, s0
	s_addc_u32 s16, 0, s1
	s_add_u32 s31, s56, s0
	s_cselect_b64 s[0:1], -1, 0
	v_ashrrev_i32_e32 v3, 31, v13
	s_cmp_lg_u64 s[0:1], 0
	v_add_co_u32_e32 v5, vcc, v12, v3
	s_addc_u32 s16, s39, s16
	v_xor_b32_e32 v5, v5, v3
	v_addc_co_u32_e32 v7, vcc, v13, v3, vcc
	v_mad_u64_u32 v[13:14], s[0:1], v5, s16, 0
	v_mul_hi_u32 v9, v5, s31
	v_xor_b32_e32 v7, v7, v3
	v_mad_u64_u32 v[15:16], s[0:1], v7, s16, 0
	v_add_co_u32_e32 v9, vcc, v9, v13
	v_addc_co_u32_e32 v11, vcc, 0, v14, vcc
	v_mad_u64_u32 v[13:14], s[0:1], v7, s31, 0
	v_xor_b32_e32 v3, s38, v3
	v_add_co_u32_e32 v9, vcc, v9, v13
	v_addc_co_u32_e32 v9, vcc, v11, v14, vcc
	v_addc_co_u32_e32 v11, vcc, 0, v16, vcc
	v_add_co_u32_e32 v9, vcc, v9, v15
	v_addc_co_u32_e32 v11, vcc, 0, v11, vcc
	v_mul_lo_u32 v15, s41, v9
	v_mul_lo_u32 v16, s40, v11
	v_mad_u64_u32 v[13:14], s[0:1], s40, v9, 0
	v_add3_u32 v14, v14, v16, v15
	v_sub_u32_e32 v15, v7, v14
	v_mov_b32_e32 v16, s41
	v_sub_co_u32_e32 v5, vcc, v5, v13
	v_subb_co_u32_e64 v13, s[0:1], v15, v16, vcc
	v_subrev_co_u32_e64 v15, s[0:1], s40, v5
	v_subbrev_co_u32_e64 v13, s[0:1], 0, v13, s[0:1]
	v_cmp_le_u32_e64 s[0:1], s41, v13
	v_cndmask_b32_e64 v16, 0, -1, s[0:1]
	v_cmp_le_u32_e64 s[0:1], s40, v15
	v_cndmask_b32_e64 v15, 0, -1, s[0:1]
	v_cmp_eq_u32_e64 s[0:1], s41, v13
	v_cndmask_b32_e64 v13, v16, v15, s[0:1]
	v_add_co_u32_e64 v15, s[0:1], 2, v9
	v_subb_co_u32_e32 v7, vcc, v7, v14, vcc
	v_addc_co_u32_e64 v16, s[0:1], 0, v11, s[0:1]
	v_cmp_le_u32_e32 vcc, s41, v7
	v_add_co_u32_e64 v17, s[0:1], 1, v9
	v_cndmask_b32_e64 v14, 0, -1, vcc
	v_cmp_le_u32_e32 vcc, s40, v5
	v_addc_co_u32_e64 v18, s[0:1], 0, v11, s[0:1]
	v_cndmask_b32_e64 v5, 0, -1, vcc
	v_cmp_eq_u32_e32 vcc, s41, v7
	v_cmp_ne_u32_e64 s[0:1], 0, v13
	v_cndmask_b32_e32 v5, v14, v5, vcc
	v_cmp_ne_u32_e32 vcc, 0, v5
	v_cndmask_b32_e64 v7, v17, v15, s[0:1]
	v_cndmask_b32_e64 v13, v18, v16, s[0:1]
	v_cndmask_b32_e32 v7, v9, v7, vcc
	v_cndmask_b32_e32 v5, v11, v13, vcc
	v_xor_b32_e32 v7, v7, v3
	v_xor_b32_e32 v5, v5, v3
	v_sub_co_u32_e32 v14, vcc, v7, v3
	v_subb_co_u32_e32 v15, vcc, v5, v3, vcc
.LBB52_37:                              ;   in Loop: Header=BB52_23 Depth=2
	s_andn2_saveexec_b64 s[0:1], s[36:37]
	s_cbranch_execz .LBB52_39
; %bb.38:                               ;   in Loop: Header=BB52_23 Depth=2
	v_cvt_f32_u32_e32 v3, s54
	s_sub_i32 s16, 0, s54
	v_mov_b32_e32 v15, v2
	v_rcp_iflag_f32_e32 v3, v3
	v_mul_f32_e32 v3, 0x4f7ffffe, v3
	v_cvt_u32_f32_e32 v3, v3
	v_mul_lo_u32 v5, s16, v3
	v_mul_hi_u32 v5, v3, v5
	v_add_u32_e32 v3, v3, v5
	v_mul_hi_u32 v3, v12, v3
	v_mul_lo_u32 v5, v3, s54
	v_add_u32_e32 v7, 1, v3
	v_sub_u32_e32 v5, v12, v5
	v_subrev_u32_e32 v9, s54, v5
	v_cmp_le_u32_e32 vcc, s54, v5
	v_cndmask_b32_e32 v5, v5, v9, vcc
	v_cndmask_b32_e32 v3, v3, v7, vcc
	v_add_u32_e32 v7, 1, v3
	v_cmp_le_u32_e32 vcc, s54, v5
	v_cndmask_b32_e32 v14, v3, v7, vcc
.LBB52_39:                              ;   in Loop: Header=BB52_23 Depth=2
	s_or_b64 exec, exec, s[0:1]
	s_add_u32 s0, s4, s34
	s_addc_u32 s1, s5, s35
	s_add_i32 s16, s30, 3
	s_lshl_b64 s[34:35], s[16:17], 2
	s_add_u32 s36, s42, s34
	s_addc_u32 s37, s43, s35
	s_load_dword s55, s[36:37], 0x8
	s_load_dword s56, s[0:1], 0x6c
                                        ; implicit-def: $vgpr16_vgpr17
	s_waitcnt lgkmcnt(0)
	s_ashr_i32 s0, s55, 31
	v_or_b32_e32 v3, s0, v15
	v_cmp_ne_u64_e32 vcc, 0, v[2:3]
	s_and_saveexec_b64 s[36:37], vcc
	s_xor_b64 s[36:37], exec, s[36:37]
	s_cbranch_execz .LBB52_41
; %bb.40:                               ;   in Loop: Header=BB52_23 Depth=2
	s_ashr_i32 s38, s0, 31
	s_add_u32 s40, s55, s38
	s_mov_b32 s39, s38
	s_addc_u32 s41, s0, s38
	s_xor_b64 s[40:41], s[40:41], s[38:39]
	v_cvt_f32_u32_e32 v3, s40
	v_cvt_f32_u32_e32 v5, s41
	s_sub_u32 s16, 0, s40
	s_subb_u32 s31, 0, s41
	v_mac_f32_e32 v3, 0x4f800000, v5
	v_rcp_f32_e32 v3, v3
	v_mul_f32_e32 v3, 0x5f7ffffc, v3
	v_mul_f32_e32 v5, 0x2f800000, v3
	v_trunc_f32_e32 v5, v5
	v_mac_f32_e32 v3, 0xcf800000, v5
	v_cvt_u32_f32_e32 v5, v5
	v_cvt_u32_f32_e32 v3, v3
	v_readfirstlane_b32 s39, v5
	v_readfirstlane_b32 s0, v3
	s_mul_i32 s1, s16, s39
	s_mul_hi_u32 s58, s16, s0
	s_mul_i32 s57, s31, s0
	s_add_i32 s1, s58, s1
	s_add_i32 s1, s1, s57
	s_mul_i32 s59, s16, s0
	s_mul_i32 s58, s0, s1
	s_mul_hi_u32 s60, s0, s59
	s_mul_hi_u32 s57, s0, s1
	s_add_u32 s58, s60, s58
	s_addc_u32 s57, 0, s57
	s_mul_hi_u32 s61, s39, s59
	s_mul_i32 s59, s39, s59
	s_add_u32 s58, s58, s59
	s_mul_hi_u32 s60, s39, s1
	s_addc_u32 s57, s57, s61
	s_addc_u32 s58, s60, 0
	s_mul_i32 s1, s39, s1
	s_add_u32 s1, s57, s1
	s_addc_u32 s57, 0, s58
	s_add_u32 s58, s0, s1
	s_cselect_b64 s[0:1], -1, 0
	s_cmp_lg_u64 s[0:1], 0
	s_addc_u32 s39, s39, s57
	s_mul_i32 s0, s16, s39
	s_mul_hi_u32 s1, s16, s58
	s_add_i32 s0, s1, s0
	s_mul_i32 s31, s31, s58
	s_add_i32 s0, s0, s31
	s_mul_i32 s16, s16, s58
	s_mul_hi_u32 s31, s39, s16
	s_mul_i32 s57, s39, s16
	s_mul_i32 s60, s58, s0
	s_mul_hi_u32 s16, s58, s16
	s_mul_hi_u32 s59, s58, s0
	s_add_u32 s16, s16, s60
	s_addc_u32 s59, 0, s59
	s_add_u32 s16, s16, s57
	s_mul_hi_u32 s1, s39, s0
	s_addc_u32 s16, s59, s31
	s_addc_u32 s1, s1, 0
	s_mul_i32 s0, s39, s0
	s_add_u32 s0, s16, s0
	s_addc_u32 s16, 0, s1
	s_add_u32 s31, s58, s0
	s_cselect_b64 s[0:1], -1, 0
	v_ashrrev_i32_e32 v3, 31, v15
	s_cmp_lg_u64 s[0:1], 0
	v_add_co_u32_e32 v5, vcc, v14, v3
	s_addc_u32 s16, s39, s16
	v_xor_b32_e32 v5, v5, v3
	v_addc_co_u32_e32 v7, vcc, v15, v3, vcc
	v_mad_u64_u32 v[15:16], s[0:1], v5, s16, 0
	v_mul_hi_u32 v9, v5, s31
	v_xor_b32_e32 v7, v7, v3
	v_mad_u64_u32 v[17:18], s[0:1], v7, s16, 0
	v_add_co_u32_e32 v9, vcc, v9, v15
	v_addc_co_u32_e32 v11, vcc, 0, v16, vcc
	v_mad_u64_u32 v[15:16], s[0:1], v7, s31, 0
	v_xor_b32_e32 v3, s38, v3
	v_add_co_u32_e32 v9, vcc, v9, v15
	v_addc_co_u32_e32 v9, vcc, v11, v16, vcc
	v_addc_co_u32_e32 v11, vcc, 0, v18, vcc
	v_add_co_u32_e32 v9, vcc, v9, v17
	v_addc_co_u32_e32 v11, vcc, 0, v11, vcc
	v_mul_lo_u32 v13, s41, v9
	v_mul_lo_u32 v17, s40, v11
	v_mad_u64_u32 v[15:16], s[0:1], s40, v9, 0
	v_add3_u32 v13, v16, v17, v13
	v_sub_u32_e32 v16, v7, v13
	v_mov_b32_e32 v17, s41
	v_sub_co_u32_e32 v5, vcc, v5, v15
	v_subb_co_u32_e64 v15, s[0:1], v16, v17, vcc
	v_subrev_co_u32_e64 v16, s[0:1], s40, v5
	v_subbrev_co_u32_e64 v15, s[0:1], 0, v15, s[0:1]
	v_cmp_le_u32_e64 s[0:1], s41, v15
	v_cndmask_b32_e64 v17, 0, -1, s[0:1]
	v_cmp_le_u32_e64 s[0:1], s40, v16
	v_cndmask_b32_e64 v16, 0, -1, s[0:1]
	v_cmp_eq_u32_e64 s[0:1], s41, v15
	v_cndmask_b32_e64 v15, v17, v16, s[0:1]
	v_add_co_u32_e64 v16, s[0:1], 2, v9
	v_subb_co_u32_e32 v7, vcc, v7, v13, vcc
	v_addc_co_u32_e64 v17, s[0:1], 0, v11, s[0:1]
	v_cmp_le_u32_e32 vcc, s41, v7
	v_add_co_u32_e64 v18, s[0:1], 1, v9
	v_cndmask_b32_e64 v13, 0, -1, vcc
	v_cmp_le_u32_e32 vcc, s40, v5
	v_addc_co_u32_e64 v19, s[0:1], 0, v11, s[0:1]
	v_cndmask_b32_e64 v5, 0, -1, vcc
	v_cmp_eq_u32_e32 vcc, s41, v7
	v_cmp_ne_u32_e64 s[0:1], 0, v15
	v_cndmask_b32_e32 v5, v13, v5, vcc
	v_cmp_ne_u32_e32 vcc, 0, v5
	v_cndmask_b32_e64 v7, v18, v16, s[0:1]
	v_cndmask_b32_e64 v15, v19, v17, s[0:1]
	v_cndmask_b32_e32 v7, v9, v7, vcc
	v_cndmask_b32_e32 v5, v11, v15, vcc
	v_xor_b32_e32 v7, v7, v3
	v_xor_b32_e32 v5, v5, v3
	v_sub_co_u32_e32 v16, vcc, v7, v3
	v_subb_co_u32_e32 v17, vcc, v5, v3, vcc
.LBB52_41:                              ;   in Loop: Header=BB52_23 Depth=2
	s_andn2_saveexec_b64 s[0:1], s[36:37]
	s_cbranch_execz .LBB52_43
; %bb.42:                               ;   in Loop: Header=BB52_23 Depth=2
	v_cvt_f32_u32_e32 v3, s55
	s_sub_i32 s16, 0, s55
	v_mov_b32_e32 v17, v2
	v_rcp_iflag_f32_e32 v3, v3
	v_mul_f32_e32 v3, 0x4f7ffffe, v3
	v_cvt_u32_f32_e32 v3, v3
	v_mul_lo_u32 v5, s16, v3
	v_mul_hi_u32 v5, v3, v5
	v_add_u32_e32 v3, v3, v5
	v_mul_hi_u32 v3, v14, v3
	v_mul_lo_u32 v5, v3, s55
	v_add_u32_e32 v7, 1, v3
	v_sub_u32_e32 v5, v14, v5
	v_subrev_u32_e32 v9, s55, v5
	v_cmp_le_u32_e32 vcc, s55, v5
	v_cndmask_b32_e32 v5, v5, v9, vcc
	v_cndmask_b32_e32 v3, v3, v7, vcc
	v_add_u32_e32 v7, 1, v3
	v_cmp_le_u32_e32 vcc, s55, v5
	v_cndmask_b32_e32 v16, v3, v7, vcc
.LBB52_43:                              ;   in Loop: Header=BB52_23 Depth=2
	s_or_b64 exec, exec, s[0:1]
	s_add_u32 s0, s4, s34
	s_addc_u32 s1, s5, s35
	s_add_i32 s16, s30, 2
	s_lshl_b64 s[34:35], s[16:17], 2
	s_add_u32 s36, s42, s34
	s_addc_u32 s37, s43, s35
	s_load_dword s58, s[36:37], 0x8
	s_load_dword s57, s[0:1], 0x6c
                                        ; implicit-def: $vgpr18_vgpr19
	s_waitcnt lgkmcnt(0)
	s_ashr_i32 s0, s58, 31
	v_or_b32_e32 v3, s0, v17
	v_cmp_ne_u64_e32 vcc, 0, v[2:3]
	s_and_saveexec_b64 s[36:37], vcc
	s_xor_b64 s[36:37], exec, s[36:37]
	s_cbranch_execz .LBB52_45
; %bb.44:                               ;   in Loop: Header=BB52_23 Depth=2
	s_ashr_i32 s38, s0, 31
	s_add_u32 s40, s58, s38
	s_mov_b32 s39, s38
	s_addc_u32 s41, s0, s38
	s_xor_b64 s[40:41], s[40:41], s[38:39]
	v_cvt_f32_u32_e32 v3, s40
	v_cvt_f32_u32_e32 v5, s41
	s_sub_u32 s16, 0, s40
	s_subb_u32 s31, 0, s41
	v_mac_f32_e32 v3, 0x4f800000, v5
	v_rcp_f32_e32 v3, v3
	v_mul_f32_e32 v3, 0x5f7ffffc, v3
	v_mul_f32_e32 v5, 0x2f800000, v3
	v_trunc_f32_e32 v5, v5
	v_mac_f32_e32 v3, 0xcf800000, v5
	v_cvt_u32_f32_e32 v5, v5
	v_cvt_u32_f32_e32 v3, v3
	v_readfirstlane_b32 s39, v5
	v_readfirstlane_b32 s0, v3
	s_mul_i32 s1, s16, s39
	s_mul_hi_u32 s60, s16, s0
	s_mul_i32 s59, s31, s0
	s_add_i32 s1, s60, s1
	s_add_i32 s1, s1, s59
	s_mul_i32 s61, s16, s0
	s_mul_i32 s60, s0, s1
	s_mul_hi_u32 s62, s0, s61
	s_mul_hi_u32 s59, s0, s1
	s_add_u32 s60, s62, s60
	s_addc_u32 s59, 0, s59
	s_mul_hi_u32 s63, s39, s61
	s_mul_i32 s61, s39, s61
	s_add_u32 s60, s60, s61
	s_mul_hi_u32 s62, s39, s1
	s_addc_u32 s59, s59, s63
	s_addc_u32 s60, s62, 0
	s_mul_i32 s1, s39, s1
	s_add_u32 s1, s59, s1
	s_addc_u32 s59, 0, s60
	s_add_u32 s60, s0, s1
	s_cselect_b64 s[0:1], -1, 0
	s_cmp_lg_u64 s[0:1], 0
	s_addc_u32 s39, s39, s59
	s_mul_i32 s0, s16, s39
	s_mul_hi_u32 s1, s16, s60
	s_add_i32 s0, s1, s0
	s_mul_i32 s31, s31, s60
	s_add_i32 s0, s0, s31
	s_mul_i32 s16, s16, s60
	s_mul_hi_u32 s31, s39, s16
	s_mul_i32 s59, s39, s16
	s_mul_i32 s62, s60, s0
	s_mul_hi_u32 s16, s60, s16
	s_mul_hi_u32 s61, s60, s0
	s_add_u32 s16, s16, s62
	s_addc_u32 s61, 0, s61
	s_add_u32 s16, s16, s59
	s_mul_hi_u32 s1, s39, s0
	s_addc_u32 s16, s61, s31
	s_addc_u32 s1, s1, 0
	s_mul_i32 s0, s39, s0
	s_add_u32 s0, s16, s0
	s_addc_u32 s16, 0, s1
	s_add_u32 s31, s60, s0
	s_cselect_b64 s[0:1], -1, 0
	v_ashrrev_i32_e32 v3, 31, v17
	s_cmp_lg_u64 s[0:1], 0
	v_add_co_u32_e32 v5, vcc, v16, v3
	s_addc_u32 s16, s39, s16
	v_xor_b32_e32 v5, v5, v3
	v_addc_co_u32_e32 v7, vcc, v17, v3, vcc
	v_mad_u64_u32 v[17:18], s[0:1], v5, s16, 0
	v_mul_hi_u32 v9, v5, s31
	v_xor_b32_e32 v7, v7, v3
	v_mad_u64_u32 v[19:20], s[0:1], v7, s16, 0
	v_add_co_u32_e32 v9, vcc, v9, v17
	v_addc_co_u32_e32 v11, vcc, 0, v18, vcc
	v_mad_u64_u32 v[17:18], s[0:1], v7, s31, 0
	v_xor_b32_e32 v3, s38, v3
	v_add_co_u32_e32 v9, vcc, v9, v17
	v_addc_co_u32_e32 v9, vcc, v11, v18, vcc
	v_addc_co_u32_e32 v11, vcc, 0, v20, vcc
	v_add_co_u32_e32 v9, vcc, v9, v19
	v_addc_co_u32_e32 v11, vcc, 0, v11, vcc
	v_mul_lo_u32 v13, s41, v9
	v_mul_lo_u32 v15, s40, v11
	v_mad_u64_u32 v[17:18], s[0:1], s40, v9, 0
	v_add3_u32 v13, v18, v15, v13
	v_sub_u32_e32 v15, v7, v13
	v_mov_b32_e32 v18, s41
	v_sub_co_u32_e32 v5, vcc, v5, v17
	v_subb_co_u32_e64 v15, s[0:1], v15, v18, vcc
	v_subrev_co_u32_e64 v17, s[0:1], s40, v5
	v_subbrev_co_u32_e64 v15, s[0:1], 0, v15, s[0:1]
	v_cmp_le_u32_e64 s[0:1], s41, v15
	v_cndmask_b32_e64 v18, 0, -1, s[0:1]
	v_cmp_le_u32_e64 s[0:1], s40, v17
	v_cndmask_b32_e64 v17, 0, -1, s[0:1]
	v_cmp_eq_u32_e64 s[0:1], s41, v15
	v_cndmask_b32_e64 v15, v18, v17, s[0:1]
	v_add_co_u32_e64 v17, s[0:1], 2, v9
	v_subb_co_u32_e32 v7, vcc, v7, v13, vcc
	v_addc_co_u32_e64 v18, s[0:1], 0, v11, s[0:1]
	v_cmp_le_u32_e32 vcc, s41, v7
	v_add_co_u32_e64 v19, s[0:1], 1, v9
	v_cndmask_b32_e64 v13, 0, -1, vcc
	v_cmp_le_u32_e32 vcc, s40, v5
	v_addc_co_u32_e64 v20, s[0:1], 0, v11, s[0:1]
	v_cndmask_b32_e64 v5, 0, -1, vcc
	v_cmp_eq_u32_e32 vcc, s41, v7
	v_cmp_ne_u32_e64 s[0:1], 0, v15
	v_cndmask_b32_e32 v5, v13, v5, vcc
	v_cmp_ne_u32_e32 vcc, 0, v5
	v_cndmask_b32_e64 v7, v19, v17, s[0:1]
	v_cndmask_b32_e64 v15, v20, v18, s[0:1]
	v_cndmask_b32_e32 v7, v9, v7, vcc
	v_cndmask_b32_e32 v5, v11, v15, vcc
	v_xor_b32_e32 v7, v7, v3
	v_xor_b32_e32 v5, v5, v3
	v_sub_co_u32_e32 v18, vcc, v7, v3
	v_subb_co_u32_e32 v19, vcc, v5, v3, vcc
.LBB52_45:                              ;   in Loop: Header=BB52_23 Depth=2
	s_andn2_saveexec_b64 s[0:1], s[36:37]
	s_cbranch_execz .LBB52_47
; %bb.46:                               ;   in Loop: Header=BB52_23 Depth=2
	v_cvt_f32_u32_e32 v3, s58
	s_sub_i32 s16, 0, s58
	v_mov_b32_e32 v19, v2
	v_rcp_iflag_f32_e32 v3, v3
	v_mul_f32_e32 v3, 0x4f7ffffe, v3
	v_cvt_u32_f32_e32 v3, v3
	v_mul_lo_u32 v5, s16, v3
	v_mul_hi_u32 v5, v3, v5
	v_add_u32_e32 v3, v3, v5
	v_mul_hi_u32 v3, v16, v3
	v_mul_lo_u32 v5, v3, s58
	v_add_u32_e32 v7, 1, v3
	v_sub_u32_e32 v5, v16, v5
	v_subrev_u32_e32 v9, s58, v5
	v_cmp_le_u32_e32 vcc, s58, v5
	v_cndmask_b32_e32 v5, v5, v9, vcc
	v_cndmask_b32_e32 v3, v3, v7, vcc
	v_add_u32_e32 v7, 1, v3
	v_cmp_le_u32_e32 vcc, s58, v5
	v_cndmask_b32_e32 v18, v3, v7, vcc
.LBB52_47:                              ;   in Loop: Header=BB52_23 Depth=2
	s_or_b64 exec, exec, s[0:1]
	s_add_u32 s0, s4, s34
	s_addc_u32 s1, s5, s35
	s_add_i32 s16, s30, 1
	s_lshl_b64 s[34:35], s[16:17], 2
	s_add_u32 s36, s42, s34
	s_addc_u32 s37, s43, s35
	s_load_dword s59, s[36:37], 0x8
	s_load_dword s16, s[0:1], 0x6c
                                        ; implicit-def: $vgpr20_vgpr21
	s_waitcnt lgkmcnt(0)
	s_ashr_i32 s0, s59, 31
	v_or_b32_e32 v3, s0, v19
	v_cmp_ne_u64_e32 vcc, 0, v[2:3]
	s_and_saveexec_b64 s[36:37], vcc
	s_xor_b64 s[36:37], exec, s[36:37]
	s_cbranch_execz .LBB52_49
; %bb.48:                               ;   in Loop: Header=BB52_23 Depth=2
	s_ashr_i32 s38, s0, 31
	s_add_u32 s40, s59, s38
	s_mov_b32 s39, s38
	s_addc_u32 s41, s0, s38
	s_xor_b64 s[40:41], s[40:41], s[38:39]
	v_cvt_f32_u32_e32 v3, s40
	v_cvt_f32_u32_e32 v5, s41
	s_sub_u32 s31, 0, s40
	s_subb_u32 s39, 0, s41
	v_mov_b32_e32 v17, s41
	v_mac_f32_e32 v3, 0x4f800000, v5
	v_rcp_f32_e32 v3, v3
	v_mul_f32_e32 v3, 0x5f7ffffc, v3
	v_mul_f32_e32 v5, 0x2f800000, v3
	v_trunc_f32_e32 v5, v5
	v_mac_f32_e32 v3, 0xcf800000, v5
	v_cvt_u32_f32_e32 v5, v5
	v_cvt_u32_f32_e32 v3, v3
	v_readfirstlane_b32 s60, v5
	v_readfirstlane_b32 s0, v3
	s_mul_i32 s1, s31, s60
	s_mul_hi_u32 s62, s31, s0
	s_mul_i32 s61, s39, s0
	s_add_i32 s1, s62, s1
	s_add_i32 s1, s1, s61
	s_mul_i32 s63, s31, s0
	s_mul_i32 s62, s0, s1
	s_mul_hi_u32 s64, s0, s63
	s_mul_hi_u32 s61, s0, s1
	s_add_u32 s62, s64, s62
	s_addc_u32 s61, 0, s61
	s_mul_hi_u32 s65, s60, s63
	s_mul_i32 s63, s60, s63
	s_add_u32 s62, s62, s63
	s_mul_hi_u32 s64, s60, s1
	s_addc_u32 s61, s61, s65
	s_addc_u32 s62, s64, 0
	s_mul_i32 s1, s60, s1
	s_add_u32 s1, s61, s1
	s_addc_u32 s61, 0, s62
	s_add_u32 s62, s0, s1
	s_cselect_b64 s[0:1], -1, 0
	s_cmp_lg_u64 s[0:1], 0
	s_addc_u32 s60, s60, s61
	s_mul_i32 s0, s31, s60
	s_mul_hi_u32 s1, s31, s62
	s_add_i32 s0, s1, s0
	s_mul_i32 s39, s39, s62
	s_add_i32 s0, s0, s39
	s_mul_i32 s31, s31, s62
	s_mul_hi_u32 s39, s60, s31
	s_mul_i32 s61, s60, s31
	s_mul_i32 s64, s62, s0
	s_mul_hi_u32 s31, s62, s31
	s_mul_hi_u32 s63, s62, s0
	s_add_u32 s31, s31, s64
	s_addc_u32 s63, 0, s63
	s_add_u32 s31, s31, s61
	s_mul_hi_u32 s1, s60, s0
	s_addc_u32 s31, s63, s39
	s_addc_u32 s1, s1, 0
	s_mul_i32 s0, s60, s0
	s_add_u32 s0, s31, s0
	s_addc_u32 s31, 0, s1
	s_add_u32 s39, s62, s0
	s_cselect_b64 s[0:1], -1, 0
	v_ashrrev_i32_e32 v3, 31, v19
	s_cmp_lg_u64 s[0:1], 0
	v_add_co_u32_e32 v5, vcc, v18, v3
	s_addc_u32 s31, s60, s31
	v_xor_b32_e32 v5, v5, v3
	v_addc_co_u32_e32 v7, vcc, v19, v3, vcc
	v_mad_u64_u32 v[19:20], s[0:1], v5, s31, 0
	v_mul_hi_u32 v9, v5, s39
	v_xor_b32_e32 v7, v7, v3
	v_mad_u64_u32 v[21:22], s[0:1], v7, s31, 0
	v_add_co_u32_e32 v9, vcc, v9, v19
	v_addc_co_u32_e32 v11, vcc, 0, v20, vcc
	v_mad_u64_u32 v[19:20], s[0:1], v7, s39, 0
	v_xor_b32_e32 v3, s38, v3
	v_add_co_u32_e32 v9, vcc, v9, v19
	v_addc_co_u32_e32 v9, vcc, v11, v20, vcc
	v_addc_co_u32_e32 v11, vcc, 0, v22, vcc
	v_add_co_u32_e32 v9, vcc, v9, v21
	v_addc_co_u32_e32 v11, vcc, 0, v11, vcc
	v_mul_lo_u32 v13, s41, v9
	v_mul_lo_u32 v15, s40, v11
	v_mad_u64_u32 v[19:20], s[0:1], s40, v9, 0
	v_add3_u32 v13, v20, v15, v13
	v_sub_u32_e32 v15, v7, v13
	v_sub_co_u32_e32 v5, vcc, v5, v19
	v_subb_co_u32_e64 v15, s[0:1], v15, v17, vcc
	v_subrev_co_u32_e64 v17, s[0:1], s40, v5
	v_subbrev_co_u32_e64 v15, s[0:1], 0, v15, s[0:1]
	v_cmp_le_u32_e64 s[0:1], s41, v15
	v_cndmask_b32_e64 v19, 0, -1, s[0:1]
	v_cmp_le_u32_e64 s[0:1], s40, v17
	v_cndmask_b32_e64 v17, 0, -1, s[0:1]
	v_cmp_eq_u32_e64 s[0:1], s41, v15
	v_cndmask_b32_e64 v15, v19, v17, s[0:1]
	v_add_co_u32_e64 v17, s[0:1], 2, v9
	v_subb_co_u32_e32 v7, vcc, v7, v13, vcc
	v_addc_co_u32_e64 v19, s[0:1], 0, v11, s[0:1]
	v_cmp_le_u32_e32 vcc, s41, v7
	v_add_co_u32_e64 v20, s[0:1], 1, v9
	v_cndmask_b32_e64 v13, 0, -1, vcc
	v_cmp_le_u32_e32 vcc, s40, v5
	v_addc_co_u32_e64 v21, s[0:1], 0, v11, s[0:1]
	v_cndmask_b32_e64 v5, 0, -1, vcc
	v_cmp_eq_u32_e32 vcc, s41, v7
	v_cmp_ne_u32_e64 s[0:1], 0, v15
	v_cndmask_b32_e32 v5, v13, v5, vcc
	v_cmp_ne_u32_e32 vcc, 0, v5
	v_cndmask_b32_e64 v7, v20, v17, s[0:1]
	v_cndmask_b32_e64 v15, v21, v19, s[0:1]
	v_cndmask_b32_e32 v7, v9, v7, vcc
	v_cndmask_b32_e32 v5, v11, v15, vcc
	v_xor_b32_e32 v7, v7, v3
	v_xor_b32_e32 v5, v5, v3
	v_sub_co_u32_e32 v20, vcc, v7, v3
	v_subb_co_u32_e32 v21, vcc, v5, v3, vcc
.LBB52_49:                              ;   in Loop: Header=BB52_23 Depth=2
	s_andn2_saveexec_b64 s[0:1], s[36:37]
	s_cbranch_execz .LBB52_51
; %bb.50:                               ;   in Loop: Header=BB52_23 Depth=2
	v_cvt_f32_u32_e32 v3, s59
	s_sub_i32 s31, 0, s59
	v_mov_b32_e32 v21, v2
	v_rcp_iflag_f32_e32 v3, v3
	v_mul_f32_e32 v3, 0x4f7ffffe, v3
	v_cvt_u32_f32_e32 v3, v3
	v_mul_lo_u32 v5, s31, v3
	v_mul_hi_u32 v5, v3, v5
	v_add_u32_e32 v3, v3, v5
	v_mul_hi_u32 v3, v18, v3
	v_mul_lo_u32 v5, v3, s59
	v_add_u32_e32 v7, 1, v3
	v_sub_u32_e32 v5, v18, v5
	v_subrev_u32_e32 v9, s59, v5
	v_cmp_le_u32_e32 vcc, s59, v5
	v_cndmask_b32_e32 v5, v5, v9, vcc
	v_cndmask_b32_e32 v3, v3, v7, vcc
	v_add_u32_e32 v7, 1, v3
	v_cmp_le_u32_e32 vcc, s59, v5
	v_cndmask_b32_e32 v20, v3, v7, vcc
.LBB52_51:                              ;   in Loop: Header=BB52_23 Depth=2
	s_or_b64 exec, exec, s[0:1]
	s_add_u32 s0, s4, s34
	s_mov_b32 s31, s17
	s_addc_u32 s1, s5, s35
	s_lshl_b64 s[34:35], s[30:31], 2
	s_add_u32 s36, s42, s34
	s_addc_u32 s37, s43, s35
	s_load_dword s60, s[36:37], 0x8
	s_load_dword s31, s[0:1], 0x6c
                                        ; implicit-def: $vgpr22_vgpr23
	s_waitcnt lgkmcnt(0)
	s_ashr_i32 s0, s60, 31
	v_or_b32_e32 v3, s0, v21
	v_cmp_ne_u64_e32 vcc, 0, v[2:3]
	s_and_saveexec_b64 s[36:37], vcc
	s_xor_b64 s[36:37], exec, s[36:37]
	s_cbranch_execz .LBB52_53
; %bb.52:                               ;   in Loop: Header=BB52_23 Depth=2
	s_ashr_i32 s38, s0, 31
	s_add_u32 s40, s60, s38
	s_mov_b32 s39, s38
	s_addc_u32 s41, s0, s38
	s_xor_b64 s[40:41], s[40:41], s[38:39]
	v_cvt_f32_u32_e32 v3, s40
	v_cvt_f32_u32_e32 v5, s41
	s_sub_u32 s39, 0, s40
	s_subb_u32 s61, 0, s41
	v_mov_b32_e32 v17, s41
	v_mac_f32_e32 v3, 0x4f800000, v5
	v_rcp_f32_e32 v3, v3
	v_mul_f32_e32 v3, 0x5f7ffffc, v3
	v_mul_f32_e32 v5, 0x2f800000, v3
	v_trunc_f32_e32 v5, v5
	v_mac_f32_e32 v3, 0xcf800000, v5
	v_cvt_u32_f32_e32 v5, v5
	v_cvt_u32_f32_e32 v3, v3
	v_readfirstlane_b32 s62, v5
	v_readfirstlane_b32 s0, v3
	s_mul_i32 s1, s39, s62
	s_mul_hi_u32 s64, s39, s0
	s_mul_i32 s63, s61, s0
	s_add_i32 s1, s64, s1
	s_add_i32 s1, s1, s63
	s_mul_i32 s65, s39, s0
	s_mul_i32 s64, s0, s1
	s_mul_hi_u32 s66, s0, s65
	s_mul_hi_u32 s63, s0, s1
	s_add_u32 s64, s66, s64
	s_addc_u32 s63, 0, s63
	s_mul_hi_u32 s67, s62, s65
	s_mul_i32 s65, s62, s65
	s_add_u32 s64, s64, s65
	s_mul_hi_u32 s66, s62, s1
	s_addc_u32 s63, s63, s67
	s_addc_u32 s64, s66, 0
	s_mul_i32 s1, s62, s1
	s_add_u32 s1, s63, s1
	s_addc_u32 s63, 0, s64
	s_add_u32 s64, s0, s1
	s_cselect_b64 s[0:1], -1, 0
	s_cmp_lg_u64 s[0:1], 0
	s_addc_u32 s62, s62, s63
	s_mul_i32 s0, s39, s62
	s_mul_hi_u32 s1, s39, s64
	s_add_i32 s0, s1, s0
	s_mul_i32 s61, s61, s64
	s_add_i32 s0, s0, s61
	s_mul_i32 s39, s39, s64
	s_mul_hi_u32 s61, s62, s39
	s_mul_i32 s63, s62, s39
	s_mul_i32 s66, s64, s0
	s_mul_hi_u32 s39, s64, s39
	s_mul_hi_u32 s65, s64, s0
	s_add_u32 s39, s39, s66
	s_addc_u32 s65, 0, s65
	s_add_u32 s39, s39, s63
	s_mul_hi_u32 s1, s62, s0
	s_addc_u32 s39, s65, s61
	s_addc_u32 s1, s1, 0
	s_mul_i32 s0, s62, s0
	s_add_u32 s0, s39, s0
	s_addc_u32 s39, 0, s1
	s_add_u32 s61, s64, s0
	s_cselect_b64 s[0:1], -1, 0
	v_ashrrev_i32_e32 v3, 31, v21
	s_cmp_lg_u64 s[0:1], 0
	v_add_co_u32_e32 v5, vcc, v20, v3
	s_addc_u32 s39, s62, s39
	v_xor_b32_e32 v5, v5, v3
	v_addc_co_u32_e32 v7, vcc, v21, v3, vcc
	v_mad_u64_u32 v[21:22], s[0:1], v5, s39, 0
	v_mul_hi_u32 v9, v5, s61
	v_xor_b32_e32 v7, v7, v3
	v_mad_u64_u32 v[26:27], s[0:1], v7, s39, 0
	v_add_co_u32_e32 v9, vcc, v9, v21
	v_addc_co_u32_e32 v11, vcc, 0, v22, vcc
	v_mad_u64_u32 v[21:22], s[0:1], v7, s61, 0
	v_xor_b32_e32 v3, s38, v3
	v_add_co_u32_e32 v9, vcc, v9, v21
	v_addc_co_u32_e32 v9, vcc, v11, v22, vcc
	v_addc_co_u32_e32 v11, vcc, 0, v27, vcc
	v_add_co_u32_e32 v9, vcc, v9, v26
	v_addc_co_u32_e32 v11, vcc, 0, v11, vcc
	v_mul_lo_u32 v13, s41, v9
	v_mul_lo_u32 v15, s40, v11
	v_mad_u64_u32 v[21:22], s[0:1], s40, v9, 0
	v_add3_u32 v13, v22, v15, v13
	v_sub_u32_e32 v15, v7, v13
	v_sub_co_u32_e32 v5, vcc, v5, v21
	v_subb_co_u32_e64 v15, s[0:1], v15, v17, vcc
	v_subrev_co_u32_e64 v17, s[0:1], s40, v5
	v_subbrev_co_u32_e64 v15, s[0:1], 0, v15, s[0:1]
	v_cmp_le_u32_e64 s[0:1], s41, v15
	v_cndmask_b32_e64 v19, 0, -1, s[0:1]
	v_cmp_le_u32_e64 s[0:1], s40, v17
	v_cndmask_b32_e64 v17, 0, -1, s[0:1]
	v_cmp_eq_u32_e64 s[0:1], s41, v15
	v_cndmask_b32_e64 v15, v19, v17, s[0:1]
	v_add_co_u32_e64 v17, s[0:1], 2, v9
	v_subb_co_u32_e32 v7, vcc, v7, v13, vcc
	v_addc_co_u32_e64 v19, s[0:1], 0, v11, s[0:1]
	v_cmp_le_u32_e32 vcc, s41, v7
	v_add_co_u32_e64 v21, s[0:1], 1, v9
	v_cndmask_b32_e64 v13, 0, -1, vcc
	v_cmp_le_u32_e32 vcc, s40, v5
	v_addc_co_u32_e64 v22, s[0:1], 0, v11, s[0:1]
	v_cndmask_b32_e64 v5, 0, -1, vcc
	v_cmp_eq_u32_e32 vcc, s41, v7
	v_cmp_ne_u32_e64 s[0:1], 0, v15
	v_cndmask_b32_e32 v5, v13, v5, vcc
	v_cmp_ne_u32_e32 vcc, 0, v5
	v_cndmask_b32_e64 v7, v21, v17, s[0:1]
	v_cndmask_b32_e64 v15, v22, v19, s[0:1]
	v_cndmask_b32_e32 v7, v9, v7, vcc
	v_cndmask_b32_e32 v5, v11, v15, vcc
	v_xor_b32_e32 v7, v7, v3
	v_xor_b32_e32 v5, v5, v3
	v_sub_co_u32_e32 v22, vcc, v7, v3
	v_subb_co_u32_e32 v23, vcc, v5, v3, vcc
.LBB52_53:                              ;   in Loop: Header=BB52_23 Depth=2
	s_andn2_saveexec_b64 s[0:1], s[36:37]
	s_cbranch_execz .LBB52_55
; %bb.54:                               ;   in Loop: Header=BB52_23 Depth=2
	v_cvt_f32_u32_e32 v3, s60
	s_sub_i32 s36, 0, s60
	v_mov_b32_e32 v23, v2
	v_rcp_iflag_f32_e32 v3, v3
	v_mul_f32_e32 v3, 0x4f7ffffe, v3
	v_cvt_u32_f32_e32 v3, v3
	v_mul_lo_u32 v5, s36, v3
	v_mul_hi_u32 v5, v3, v5
	v_add_u32_e32 v3, v3, v5
	v_mul_hi_u32 v3, v20, v3
	v_mul_lo_u32 v5, v3, s60
	v_add_u32_e32 v7, 1, v3
	v_sub_u32_e32 v5, v20, v5
	v_subrev_u32_e32 v9, s60, v5
	v_cmp_le_u32_e32 vcc, s60, v5
	v_cndmask_b32_e32 v5, v5, v9, vcc
	v_cndmask_b32_e32 v3, v3, v7, vcc
	v_add_u32_e32 v7, 1, v3
	v_cmp_le_u32_e32 vcc, s60, v5
	v_cndmask_b32_e32 v22, v3, v7, vcc
.LBB52_55:                              ;   in Loop: Header=BB52_23 Depth=2
	s_or_b64 exec, exec, s[0:1]
	v_mul_lo_u32 v3, v8, s25
	v_mul_lo_u32 v5, v10, s50
	;; [unrolled: 1-line block ×3, first 2 shown]
	s_add_u32 s0, s4, s34
	v_sub_u32_e32 v3, v6, v3
	v_mul_lo_u32 v6, v14, s54
	v_sub_u32_e32 v5, v8, v5
	v_mul_lo_u32 v3, s28, v3
	v_mul_lo_u32 v5, s51, v5
	v_sub_u32_e32 v7, v10, v7
	v_sub_u32_e32 v6, v12, v6
	v_mul_lo_u32 v7, s53, v7
	v_mul_lo_u32 v6, s56, v6
	;; [unrolled: 1-line block ×3, first 2 shown]
	v_add3_u32 v3, v3, v4, v5
	v_mul_lo_u32 v4, v18, s58
	s_addc_u32 s1, s5, s35
	v_add3_u32 v3, v7, v3, v6
	v_mul_lo_u32 v6, v20, s59
	v_mul_lo_u32 v7, v22, s60
	s_load_dword s0, s[0:1], 0x6c
	v_sub_u32_e32 v5, v14, v8
	v_sub_u32_e32 v4, v16, v4
	v_mul_lo_u32 v5, s57, v5
	v_mul_lo_u32 v4, s16, v4
	v_sub_u32_e32 v6, v18, v6
	v_sub_u32_e32 v7, v20, v7
	v_mul_lo_u32 v6, s31, v6
	s_waitcnt lgkmcnt(0)
	v_mul_lo_u32 v7, s0, v7
	v_add3_u32 v3, v5, v3, v4
	s_add_i32 s30, s30, -8
	s_cmp_eq_u32 s30, -8
	v_add3_u32 v4, v6, v3, v7
	s_cbranch_scc1 .LBB52_57
; %bb.56:                               ;   in Loop: Header=BB52_23 Depth=2
	v_mov_b32_e32 v6, v22
	v_mov_b32_e32 v7, v23
	s_branch .LBB52_23
.LBB52_57:                              ;   in Loop: Header=BB52_3 Depth=1
	s_load_dword s16, s[2:3], 0x4
	s_waitcnt lgkmcnt(0)
	v_cmp_gt_i32_e32 vcc, s16, v25
	s_and_b64 exec, exec, vcc
	s_cbranch_execz .LBB52_2
; %bb.58:                               ;   in Loop: Header=BB52_3 Depth=1
	v_ashrrev_i32_e32 v3, 31, v4
	v_mov_b32_e32 v6, s13
	v_add_co_u32_e32 v5, vcc, s12, v4
	v_addc_co_u32_e32 v6, vcc, v6, v3, vcc
	v_add_u32_e32 v3, 1, v25
	v_cmp_gt_i32_e32 vcc, s16, v3
	global_store_byte v[5:6], v2, off
	s_and_b64 exec, exec, vcc
	s_cbranch_execz .LBB52_2
; %bb.59:                               ;   in Loop: Header=BB52_3 Depth=1
	v_sub_u32_e32 v5, v3, v24
	v_ashrrev_i32_e32 v6, 31, v5
	v_cmp_gt_i64_e32 vcc, s[8:9], v[5:6]
	s_and_saveexec_b64 s[0:1], vcc
	s_cbranch_execz .LBB52_61
; %bb.60:                               ;   in Loop: Header=BB52_3 Depth=1
	v_add_u32_e32 v3, s29, v4
	v_ashrrev_i32_e32 v6, 31, v3
	v_mov_b32_e32 v7, s13
	v_add_co_u32_e32 v5, vcc, s12, v3
	v_addc_co_u32_e32 v6, vcc, v7, v6, vcc
	global_store_byte v[5:6], v2, off
.LBB52_61:                              ;   in Loop: Header=BB52_3 Depth=1
	s_or_b64 exec, exec, s[0:1]
	v_add_u32_e32 v3, 2, v25
	v_cmp_gt_i32_e32 vcc, s16, v3
	s_and_b64 exec, exec, vcc
	s_cbranch_execz .LBB52_2
; %bb.62:                               ;   in Loop: Header=BB52_3 Depth=1
	v_sub_u32_e32 v5, v3, v24
	v_ashrrev_i32_e32 v6, 31, v5
	v_cmp_gt_i64_e32 vcc, s[8:9], v[5:6]
	s_and_saveexec_b64 s[0:1], vcc
	s_cbranch_execz .LBB52_64
; %bb.63:                               ;   in Loop: Header=BB52_3 Depth=1
	v_lshl_add_u32 v3, s29, 1, v4
	v_ashrrev_i32_e32 v6, 31, v3
	v_mov_b32_e32 v7, s13
	v_add_co_u32_e32 v5, vcc, s12, v3
	v_addc_co_u32_e32 v6, vcc, v7, v6, vcc
	global_store_byte v[5:6], v2, off
.LBB52_64:                              ;   in Loop: Header=BB52_3 Depth=1
	s_or_b64 exec, exec, s[0:1]
	v_add_u32_e32 v3, 3, v25
	v_cmp_gt_i32_e32 vcc, s16, v3
	s_and_b64 exec, exec, vcc
	s_cbranch_execz .LBB52_2
; %bb.65:                               ;   in Loop: Header=BB52_3 Depth=1
	v_sub_u32_e32 v5, v3, v24
	v_ashrrev_i32_e32 v6, 31, v5
	v_cmp_gt_i64_e32 vcc, s[8:9], v[5:6]
	s_and_b64 exec, exec, vcc
	s_cbranch_execz .LBB52_2
; %bb.66:                               ;   in Loop: Header=BB52_3 Depth=1
	v_mad_u64_u32 v[3:4], s[0:1], s29, 3, v[4:5]
	v_mov_b32_e32 v4, s13
	v_ashrrev_i32_e32 v5, 31, v3
	v_add_co_u32_e32 v3, vcc, s12, v3
	v_addc_co_u32_e32 v4, vcc, v4, v5, vcc
	global_store_byte v[3:4], v2, off
	s_branch .LBB52_2
.LBB52_67:
	s_endpgm
	.section	.rodata,"a",@progbits
	.p2align	6, 0x0
	.amdhsa_kernel _ZN2at6native16triu_tril_kernelIhiLb1ELi4ELb1EEEvNS_4cuda6detail10TensorInfoIT_T0_EENS4_IKS5_S6_EEllS6_
		.amdhsa_group_segment_fixed_size 0
		.amdhsa_private_segment_fixed_size 0
		.amdhsa_kernarg_size 712
		.amdhsa_user_sgpr_count 6
		.amdhsa_user_sgpr_private_segment_buffer 1
		.amdhsa_user_sgpr_dispatch_ptr 0
		.amdhsa_user_sgpr_queue_ptr 0
		.amdhsa_user_sgpr_kernarg_segment_ptr 1
		.amdhsa_user_sgpr_dispatch_id 0
		.amdhsa_user_sgpr_flat_scratch_init 0
		.amdhsa_user_sgpr_private_segment_size 0
		.amdhsa_uses_dynamic_stack 0
		.amdhsa_system_sgpr_private_segment_wavefront_offset 0
		.amdhsa_system_sgpr_workgroup_id_x 1
		.amdhsa_system_sgpr_workgroup_id_y 0
		.amdhsa_system_sgpr_workgroup_id_z 0
		.amdhsa_system_sgpr_workgroup_info 0
		.amdhsa_system_vgpr_workitem_id 0
		.amdhsa_next_free_vgpr 28
		.amdhsa_next_free_sgpr 68
		.amdhsa_reserve_vcc 1
		.amdhsa_reserve_flat_scratch 0
		.amdhsa_float_round_mode_32 0
		.amdhsa_float_round_mode_16_64 0
		.amdhsa_float_denorm_mode_32 3
		.amdhsa_float_denorm_mode_16_64 3
		.amdhsa_dx10_clamp 1
		.amdhsa_ieee_mode 1
		.amdhsa_fp16_overflow 0
		.amdhsa_exception_fp_ieee_invalid_op 0
		.amdhsa_exception_fp_denorm_src 0
		.amdhsa_exception_fp_ieee_div_zero 0
		.amdhsa_exception_fp_ieee_overflow 0
		.amdhsa_exception_fp_ieee_underflow 0
		.amdhsa_exception_fp_ieee_inexact 0
		.amdhsa_exception_int_div_zero 0
	.end_amdhsa_kernel
	.section	.text._ZN2at6native16triu_tril_kernelIhiLb1ELi4ELb1EEEvNS_4cuda6detail10TensorInfoIT_T0_EENS4_IKS5_S6_EEllS6_,"axG",@progbits,_ZN2at6native16triu_tril_kernelIhiLb1ELi4ELb1EEEvNS_4cuda6detail10TensorInfoIT_T0_EENS4_IKS5_S6_EEllS6_,comdat
.Lfunc_end52:
	.size	_ZN2at6native16triu_tril_kernelIhiLb1ELi4ELb1EEEvNS_4cuda6detail10TensorInfoIT_T0_EENS4_IKS5_S6_EEllS6_, .Lfunc_end52-_ZN2at6native16triu_tril_kernelIhiLb1ELi4ELb1EEEvNS_4cuda6detail10TensorInfoIT_T0_EENS4_IKS5_S6_EEllS6_
                                        ; -- End function
	.set _ZN2at6native16triu_tril_kernelIhiLb1ELi4ELb1EEEvNS_4cuda6detail10TensorInfoIT_T0_EENS4_IKS5_S6_EEllS6_.num_vgpr, 28
	.set _ZN2at6native16triu_tril_kernelIhiLb1ELi4ELb1EEEvNS_4cuda6detail10TensorInfoIT_T0_EENS4_IKS5_S6_EEllS6_.num_agpr, 0
	.set _ZN2at6native16triu_tril_kernelIhiLb1ELi4ELb1EEEvNS_4cuda6detail10TensorInfoIT_T0_EENS4_IKS5_S6_EEllS6_.numbered_sgpr, 68
	.set _ZN2at6native16triu_tril_kernelIhiLb1ELi4ELb1EEEvNS_4cuda6detail10TensorInfoIT_T0_EENS4_IKS5_S6_EEllS6_.num_named_barrier, 0
	.set _ZN2at6native16triu_tril_kernelIhiLb1ELi4ELb1EEEvNS_4cuda6detail10TensorInfoIT_T0_EENS4_IKS5_S6_EEllS6_.private_seg_size, 0
	.set _ZN2at6native16triu_tril_kernelIhiLb1ELi4ELb1EEEvNS_4cuda6detail10TensorInfoIT_T0_EENS4_IKS5_S6_EEllS6_.uses_vcc, 1
	.set _ZN2at6native16triu_tril_kernelIhiLb1ELi4ELb1EEEvNS_4cuda6detail10TensorInfoIT_T0_EENS4_IKS5_S6_EEllS6_.uses_flat_scratch, 0
	.set _ZN2at6native16triu_tril_kernelIhiLb1ELi4ELb1EEEvNS_4cuda6detail10TensorInfoIT_T0_EENS4_IKS5_S6_EEllS6_.has_dyn_sized_stack, 0
	.set _ZN2at6native16triu_tril_kernelIhiLb1ELi4ELb1EEEvNS_4cuda6detail10TensorInfoIT_T0_EENS4_IKS5_S6_EEllS6_.has_recursion, 0
	.set _ZN2at6native16triu_tril_kernelIhiLb1ELi4ELb1EEEvNS_4cuda6detail10TensorInfoIT_T0_EENS4_IKS5_S6_EEllS6_.has_indirect_call, 0
	.section	.AMDGPU.csdata,"",@progbits
; Kernel info:
; codeLenInByte = 9444
; TotalNumSgprs: 72
; NumVgprs: 28
; ScratchSize: 0
; MemoryBound: 0
; FloatMode: 240
; IeeeMode: 1
; LDSByteSize: 0 bytes/workgroup (compile time only)
; SGPRBlocks: 8
; VGPRBlocks: 6
; NumSGPRsForWavesPerEU: 72
; NumVGPRsForWavesPerEU: 28
; Occupancy: 9
; WaveLimiterHint : 0
; COMPUTE_PGM_RSRC2:SCRATCH_EN: 0
; COMPUTE_PGM_RSRC2:USER_SGPR: 6
; COMPUTE_PGM_RSRC2:TRAP_HANDLER: 0
; COMPUTE_PGM_RSRC2:TGID_X_EN: 1
; COMPUTE_PGM_RSRC2:TGID_Y_EN: 0
; COMPUTE_PGM_RSRC2:TGID_Z_EN: 0
; COMPUTE_PGM_RSRC2:TIDIG_COMP_CNT: 0
	.section	.text._ZN2at6native16triu_tril_kernelIhiLb1ELi4ELb0EEEvNS_4cuda6detail10TensorInfoIT_T0_EENS4_IKS5_S6_EEllS6_,"axG",@progbits,_ZN2at6native16triu_tril_kernelIhiLb1ELi4ELb0EEEvNS_4cuda6detail10TensorInfoIT_T0_EENS4_IKS5_S6_EEllS6_,comdat
	.protected	_ZN2at6native16triu_tril_kernelIhiLb1ELi4ELb0EEEvNS_4cuda6detail10TensorInfoIT_T0_EENS4_IKS5_S6_EEllS6_ ; -- Begin function _ZN2at6native16triu_tril_kernelIhiLb1ELi4ELb0EEEvNS_4cuda6detail10TensorInfoIT_T0_EENS4_IKS5_S6_EEllS6_
	.globl	_ZN2at6native16triu_tril_kernelIhiLb1ELi4ELb0EEEvNS_4cuda6detail10TensorInfoIT_T0_EENS4_IKS5_S6_EEllS6_
	.p2align	8
	.type	_ZN2at6native16triu_tril_kernelIhiLb1ELi4ELb0EEEvNS_4cuda6detail10TensorInfoIT_T0_EENS4_IKS5_S6_EEllS6_,@function
_ZN2at6native16triu_tril_kernelIhiLb1ELi4ELb0EEEvNS_4cuda6detail10TensorInfoIT_T0_EENS4_IKS5_S6_EEllS6_: ; @_ZN2at6native16triu_tril_kernelIhiLb1ELi4ELb0EEEvNS_4cuda6detail10TensorInfoIT_T0_EENS4_IKS5_S6_EEllS6_
; %bb.0:
	s_load_dword s2, s[4:5], 0x1d4
	s_load_dwordx4 s[8:11], s[4:5], 0x1b0
	s_add_u32 s0, s4, 0x1c8
	v_mov_b32_e32 v2, 0
	s_addc_u32 s1, s5, 0
	s_waitcnt lgkmcnt(0)
	s_and_b32 s12, s2, 0xffff
	v_mov_b32_e32 v1, v2
	v_mov_b32_e32 v3, s6
	v_mad_u64_u32 v[0:1], s[2:3], s12, v3, v[0:1]
	v_lshlrev_b64 v[0:1], 2, v[0:1]
	v_cmp_gt_i64_e32 vcc, s[10:11], v[0:1]
	s_and_saveexec_b64 s[2:3], vcc
	s_cbranch_execz .LBB53_54
; %bb.1:
	s_load_dword s33, s[4:5], 0x1c0
	s_load_dwordx2 s[2:3], s[4:5], 0xd8
	s_load_dwordx2 s[18:19], s[4:5], 0x0
	s_load_dword s20, s[4:5], 0x1a8
	s_load_dword s13, s[0:1], 0x0
	s_add_u32 s48, s4, 0xd8
	s_addc_u32 s49, s5, 0
	s_waitcnt lgkmcnt(0)
	s_ashr_i32 s50, s33, 31
	s_ashr_i32 s21, s20, 31
	s_lshl_b64 s[0:1], s[20:21], 2
	s_add_u32 s16, s48, s0
	s_addc_u32 s17, s49, s1
	s_load_dwordx2 s[6:7], s[16:17], 0x0
	s_load_dwordx2 s[14:15], s[16:17], 0x64
	s_mul_i32 s22, s13, s12
	v_cmp_gt_i64_e64 s[12:13], s[20:21], 2
	s_mov_b32 s21, 0
	s_waitcnt lgkmcnt(0)
	s_ashr_i32 s51, s6, 31
	s_add_u32 s0, s4, s0
	s_addc_u32 s1, s5, s1
	s_load_dwordx2 s[16:17], s[0:1], 0x64
	s_add_i32 s52, s20, -3
	s_lshl_b32 s53, s22, 2
	s_and_b32 s54, s20, 3
	s_cmp_lg_u32 s54, 2
	s_cselect_b64 s[30:31], -1, 0
	s_cmp_gt_u32 s52, 2
	s_mov_b32 s22, s8
	s_mov_b32 s23, s9
	;; [unrolled: 1-line block ×8, first 2 shown]
	s_cselect_b64 s[34:35], -1, 0
	s_ashr_i32 s55, s15, 31
	s_mov_b32 s56, s15
	s_add_i32 s15, s15, s15
	s_waitcnt lgkmcnt(0)
	s_ashr_i32 s57, s17, 31
	s_mov_b32 s58, s17
	s_add_i32 s17, s17, s17
	s_mov_b64 s[36:37], 0
	s_branch .LBB53_3
.LBB53_2:                               ;   in Loop: Header=BB53_3 Depth=1
	s_or_b64 exec, exec, s[0:1]
	v_add_co_u32_e32 v0, vcc, s53, v0
	v_addc_co_u32_e32 v1, vcc, 0, v1, vcc
	v_cmp_le_i64_e32 vcc, s[10:11], v[0:1]
	s_or_b64 s[36:37], vcc, s[36:37]
	s_andn2_b64 exec, exec, s[36:37]
	s_cbranch_execz .LBB53_54
.LBB53_3:                               ; =>This Loop Header: Depth=1
                                        ;     Child Loop BB53_13 Depth 2
                                        ;     Child Loop BB53_21 Depth 2
	v_or_b32_e32 v3, s50, v1
	v_cmp_ne_u64_e32 vcc, 0, v[2:3]
                                        ; implicit-def: $vgpr4_vgpr5
	s_and_saveexec_b64 s[0:1], vcc
	s_xor_b64 s[38:39], exec, s[0:1]
	s_cbranch_execz .LBB53_5
; %bb.4:                                ;   in Loop: Header=BB53_3 Depth=1
	s_ashr_i32 s40, s50, 31
	s_add_u32 s0, s33, s40
	s_mov_b32 s41, s40
	s_addc_u32 s1, s50, s40
	s_xor_b64 s[42:43], s[0:1], s[40:41]
	v_cvt_f32_u32_e32 v3, s42
	v_cvt_f32_u32_e32 v4, s43
	s_sub_u32 s20, 0, s42
	s_subb_u32 s41, 0, s43
	v_ashrrev_i32_e32 v7, 31, v1
	v_mac_f32_e32 v3, 0x4f800000, v4
	v_rcp_f32_e32 v3, v3
	v_mul_f32_e32 v3, 0x5f7ffffc, v3
	v_mul_f32_e32 v4, 0x2f800000, v3
	v_trunc_f32_e32 v4, v4
	v_mac_f32_e32 v3, 0xcf800000, v4
	v_cvt_u32_f32_e32 v4, v4
	v_cvt_u32_f32_e32 v3, v3
	v_readfirstlane_b32 s44, v4
	v_readfirstlane_b32 s0, v3
	s_mul_i32 s1, s20, s44
	s_mul_hi_u32 s46, s20, s0
	s_mul_i32 s45, s41, s0
	s_add_i32 s1, s46, s1
	s_add_i32 s1, s1, s45
	s_mul_i32 s47, s20, s0
	s_mul_i32 s46, s0, s1
	s_mul_hi_u32 s59, s0, s47
	s_mul_hi_u32 s45, s0, s1
	s_add_u32 s46, s59, s46
	s_addc_u32 s45, 0, s45
	s_mul_hi_u32 s60, s44, s47
	s_mul_i32 s47, s44, s47
	s_add_u32 s46, s46, s47
	s_mul_hi_u32 s59, s44, s1
	s_addc_u32 s45, s45, s60
	s_addc_u32 s46, s59, 0
	s_mul_i32 s1, s44, s1
	s_add_u32 s1, s45, s1
	s_addc_u32 s45, 0, s46
	s_add_u32 s46, s0, s1
	s_cselect_b64 s[0:1], -1, 0
	s_cmp_lg_u64 s[0:1], 0
	s_addc_u32 s44, s44, s45
	s_mul_i32 s0, s20, s44
	s_mul_hi_u32 s1, s20, s46
	s_add_i32 s0, s1, s0
	s_mul_i32 s41, s41, s46
	s_add_i32 s0, s0, s41
	s_mul_i32 s20, s20, s46
	s_mul_hi_u32 s41, s44, s20
	s_mul_i32 s45, s44, s20
	s_mul_i32 s59, s46, s0
	s_mul_hi_u32 s20, s46, s20
	s_mul_hi_u32 s47, s46, s0
	s_add_u32 s20, s20, s59
	s_addc_u32 s47, 0, s47
	s_add_u32 s20, s20, s45
	s_mul_hi_u32 s1, s44, s0
	s_addc_u32 s20, s47, s41
	s_addc_u32 s1, s1, 0
	s_mul_i32 s0, s44, s0
	s_add_u32 s0, s20, s0
	s_addc_u32 s20, 0, s1
	s_add_u32 s41, s46, s0
	s_cselect_b64 s[0:1], -1, 0
	s_cmp_lg_u64 s[0:1], 0
	v_add_co_u32_e32 v3, vcc, v0, v7
	s_addc_u32 s20, s44, s20
	v_xor_b32_e32 v8, v3, v7
	v_mad_u64_u32 v[3:4], s[0:1], v8, s20, 0
	v_mul_hi_u32 v6, v8, s41
	v_addc_co_u32_e32 v5, vcc, v1, v7, vcc
	v_xor_b32_e32 v9, v5, v7
	v_add_co_u32_e32 v10, vcc, v6, v3
	v_addc_co_u32_e32 v11, vcc, 0, v4, vcc
	v_mad_u64_u32 v[3:4], s[0:1], v9, s41, 0
	v_mad_u64_u32 v[5:6], s[0:1], v9, s20, 0
	v_add_co_u32_e32 v3, vcc, v10, v3
	v_addc_co_u32_e32 v3, vcc, v11, v4, vcc
	v_addc_co_u32_e32 v4, vcc, 0, v6, vcc
	v_add_co_u32_e32 v5, vcc, v3, v5
	v_addc_co_u32_e32 v6, vcc, 0, v4, vcc
	v_mul_lo_u32 v10, s43, v5
	v_mul_lo_u32 v11, s42, v6
	v_mad_u64_u32 v[3:4], s[0:1], s42, v5, 0
	v_add3_u32 v4, v4, v11, v10
	v_sub_u32_e32 v10, v9, v4
	v_mov_b32_e32 v11, s43
	v_sub_co_u32_e32 v3, vcc, v8, v3
	v_subb_co_u32_e64 v8, s[0:1], v10, v11, vcc
	v_subrev_co_u32_e64 v10, s[0:1], s42, v3
	v_subbrev_co_u32_e64 v8, s[0:1], 0, v8, s[0:1]
	v_cmp_le_u32_e64 s[0:1], s43, v8
	v_cndmask_b32_e64 v11, 0, -1, s[0:1]
	v_cmp_le_u32_e64 s[0:1], s42, v10
	v_cndmask_b32_e64 v10, 0, -1, s[0:1]
	v_cmp_eq_u32_e64 s[0:1], s43, v8
	v_cndmask_b32_e64 v8, v11, v10, s[0:1]
	v_add_co_u32_e64 v10, s[0:1], 2, v5
	v_subb_co_u32_e32 v4, vcc, v9, v4, vcc
	v_addc_co_u32_e64 v11, s[0:1], 0, v6, s[0:1]
	v_cmp_le_u32_e32 vcc, s43, v4
	v_add_co_u32_e64 v12, s[0:1], 1, v5
	v_cndmask_b32_e64 v9, 0, -1, vcc
	v_cmp_le_u32_e32 vcc, s42, v3
	v_addc_co_u32_e64 v13, s[0:1], 0, v6, s[0:1]
	v_cndmask_b32_e64 v3, 0, -1, vcc
	v_cmp_eq_u32_e32 vcc, s43, v4
	v_cmp_ne_u32_e64 s[0:1], 0, v8
	v_cndmask_b32_e32 v3, v9, v3, vcc
	v_cmp_ne_u32_e32 vcc, 0, v3
	v_cndmask_b32_e64 v4, v12, v10, s[0:1]
	v_cndmask_b32_e64 v8, v13, v11, s[0:1]
	v_cndmask_b32_e32 v4, v5, v4, vcc
	v_xor_b32_e32 v5, s40, v7
	v_cndmask_b32_e32 v3, v6, v8, vcc
	v_xor_b32_e32 v4, v4, v5
	v_xor_b32_e32 v3, v3, v5
	v_sub_co_u32_e32 v4, vcc, v4, v5
	v_subb_co_u32_e32 v5, vcc, v3, v5, vcc
.LBB53_5:                               ;   in Loop: Header=BB53_3 Depth=1
	s_andn2_saveexec_b64 s[0:1], s[38:39]
	s_cbranch_execz .LBB53_7
; %bb.6:                                ;   in Loop: Header=BB53_3 Depth=1
	v_cvt_f32_u32_e32 v3, s33
	s_sub_i32 s20, 0, s33
	v_rcp_iflag_f32_e32 v3, v3
	v_mul_f32_e32 v3, 0x4f7ffffe, v3
	v_cvt_u32_f32_e32 v3, v3
	v_mul_lo_u32 v4, s20, v3
	v_mul_hi_u32 v4, v3, v4
	v_add_u32_e32 v3, v3, v4
	v_mul_hi_u32 v3, v0, v3
	v_mul_lo_u32 v4, v3, s33
	v_add_u32_e32 v5, 1, v3
	v_sub_u32_e32 v4, v0, v4
	v_subrev_u32_e32 v6, s33, v4
	v_cmp_le_u32_e32 vcc, s33, v4
	v_cndmask_b32_e32 v4, v4, v6, vcc
	v_cndmask_b32_e32 v3, v3, v5, vcc
	v_add_u32_e32 v5, 1, v3
	v_cmp_le_u32_e32 vcc, s33, v4
	v_cndmask_b32_e32 v4, v3, v5, vcc
	v_mov_b32_e32 v5, v2
.LBB53_7:                               ;   in Loop: Header=BB53_3 Depth=1
	s_or_b64 exec, exec, s[0:1]
	v_or_b32_e32 v3, s51, v5
	v_cmp_ne_u64_e32 vcc, 0, v[2:3]
                                        ; implicit-def: $vgpr8_vgpr9
	s_and_saveexec_b64 s[0:1], vcc
	s_xor_b64 s[38:39], exec, s[0:1]
	s_cbranch_execz .LBB53_9
; %bb.8:                                ;   in Loop: Header=BB53_3 Depth=1
	s_ashr_i32 s40, s51, 31
	s_add_u32 s0, s6, s40
	s_mov_b32 s41, s40
	s_addc_u32 s1, s51, s40
	s_xor_b64 s[42:43], s[0:1], s[40:41]
	v_cvt_f32_u32_e32 v3, s42
	v_cvt_f32_u32_e32 v6, s43
	s_sub_u32 s20, 0, s42
	s_subb_u32 s41, 0, s43
	v_mac_f32_e32 v3, 0x4f800000, v6
	v_rcp_f32_e32 v3, v3
	v_mul_f32_e32 v3, 0x5f7ffffc, v3
	v_mul_f32_e32 v6, 0x2f800000, v3
	v_trunc_f32_e32 v6, v6
	v_mac_f32_e32 v3, 0xcf800000, v6
	v_cvt_u32_f32_e32 v6, v6
	v_cvt_u32_f32_e32 v3, v3
	v_readfirstlane_b32 s44, v6
	v_readfirstlane_b32 s0, v3
	s_mul_i32 s1, s20, s44
	s_mul_hi_u32 s46, s20, s0
	s_mul_i32 s45, s41, s0
	s_add_i32 s1, s46, s1
	s_add_i32 s1, s1, s45
	s_mul_i32 s47, s20, s0
	s_mul_i32 s46, s0, s1
	s_mul_hi_u32 s59, s0, s47
	s_mul_hi_u32 s45, s0, s1
	s_add_u32 s46, s59, s46
	s_addc_u32 s45, 0, s45
	s_mul_hi_u32 s60, s44, s47
	s_mul_i32 s47, s44, s47
	s_add_u32 s46, s46, s47
	s_mul_hi_u32 s59, s44, s1
	s_addc_u32 s45, s45, s60
	s_addc_u32 s46, s59, 0
	s_mul_i32 s1, s44, s1
	s_add_u32 s1, s45, s1
	s_addc_u32 s45, 0, s46
	s_add_u32 s46, s0, s1
	s_cselect_b64 s[0:1], -1, 0
	s_cmp_lg_u64 s[0:1], 0
	s_addc_u32 s44, s44, s45
	s_mul_i32 s0, s20, s44
	s_mul_hi_u32 s1, s20, s46
	s_add_i32 s0, s1, s0
	s_mul_i32 s41, s41, s46
	s_add_i32 s0, s0, s41
	s_mul_i32 s20, s20, s46
	s_mul_hi_u32 s41, s44, s20
	s_mul_i32 s45, s44, s20
	s_mul_i32 s59, s46, s0
	s_mul_hi_u32 s20, s46, s20
	s_mul_hi_u32 s47, s46, s0
	s_add_u32 s20, s20, s59
	s_addc_u32 s47, 0, s47
	s_add_u32 s20, s20, s45
	s_mul_hi_u32 s1, s44, s0
	s_addc_u32 s20, s47, s41
	s_addc_u32 s1, s1, 0
	s_mul_i32 s0, s44, s0
	s_add_u32 s0, s20, s0
	s_addc_u32 s20, 0, s1
	s_add_u32 s41, s46, s0
	s_cselect_b64 s[0:1], -1, 0
	v_ashrrev_i32_e32 v3, 31, v5
	s_cmp_lg_u64 s[0:1], 0
	v_add_co_u32_e32 v6, vcc, v4, v3
	s_addc_u32 s20, s44, s20
	v_xor_b32_e32 v9, v6, v3
	v_addc_co_u32_e32 v7, vcc, v5, v3, vcc
	v_mad_u64_u32 v[5:6], s[0:1], v9, s20, 0
	v_mul_hi_u32 v8, v9, s41
	v_xor_b32_e32 v10, v7, v3
	v_xor_b32_e32 v3, s40, v3
	v_add_co_u32_e32 v11, vcc, v8, v5
	v_addc_co_u32_e32 v12, vcc, 0, v6, vcc
	v_mad_u64_u32 v[5:6], s[0:1], v10, s41, 0
	v_mad_u64_u32 v[7:8], s[0:1], v10, s20, 0
	v_add_co_u32_e32 v5, vcc, v11, v5
	v_addc_co_u32_e32 v5, vcc, v12, v6, vcc
	v_addc_co_u32_e32 v6, vcc, 0, v8, vcc
	v_add_co_u32_e32 v7, vcc, v5, v7
	v_addc_co_u32_e32 v8, vcc, 0, v6, vcc
	v_mul_lo_u32 v11, s43, v7
	v_mul_lo_u32 v12, s42, v8
	v_mad_u64_u32 v[5:6], s[0:1], s42, v7, 0
	v_add3_u32 v6, v6, v12, v11
	v_sub_u32_e32 v11, v10, v6
	v_mov_b32_e32 v12, s43
	v_sub_co_u32_e32 v5, vcc, v9, v5
	v_subb_co_u32_e64 v9, s[0:1], v11, v12, vcc
	v_subrev_co_u32_e64 v11, s[0:1], s42, v5
	v_subbrev_co_u32_e64 v9, s[0:1], 0, v9, s[0:1]
	v_cmp_le_u32_e64 s[0:1], s43, v9
	v_cndmask_b32_e64 v12, 0, -1, s[0:1]
	v_cmp_le_u32_e64 s[0:1], s42, v11
	v_cndmask_b32_e64 v11, 0, -1, s[0:1]
	v_cmp_eq_u32_e64 s[0:1], s43, v9
	v_cndmask_b32_e64 v9, v12, v11, s[0:1]
	v_add_co_u32_e64 v11, s[0:1], 2, v7
	v_subb_co_u32_e32 v6, vcc, v10, v6, vcc
	v_addc_co_u32_e64 v12, s[0:1], 0, v8, s[0:1]
	v_cmp_le_u32_e32 vcc, s43, v6
	v_add_co_u32_e64 v13, s[0:1], 1, v7
	v_cndmask_b32_e64 v10, 0, -1, vcc
	v_cmp_le_u32_e32 vcc, s42, v5
	v_addc_co_u32_e64 v14, s[0:1], 0, v8, s[0:1]
	v_cndmask_b32_e64 v5, 0, -1, vcc
	v_cmp_eq_u32_e32 vcc, s43, v6
	v_cmp_ne_u32_e64 s[0:1], 0, v9
	v_cndmask_b32_e32 v5, v10, v5, vcc
	v_cmp_ne_u32_e32 vcc, 0, v5
	v_cndmask_b32_e64 v6, v13, v11, s[0:1]
	v_cndmask_b32_e64 v9, v14, v12, s[0:1]
	v_cndmask_b32_e32 v6, v7, v6, vcc
	v_cndmask_b32_e32 v5, v8, v9, vcc
	v_xor_b32_e32 v6, v6, v3
	v_xor_b32_e32 v5, v5, v3
	v_sub_co_u32_e32 v8, vcc, v6, v3
	v_subb_co_u32_e32 v9, vcc, v5, v3, vcc
.LBB53_9:                               ;   in Loop: Header=BB53_3 Depth=1
	s_andn2_saveexec_b64 s[0:1], s[38:39]
	s_cbranch_execz .LBB53_11
; %bb.10:                               ;   in Loop: Header=BB53_3 Depth=1
	v_cvt_f32_u32_e32 v3, s6
	s_sub_i32 s20, 0, s6
	v_mov_b32_e32 v9, v2
	v_rcp_iflag_f32_e32 v3, v3
	v_mul_f32_e32 v3, 0x4f7ffffe, v3
	v_cvt_u32_f32_e32 v3, v3
	v_mul_lo_u32 v5, s20, v3
	v_mul_hi_u32 v5, v3, v5
	v_add_u32_e32 v3, v3, v5
	v_mul_hi_u32 v3, v4, v3
	v_mul_lo_u32 v5, v3, s6
	v_add_u32_e32 v6, 1, v3
	v_sub_u32_e32 v5, v4, v5
	v_subrev_u32_e32 v7, s6, v5
	v_cmp_le_u32_e32 vcc, s6, v5
	v_cndmask_b32_e32 v5, v5, v7, vcc
	v_cndmask_b32_e32 v3, v3, v6, vcc
	v_add_u32_e32 v6, 1, v3
	v_cmp_le_u32_e32 vcc, s6, v5
	v_cndmask_b32_e32 v8, v3, v6, vcc
.LBB53_11:                              ;   in Loop: Header=BB53_3 Depth=1
	s_or_b64 exec, exec, s[0:1]
	v_mad_u64_u32 v[5:6], s[0:1], v4, s33, 0
	v_mad_u64_u32 v[6:7], s[0:1], v8, s6, 0
	v_sub_co_u32_e32 v18, vcc, v0, v5
	v_mul_lo_u32 v3, s56, v18
	v_sub_co_u32_e32 v19, vcc, v4, v6
	v_mul_lo_u32 v4, s58, v18
	s_andn2_b64 vcc, exec, s[12:13]
	v_mad_u64_u32 v[6:7], s[0:1], s14, v19, v[3:4]
	v_mad_u64_u32 v[4:5], s[0:1], s16, v19, v[4:5]
	s_cbranch_vccnz .LBB53_39
; %bb.12:                               ;   in Loop: Header=BB53_3 Depth=1
	s_mov_b32 s59, 1
	s_andn2_b64 vcc, exec, s[30:31]
	s_mov_b32 s20, s52
	s_mov_b32 s0, s52
	s_cbranch_vccnz .LBB53_20
.LBB53_13:                              ;   Parent Loop BB53_3 Depth=1
                                        ; =>  This Inner Loop Header: Depth=2
	s_lshl_b64 s[38:39], s[20:21], 2
	s_add_u32 s40, s48, s38
	s_addc_u32 s41, s49, s39
	s_load_dword s60, s[40:41], 0x8
                                        ; implicit-def: $vgpr10_vgpr11
	s_waitcnt lgkmcnt(0)
	s_ashr_i32 s0, s60, 31
	v_or_b32_e32 v3, s0, v9
	v_cmp_ne_u64_e32 vcc, 0, v[2:3]
	s_and_saveexec_b64 s[42:43], vcc
	s_xor_b64 s[42:43], exec, s[42:43]
	s_cbranch_execz .LBB53_15
; %bb.14:                               ;   in Loop: Header=BB53_13 Depth=2
	s_ashr_i32 s44, s0, 31
	s_add_u32 s46, s60, s44
	s_mov_b32 s45, s44
	s_addc_u32 s47, s0, s44
	s_xor_b64 s[46:47], s[46:47], s[44:45]
	v_cvt_f32_u32_e32 v3, s46
	v_cvt_f32_u32_e32 v5, s47
	s_sub_u32 s45, 0, s46
	s_subb_u32 s61, 0, s47
	v_mac_f32_e32 v3, 0x4f800000, v5
	v_rcp_f32_e32 v3, v3
	v_mul_f32_e32 v3, 0x5f7ffffc, v3
	v_mul_f32_e32 v5, 0x2f800000, v3
	v_trunc_f32_e32 v5, v5
	v_mac_f32_e32 v3, 0xcf800000, v5
	v_cvt_u32_f32_e32 v5, v5
	v_cvt_u32_f32_e32 v3, v3
	v_readfirstlane_b32 s62, v5
	v_readfirstlane_b32 s0, v3
	s_mul_i32 s1, s45, s62
	s_mul_hi_u32 s64, s45, s0
	s_mul_i32 s63, s61, s0
	s_add_i32 s1, s64, s1
	s_add_i32 s1, s1, s63
	s_mul_i32 s65, s45, s0
	s_mul_i32 s64, s0, s1
	s_mul_hi_u32 s66, s0, s65
	s_mul_hi_u32 s63, s0, s1
	s_add_u32 s64, s66, s64
	s_addc_u32 s63, 0, s63
	s_mul_hi_u32 s67, s62, s65
	s_mul_i32 s65, s62, s65
	s_add_u32 s64, s64, s65
	s_mul_hi_u32 s66, s62, s1
	s_addc_u32 s63, s63, s67
	s_addc_u32 s64, s66, 0
	s_mul_i32 s1, s62, s1
	s_add_u32 s1, s63, s1
	s_addc_u32 s63, 0, s64
	s_add_u32 s64, s0, s1
	s_cselect_b64 s[0:1], -1, 0
	s_cmp_lg_u64 s[0:1], 0
	s_addc_u32 s62, s62, s63
	s_mul_i32 s0, s45, s62
	s_mul_hi_u32 s1, s45, s64
	s_add_i32 s0, s1, s0
	s_mul_i32 s61, s61, s64
	s_add_i32 s0, s0, s61
	s_mul_i32 s45, s45, s64
	s_mul_hi_u32 s61, s62, s45
	s_mul_i32 s63, s62, s45
	s_mul_i32 s66, s64, s0
	s_mul_hi_u32 s45, s64, s45
	s_mul_hi_u32 s65, s64, s0
	s_add_u32 s45, s45, s66
	s_addc_u32 s65, 0, s65
	s_add_u32 s45, s45, s63
	s_mul_hi_u32 s1, s62, s0
	s_addc_u32 s45, s65, s61
	s_addc_u32 s1, s1, 0
	s_mul_i32 s0, s62, s0
	s_add_u32 s0, s45, s0
	s_addc_u32 s45, 0, s1
	s_add_u32 s61, s64, s0
	s_cselect_b64 s[0:1], -1, 0
	v_ashrrev_i32_e32 v3, 31, v9
	s_cmp_lg_u64 s[0:1], 0
	v_add_co_u32_e32 v5, vcc, v8, v3
	s_addc_u32 s45, s62, s45
	v_xor_b32_e32 v5, v5, v3
	v_addc_co_u32_e32 v7, vcc, v9, v3, vcc
	v_mad_u64_u32 v[9:10], s[0:1], v5, s45, 0
	v_mul_hi_u32 v11, v5, s61
	v_xor_b32_e32 v7, v7, v3
	v_xor_b32_e32 v3, s44, v3
	v_add_co_u32_e32 v13, vcc, v11, v9
	v_addc_co_u32_e32 v14, vcc, 0, v10, vcc
	v_mad_u64_u32 v[9:10], s[0:1], v7, s61, 0
	v_mad_u64_u32 v[11:12], s[0:1], v7, s45, 0
	v_add_co_u32_e32 v9, vcc, v13, v9
	v_addc_co_u32_e32 v9, vcc, v14, v10, vcc
	v_addc_co_u32_e32 v10, vcc, 0, v12, vcc
	v_add_co_u32_e32 v11, vcc, v9, v11
	v_addc_co_u32_e32 v12, vcc, 0, v10, vcc
	v_mul_lo_u32 v13, s47, v11
	v_mul_lo_u32 v14, s46, v12
	v_mad_u64_u32 v[9:10], s[0:1], s46, v11, 0
	v_add3_u32 v10, v10, v14, v13
	v_sub_u32_e32 v13, v7, v10
	v_mov_b32_e32 v14, s47
	v_sub_co_u32_e32 v5, vcc, v5, v9
	v_subb_co_u32_e64 v9, s[0:1], v13, v14, vcc
	v_subrev_co_u32_e64 v13, s[0:1], s46, v5
	v_subbrev_co_u32_e64 v9, s[0:1], 0, v9, s[0:1]
	v_cmp_le_u32_e64 s[0:1], s47, v9
	v_cndmask_b32_e64 v14, 0, -1, s[0:1]
	v_cmp_le_u32_e64 s[0:1], s46, v13
	v_cndmask_b32_e64 v13, 0, -1, s[0:1]
	v_cmp_eq_u32_e64 s[0:1], s47, v9
	v_cndmask_b32_e64 v9, v14, v13, s[0:1]
	v_add_co_u32_e64 v13, s[0:1], 2, v11
	v_subb_co_u32_e32 v7, vcc, v7, v10, vcc
	v_addc_co_u32_e64 v14, s[0:1], 0, v12, s[0:1]
	v_cmp_le_u32_e32 vcc, s47, v7
	v_add_co_u32_e64 v15, s[0:1], 1, v11
	v_cndmask_b32_e64 v10, 0, -1, vcc
	v_cmp_le_u32_e32 vcc, s46, v5
	v_addc_co_u32_e64 v16, s[0:1], 0, v12, s[0:1]
	v_cndmask_b32_e64 v5, 0, -1, vcc
	v_cmp_eq_u32_e32 vcc, s47, v7
	v_cmp_ne_u32_e64 s[0:1], 0, v9
	v_cndmask_b32_e32 v5, v10, v5, vcc
	v_cmp_ne_u32_e32 vcc, 0, v5
	v_cndmask_b32_e64 v7, v15, v13, s[0:1]
	v_cndmask_b32_e64 v9, v16, v14, s[0:1]
	v_cndmask_b32_e32 v7, v11, v7, vcc
	v_cndmask_b32_e32 v5, v12, v9, vcc
	v_xor_b32_e32 v7, v7, v3
	v_xor_b32_e32 v5, v5, v3
	v_sub_co_u32_e32 v10, vcc, v7, v3
	v_subb_co_u32_e32 v11, vcc, v5, v3, vcc
.LBB53_15:                              ;   in Loop: Header=BB53_13 Depth=2
	s_andn2_saveexec_b64 s[0:1], s[42:43]
	s_cbranch_execz .LBB53_17
; %bb.16:                               ;   in Loop: Header=BB53_13 Depth=2
	v_cvt_f32_u32_e32 v3, s60
	s_sub_i32 s42, 0, s60
	v_mov_b32_e32 v11, v2
	v_rcp_iflag_f32_e32 v3, v3
	v_mul_f32_e32 v3, 0x4f7ffffe, v3
	v_cvt_u32_f32_e32 v3, v3
	v_mul_lo_u32 v5, s42, v3
	v_mul_hi_u32 v5, v3, v5
	v_add_u32_e32 v3, v3, v5
	v_mul_hi_u32 v3, v8, v3
	v_mul_lo_u32 v5, v3, s60
	v_add_u32_e32 v7, 1, v3
	v_sub_u32_e32 v5, v8, v5
	v_subrev_u32_e32 v9, s60, v5
	v_cmp_le_u32_e32 vcc, s60, v5
	v_cndmask_b32_e32 v5, v5, v9, vcc
	v_cndmask_b32_e32 v3, v3, v7, vcc
	v_add_u32_e32 v7, 1, v3
	v_cmp_le_u32_e32 vcc, s60, v5
	v_cndmask_b32_e32 v10, v3, v7, vcc
.LBB53_17:                              ;   in Loop: Header=BB53_13 Depth=2
	s_or_b64 exec, exec, s[0:1]
	s_add_u32 s0, s4, s38
	s_addc_u32 s1, s5, s39
	v_mul_lo_u32 v3, v10, s60
	s_load_dword s40, s[40:41], 0x6c
	s_add_i32 s20, s20, -1
	s_load_dword s38, s[0:1], 0x6c
	v_sub_u32_e32 v3, v8, v3
	s_waitcnt lgkmcnt(0)
	v_mad_u64_u32 v[6:7], s[0:1], s40, v3, v[6:7]
	v_mad_u64_u32 v[4:5], s[0:1], s38, v3, v[4:5]
	s_xor_b32 s0, s54, s59
	s_add_i32 s59, s59, 1
	s_cmp_lg_u32 s0, 2
	s_cbranch_scc0 .LBB53_19
; %bb.18:                               ;   in Loop: Header=BB53_13 Depth=2
	v_mov_b32_e32 v8, v10
	v_mov_b32_e32 v9, v11
	s_branch .LBB53_13
.LBB53_19:                              ;   in Loop: Header=BB53_3 Depth=1
	v_mov_b32_e32 v8, v10
	s_mov_b32 s0, s20
	v_mov_b32_e32 v9, v11
.LBB53_20:                              ;   in Loop: Header=BB53_3 Depth=1
	s_and_b64 vcc, exec, s[34:35]
	s_mov_b32 s20, s0
	s_cbranch_vccz .LBB53_39
.LBB53_21:                              ;   Parent Loop BB53_3 Depth=1
                                        ; =>  This Inner Loop Header: Depth=2
	s_lshl_b64 s[38:39], s[20:21], 2
	s_add_u32 s40, s48, s38
	s_addc_u32 s41, s49, s39
	s_load_dword s59, s[40:41], 0x8
                                        ; implicit-def: $vgpr10_vgpr11
	s_waitcnt lgkmcnt(0)
	s_ashr_i32 s0, s59, 31
	v_or_b32_e32 v3, s0, v9
	v_cmp_ne_u64_e32 vcc, 0, v[2:3]
	s_and_saveexec_b64 s[42:43], vcc
	s_xor_b64 s[42:43], exec, s[42:43]
	s_cbranch_execz .LBB53_23
; %bb.22:                               ;   in Loop: Header=BB53_21 Depth=2
	s_ashr_i32 s44, s0, 31
	s_add_u32 s46, s59, s44
	s_mov_b32 s45, s44
	s_addc_u32 s47, s0, s44
	s_xor_b64 s[46:47], s[46:47], s[44:45]
	v_cvt_f32_u32_e32 v3, s46
	v_cvt_f32_u32_e32 v5, s47
	s_sub_u32 s45, 0, s46
	s_subb_u32 s60, 0, s47
	v_mac_f32_e32 v3, 0x4f800000, v5
	v_rcp_f32_e32 v3, v3
	v_mul_f32_e32 v3, 0x5f7ffffc, v3
	v_mul_f32_e32 v5, 0x2f800000, v3
	v_trunc_f32_e32 v5, v5
	v_mac_f32_e32 v3, 0xcf800000, v5
	v_cvt_u32_f32_e32 v5, v5
	v_cvt_u32_f32_e32 v3, v3
	v_readfirstlane_b32 s61, v5
	v_readfirstlane_b32 s0, v3
	s_mul_i32 s1, s45, s61
	s_mul_hi_u32 s63, s45, s0
	s_mul_i32 s62, s60, s0
	s_add_i32 s1, s63, s1
	s_add_i32 s1, s1, s62
	s_mul_i32 s64, s45, s0
	s_mul_i32 s63, s0, s1
	s_mul_hi_u32 s65, s0, s64
	s_mul_hi_u32 s62, s0, s1
	s_add_u32 s63, s65, s63
	s_addc_u32 s62, 0, s62
	s_mul_hi_u32 s66, s61, s64
	s_mul_i32 s64, s61, s64
	s_add_u32 s63, s63, s64
	s_mul_hi_u32 s65, s61, s1
	s_addc_u32 s62, s62, s66
	s_addc_u32 s63, s65, 0
	s_mul_i32 s1, s61, s1
	s_add_u32 s1, s62, s1
	s_addc_u32 s62, 0, s63
	s_add_u32 s63, s0, s1
	s_cselect_b64 s[0:1], -1, 0
	s_cmp_lg_u64 s[0:1], 0
	s_addc_u32 s61, s61, s62
	s_mul_i32 s0, s45, s61
	s_mul_hi_u32 s1, s45, s63
	s_add_i32 s0, s1, s0
	s_mul_i32 s60, s60, s63
	s_add_i32 s0, s0, s60
	s_mul_i32 s45, s45, s63
	s_mul_hi_u32 s60, s61, s45
	s_mul_i32 s62, s61, s45
	s_mul_i32 s65, s63, s0
	s_mul_hi_u32 s45, s63, s45
	s_mul_hi_u32 s64, s63, s0
	s_add_u32 s45, s45, s65
	s_addc_u32 s64, 0, s64
	s_add_u32 s45, s45, s62
	s_mul_hi_u32 s1, s61, s0
	s_addc_u32 s45, s64, s60
	s_addc_u32 s1, s1, 0
	s_mul_i32 s0, s61, s0
	s_add_u32 s0, s45, s0
	s_addc_u32 s45, 0, s1
	s_add_u32 s60, s63, s0
	s_cselect_b64 s[0:1], -1, 0
	v_ashrrev_i32_e32 v3, 31, v9
	s_cmp_lg_u64 s[0:1], 0
	v_add_co_u32_e32 v5, vcc, v8, v3
	s_addc_u32 s45, s61, s45
	v_xor_b32_e32 v5, v5, v3
	v_addc_co_u32_e32 v7, vcc, v9, v3, vcc
	v_mad_u64_u32 v[9:10], s[0:1], v5, s45, 0
	v_mul_hi_u32 v11, v5, s60
	v_xor_b32_e32 v7, v7, v3
	v_xor_b32_e32 v3, s44, v3
	v_add_co_u32_e32 v13, vcc, v11, v9
	v_addc_co_u32_e32 v14, vcc, 0, v10, vcc
	v_mad_u64_u32 v[9:10], s[0:1], v7, s60, 0
	v_mad_u64_u32 v[11:12], s[0:1], v7, s45, 0
	v_add_co_u32_e32 v9, vcc, v13, v9
	v_addc_co_u32_e32 v9, vcc, v14, v10, vcc
	v_addc_co_u32_e32 v10, vcc, 0, v12, vcc
	v_add_co_u32_e32 v11, vcc, v9, v11
	v_addc_co_u32_e32 v12, vcc, 0, v10, vcc
	v_mul_lo_u32 v13, s47, v11
	v_mul_lo_u32 v14, s46, v12
	v_mad_u64_u32 v[9:10], s[0:1], s46, v11, 0
	v_add3_u32 v10, v10, v14, v13
	v_sub_u32_e32 v13, v7, v10
	v_mov_b32_e32 v14, s47
	v_sub_co_u32_e32 v5, vcc, v5, v9
	v_subb_co_u32_e64 v9, s[0:1], v13, v14, vcc
	v_subrev_co_u32_e64 v13, s[0:1], s46, v5
	v_subbrev_co_u32_e64 v9, s[0:1], 0, v9, s[0:1]
	v_cmp_le_u32_e64 s[0:1], s47, v9
	v_cndmask_b32_e64 v14, 0, -1, s[0:1]
	v_cmp_le_u32_e64 s[0:1], s46, v13
	v_cndmask_b32_e64 v13, 0, -1, s[0:1]
	v_cmp_eq_u32_e64 s[0:1], s47, v9
	v_cndmask_b32_e64 v9, v14, v13, s[0:1]
	v_add_co_u32_e64 v13, s[0:1], 2, v11
	v_subb_co_u32_e32 v7, vcc, v7, v10, vcc
	v_addc_co_u32_e64 v14, s[0:1], 0, v12, s[0:1]
	v_cmp_le_u32_e32 vcc, s47, v7
	v_add_co_u32_e64 v15, s[0:1], 1, v11
	v_cndmask_b32_e64 v10, 0, -1, vcc
	v_cmp_le_u32_e32 vcc, s46, v5
	v_addc_co_u32_e64 v16, s[0:1], 0, v12, s[0:1]
	v_cndmask_b32_e64 v5, 0, -1, vcc
	v_cmp_eq_u32_e32 vcc, s47, v7
	v_cmp_ne_u32_e64 s[0:1], 0, v9
	v_cndmask_b32_e32 v5, v10, v5, vcc
	v_cmp_ne_u32_e32 vcc, 0, v5
	v_cndmask_b32_e64 v7, v15, v13, s[0:1]
	v_cndmask_b32_e64 v9, v16, v14, s[0:1]
	v_cndmask_b32_e32 v7, v11, v7, vcc
	v_cndmask_b32_e32 v5, v12, v9, vcc
	v_xor_b32_e32 v7, v7, v3
	v_xor_b32_e32 v5, v5, v3
	v_sub_co_u32_e32 v10, vcc, v7, v3
	v_subb_co_u32_e32 v11, vcc, v5, v3, vcc
.LBB53_23:                              ;   in Loop: Header=BB53_21 Depth=2
	s_andn2_saveexec_b64 s[0:1], s[42:43]
	s_cbranch_execz .LBB53_25
; %bb.24:                               ;   in Loop: Header=BB53_21 Depth=2
	v_cvt_f32_u32_e32 v3, s59
	s_sub_i32 s42, 0, s59
	v_mov_b32_e32 v11, v2
	v_rcp_iflag_f32_e32 v3, v3
	v_mul_f32_e32 v3, 0x4f7ffffe, v3
	v_cvt_u32_f32_e32 v3, v3
	v_mul_lo_u32 v5, s42, v3
	v_mul_hi_u32 v5, v3, v5
	v_add_u32_e32 v3, v3, v5
	v_mul_hi_u32 v3, v8, v3
	v_mul_lo_u32 v5, v3, s59
	v_add_u32_e32 v7, 1, v3
	v_sub_u32_e32 v5, v8, v5
	v_subrev_u32_e32 v9, s59, v5
	v_cmp_le_u32_e32 vcc, s59, v5
	v_cndmask_b32_e32 v5, v5, v9, vcc
	v_cndmask_b32_e32 v3, v3, v7, vcc
	v_add_u32_e32 v7, 1, v3
	v_cmp_le_u32_e32 vcc, s59, v5
	v_cndmask_b32_e32 v10, v3, v7, vcc
.LBB53_25:                              ;   in Loop: Header=BB53_21 Depth=2
	s_or_b64 exec, exec, s[0:1]
	s_add_u32 s0, s4, s38
	s_addc_u32 s1, s5, s39
	s_add_i32 s38, s20, -1
	s_mov_b32 s39, s21
	s_lshl_b64 s[42:43], s[38:39], 2
	s_add_u32 s38, s48, s42
	s_addc_u32 s39, s49, s43
	s_load_dword s62, s[38:39], 0x8
	s_load_dword s61, s[40:41], 0x6c
	;; [unrolled: 1-line block ×3, first 2 shown]
                                        ; implicit-def: $vgpr12_vgpr13
	s_waitcnt lgkmcnt(0)
	s_ashr_i32 s0, s62, 31
	v_or_b32_e32 v3, s0, v11
	v_cmp_ne_u64_e32 vcc, 0, v[2:3]
	s_and_saveexec_b64 s[40:41], vcc
	s_xor_b64 s[40:41], exec, s[40:41]
	s_cbranch_execz .LBB53_27
; %bb.26:                               ;   in Loop: Header=BB53_21 Depth=2
	s_ashr_i32 s44, s0, 31
	s_add_u32 s46, s62, s44
	s_mov_b32 s45, s44
	s_addc_u32 s47, s0, s44
	s_xor_b64 s[46:47], s[46:47], s[44:45]
	v_cvt_f32_u32_e32 v3, s46
	v_cvt_f32_u32_e32 v5, s47
	s_sub_u32 s45, 0, s46
	s_subb_u32 s63, 0, s47
	v_mac_f32_e32 v3, 0x4f800000, v5
	v_rcp_f32_e32 v3, v3
	v_mul_f32_e32 v3, 0x5f7ffffc, v3
	v_mul_f32_e32 v5, 0x2f800000, v3
	v_trunc_f32_e32 v5, v5
	v_mac_f32_e32 v3, 0xcf800000, v5
	v_cvt_u32_f32_e32 v5, v5
	v_cvt_u32_f32_e32 v3, v3
	v_readfirstlane_b32 s64, v5
	v_readfirstlane_b32 s0, v3
	s_mul_i32 s1, s45, s64
	s_mul_hi_u32 s66, s45, s0
	s_mul_i32 s65, s63, s0
	s_add_i32 s1, s66, s1
	s_add_i32 s1, s1, s65
	s_mul_i32 s67, s45, s0
	s_mul_i32 s66, s0, s1
	s_mul_hi_u32 s68, s0, s67
	s_mul_hi_u32 s65, s0, s1
	s_add_u32 s66, s68, s66
	s_addc_u32 s65, 0, s65
	s_mul_hi_u32 s69, s64, s67
	s_mul_i32 s67, s64, s67
	s_add_u32 s66, s66, s67
	s_mul_hi_u32 s68, s64, s1
	s_addc_u32 s65, s65, s69
	s_addc_u32 s66, s68, 0
	s_mul_i32 s1, s64, s1
	s_add_u32 s1, s65, s1
	s_addc_u32 s65, 0, s66
	s_add_u32 s66, s0, s1
	s_cselect_b64 s[0:1], -1, 0
	s_cmp_lg_u64 s[0:1], 0
	s_addc_u32 s64, s64, s65
	s_mul_i32 s0, s45, s64
	s_mul_hi_u32 s1, s45, s66
	s_add_i32 s0, s1, s0
	s_mul_i32 s63, s63, s66
	s_add_i32 s0, s0, s63
	s_mul_i32 s45, s45, s66
	s_mul_hi_u32 s63, s64, s45
	s_mul_i32 s65, s64, s45
	s_mul_i32 s68, s66, s0
	s_mul_hi_u32 s45, s66, s45
	s_mul_hi_u32 s67, s66, s0
	s_add_u32 s45, s45, s68
	s_addc_u32 s67, 0, s67
	s_add_u32 s45, s45, s65
	s_mul_hi_u32 s1, s64, s0
	s_addc_u32 s45, s67, s63
	s_addc_u32 s1, s1, 0
	s_mul_i32 s0, s64, s0
	s_add_u32 s0, s45, s0
	s_addc_u32 s45, 0, s1
	s_add_u32 s63, s66, s0
	s_cselect_b64 s[0:1], -1, 0
	v_ashrrev_i32_e32 v3, 31, v11
	s_cmp_lg_u64 s[0:1], 0
	v_add_co_u32_e32 v5, vcc, v10, v3
	s_addc_u32 s45, s64, s45
	v_xor_b32_e32 v5, v5, v3
	v_addc_co_u32_e32 v7, vcc, v11, v3, vcc
	v_mad_u64_u32 v[11:12], s[0:1], v5, s45, 0
	v_mul_hi_u32 v9, v5, s63
	v_xor_b32_e32 v7, v7, v3
	v_mad_u64_u32 v[13:14], s[0:1], v7, s45, 0
	v_add_co_u32_e32 v9, vcc, v9, v11
	v_addc_co_u32_e32 v15, vcc, 0, v12, vcc
	v_mad_u64_u32 v[11:12], s[0:1], v7, s63, 0
	v_xor_b32_e32 v3, s44, v3
	v_add_co_u32_e32 v9, vcc, v9, v11
	v_addc_co_u32_e32 v9, vcc, v15, v12, vcc
	v_addc_co_u32_e32 v11, vcc, 0, v14, vcc
	v_add_co_u32_e32 v9, vcc, v9, v13
	v_addc_co_u32_e32 v13, vcc, 0, v11, vcc
	v_mul_lo_u32 v14, s47, v9
	v_mul_lo_u32 v15, s46, v13
	v_mad_u64_u32 v[11:12], s[0:1], s46, v9, 0
	v_add3_u32 v12, v12, v15, v14
	v_sub_u32_e32 v14, v7, v12
	v_mov_b32_e32 v15, s47
	v_sub_co_u32_e32 v5, vcc, v5, v11
	v_subb_co_u32_e64 v11, s[0:1], v14, v15, vcc
	v_subrev_co_u32_e64 v14, s[0:1], s46, v5
	v_subbrev_co_u32_e64 v11, s[0:1], 0, v11, s[0:1]
	v_cmp_le_u32_e64 s[0:1], s47, v11
	v_cndmask_b32_e64 v15, 0, -1, s[0:1]
	v_cmp_le_u32_e64 s[0:1], s46, v14
	v_cndmask_b32_e64 v14, 0, -1, s[0:1]
	v_cmp_eq_u32_e64 s[0:1], s47, v11
	v_cndmask_b32_e64 v11, v15, v14, s[0:1]
	v_add_co_u32_e64 v14, s[0:1], 2, v9
	v_subb_co_u32_e32 v7, vcc, v7, v12, vcc
	v_addc_co_u32_e64 v15, s[0:1], 0, v13, s[0:1]
	v_cmp_le_u32_e32 vcc, s47, v7
	v_add_co_u32_e64 v16, s[0:1], 1, v9
	v_cndmask_b32_e64 v12, 0, -1, vcc
	v_cmp_le_u32_e32 vcc, s46, v5
	v_addc_co_u32_e64 v17, s[0:1], 0, v13, s[0:1]
	v_cndmask_b32_e64 v5, 0, -1, vcc
	v_cmp_eq_u32_e32 vcc, s47, v7
	v_cmp_ne_u32_e64 s[0:1], 0, v11
	v_cndmask_b32_e32 v5, v12, v5, vcc
	v_cmp_ne_u32_e32 vcc, 0, v5
	v_cndmask_b32_e64 v7, v16, v14, s[0:1]
	v_cndmask_b32_e64 v11, v17, v15, s[0:1]
	v_cndmask_b32_e32 v7, v9, v7, vcc
	v_cndmask_b32_e32 v5, v13, v11, vcc
	v_xor_b32_e32 v7, v7, v3
	v_xor_b32_e32 v5, v5, v3
	v_sub_co_u32_e32 v12, vcc, v7, v3
	v_subb_co_u32_e32 v13, vcc, v5, v3, vcc
.LBB53_27:                              ;   in Loop: Header=BB53_21 Depth=2
	s_andn2_saveexec_b64 s[0:1], s[40:41]
	s_cbranch_execz .LBB53_29
; %bb.28:                               ;   in Loop: Header=BB53_21 Depth=2
	v_cvt_f32_u32_e32 v3, s62
	s_sub_i32 s40, 0, s62
	v_mov_b32_e32 v13, v2
	v_rcp_iflag_f32_e32 v3, v3
	v_mul_f32_e32 v3, 0x4f7ffffe, v3
	v_cvt_u32_f32_e32 v3, v3
	v_mul_lo_u32 v5, s40, v3
	v_mul_hi_u32 v5, v3, v5
	v_add_u32_e32 v3, v3, v5
	v_mul_hi_u32 v3, v10, v3
	v_mul_lo_u32 v5, v3, s62
	v_add_u32_e32 v7, 1, v3
	v_sub_u32_e32 v5, v10, v5
	v_subrev_u32_e32 v9, s62, v5
	v_cmp_le_u32_e32 vcc, s62, v5
	v_cndmask_b32_e32 v5, v5, v9, vcc
	v_cndmask_b32_e32 v3, v3, v7, vcc
	v_add_u32_e32 v7, 1, v3
	v_cmp_le_u32_e32 vcc, s62, v5
	v_cndmask_b32_e32 v12, v3, v7, vcc
.LBB53_29:                              ;   in Loop: Header=BB53_21 Depth=2
	s_or_b64 exec, exec, s[0:1]
	s_add_u32 s0, s4, s42
	s_addc_u32 s1, s5, s43
	s_add_i32 s40, s20, -2
	s_mov_b32 s41, s21
	s_lshl_b64 s[40:41], s[40:41], 2
	s_add_u32 s42, s48, s40
	s_addc_u32 s43, s49, s41
	s_load_dword s64, s[42:43], 0x8
	s_load_dword s65, s[38:39], 0x6c
	s_load_dword s63, s[0:1], 0x6c
                                        ; implicit-def: $vgpr14_vgpr15
	s_waitcnt lgkmcnt(0)
	s_ashr_i32 s0, s64, 31
	v_or_b32_e32 v3, s0, v13
	v_cmp_ne_u64_e32 vcc, 0, v[2:3]
	s_and_saveexec_b64 s[38:39], vcc
	s_xor_b64 s[38:39], exec, s[38:39]
	s_cbranch_execz .LBB53_31
; %bb.30:                               ;   in Loop: Header=BB53_21 Depth=2
	s_ashr_i32 s44, s0, 31
	s_add_u32 s46, s64, s44
	s_mov_b32 s45, s44
	s_addc_u32 s47, s0, s44
	s_xor_b64 s[46:47], s[46:47], s[44:45]
	v_cvt_f32_u32_e32 v3, s46
	v_cvt_f32_u32_e32 v5, s47
	s_sub_u32 s45, 0, s46
	s_subb_u32 s66, 0, s47
	v_mac_f32_e32 v3, 0x4f800000, v5
	v_rcp_f32_e32 v3, v3
	v_mul_f32_e32 v3, 0x5f7ffffc, v3
	v_mul_f32_e32 v5, 0x2f800000, v3
	v_trunc_f32_e32 v5, v5
	v_mac_f32_e32 v3, 0xcf800000, v5
	v_cvt_u32_f32_e32 v5, v5
	v_cvt_u32_f32_e32 v3, v3
	v_readfirstlane_b32 s67, v5
	v_readfirstlane_b32 s0, v3
	s_mul_i32 s1, s45, s67
	s_mul_hi_u32 s69, s45, s0
	s_mul_i32 s68, s66, s0
	s_add_i32 s1, s69, s1
	s_add_i32 s1, s1, s68
	s_mul_i32 s70, s45, s0
	s_mul_i32 s69, s0, s1
	s_mul_hi_u32 s71, s0, s70
	s_mul_hi_u32 s68, s0, s1
	s_add_u32 s69, s71, s69
	s_addc_u32 s68, 0, s68
	s_mul_hi_u32 s72, s67, s70
	s_mul_i32 s70, s67, s70
	s_add_u32 s69, s69, s70
	s_mul_hi_u32 s71, s67, s1
	s_addc_u32 s68, s68, s72
	s_addc_u32 s69, s71, 0
	s_mul_i32 s1, s67, s1
	s_add_u32 s1, s68, s1
	s_addc_u32 s68, 0, s69
	s_add_u32 s69, s0, s1
	s_cselect_b64 s[0:1], -1, 0
	s_cmp_lg_u64 s[0:1], 0
	s_addc_u32 s67, s67, s68
	s_mul_i32 s0, s45, s67
	s_mul_hi_u32 s1, s45, s69
	s_add_i32 s0, s1, s0
	s_mul_i32 s66, s66, s69
	s_add_i32 s0, s0, s66
	s_mul_i32 s45, s45, s69
	s_mul_hi_u32 s66, s67, s45
	s_mul_i32 s68, s67, s45
	s_mul_i32 s71, s69, s0
	s_mul_hi_u32 s45, s69, s45
	s_mul_hi_u32 s70, s69, s0
	s_add_u32 s45, s45, s71
	s_addc_u32 s70, 0, s70
	s_add_u32 s45, s45, s68
	s_mul_hi_u32 s1, s67, s0
	s_addc_u32 s45, s70, s66
	s_addc_u32 s1, s1, 0
	s_mul_i32 s0, s67, s0
	s_add_u32 s0, s45, s0
	s_addc_u32 s45, 0, s1
	s_add_u32 s66, s69, s0
	s_cselect_b64 s[0:1], -1, 0
	v_ashrrev_i32_e32 v3, 31, v13
	s_cmp_lg_u64 s[0:1], 0
	v_add_co_u32_e32 v5, vcc, v12, v3
	s_addc_u32 s45, s67, s45
	v_xor_b32_e32 v5, v5, v3
	v_addc_co_u32_e32 v7, vcc, v13, v3, vcc
	v_mad_u64_u32 v[13:14], s[0:1], v5, s45, 0
	v_mul_hi_u32 v9, v5, s66
	v_xor_b32_e32 v7, v7, v3
	v_mad_u64_u32 v[15:16], s[0:1], v7, s45, 0
	v_add_co_u32_e32 v9, vcc, v9, v13
	v_addc_co_u32_e32 v11, vcc, 0, v14, vcc
	v_mad_u64_u32 v[13:14], s[0:1], v7, s66, 0
	v_xor_b32_e32 v3, s44, v3
	v_add_co_u32_e32 v9, vcc, v9, v13
	v_addc_co_u32_e32 v9, vcc, v11, v14, vcc
	v_addc_co_u32_e32 v11, vcc, 0, v16, vcc
	v_add_co_u32_e32 v9, vcc, v9, v15
	v_addc_co_u32_e32 v11, vcc, 0, v11, vcc
	v_mul_lo_u32 v15, s47, v9
	v_mul_lo_u32 v16, s46, v11
	v_mad_u64_u32 v[13:14], s[0:1], s46, v9, 0
	v_add3_u32 v14, v14, v16, v15
	v_sub_u32_e32 v15, v7, v14
	v_mov_b32_e32 v16, s47
	v_sub_co_u32_e32 v5, vcc, v5, v13
	v_subb_co_u32_e64 v13, s[0:1], v15, v16, vcc
	v_subrev_co_u32_e64 v15, s[0:1], s46, v5
	v_subbrev_co_u32_e64 v13, s[0:1], 0, v13, s[0:1]
	v_cmp_le_u32_e64 s[0:1], s47, v13
	v_cndmask_b32_e64 v16, 0, -1, s[0:1]
	v_cmp_le_u32_e64 s[0:1], s46, v15
	v_cndmask_b32_e64 v15, 0, -1, s[0:1]
	v_cmp_eq_u32_e64 s[0:1], s47, v13
	v_cndmask_b32_e64 v13, v16, v15, s[0:1]
	v_add_co_u32_e64 v15, s[0:1], 2, v9
	v_subb_co_u32_e32 v7, vcc, v7, v14, vcc
	v_addc_co_u32_e64 v16, s[0:1], 0, v11, s[0:1]
	v_cmp_le_u32_e32 vcc, s47, v7
	v_add_co_u32_e64 v17, s[0:1], 1, v9
	v_cndmask_b32_e64 v14, 0, -1, vcc
	v_cmp_le_u32_e32 vcc, s46, v5
	v_addc_co_u32_e64 v20, s[0:1], 0, v11, s[0:1]
	v_cndmask_b32_e64 v5, 0, -1, vcc
	v_cmp_eq_u32_e32 vcc, s47, v7
	v_cmp_ne_u32_e64 s[0:1], 0, v13
	v_cndmask_b32_e32 v5, v14, v5, vcc
	v_cmp_ne_u32_e32 vcc, 0, v5
	v_cndmask_b32_e64 v7, v17, v15, s[0:1]
	v_cndmask_b32_e64 v13, v20, v16, s[0:1]
	v_cndmask_b32_e32 v7, v9, v7, vcc
	v_cndmask_b32_e32 v5, v11, v13, vcc
	v_xor_b32_e32 v7, v7, v3
	v_xor_b32_e32 v5, v5, v3
	v_sub_co_u32_e32 v14, vcc, v7, v3
	v_subb_co_u32_e32 v15, vcc, v5, v3, vcc
.LBB53_31:                              ;   in Loop: Header=BB53_21 Depth=2
	s_andn2_saveexec_b64 s[0:1], s[38:39]
	s_cbranch_execz .LBB53_33
; %bb.32:                               ;   in Loop: Header=BB53_21 Depth=2
	v_cvt_f32_u32_e32 v3, s64
	s_sub_i32 s38, 0, s64
	v_mov_b32_e32 v15, v2
	v_rcp_iflag_f32_e32 v3, v3
	v_mul_f32_e32 v3, 0x4f7ffffe, v3
	v_cvt_u32_f32_e32 v3, v3
	v_mul_lo_u32 v5, s38, v3
	v_mul_hi_u32 v5, v3, v5
	v_add_u32_e32 v3, v3, v5
	v_mul_hi_u32 v3, v12, v3
	v_mul_lo_u32 v5, v3, s64
	v_add_u32_e32 v7, 1, v3
	v_sub_u32_e32 v5, v12, v5
	v_subrev_u32_e32 v9, s64, v5
	v_cmp_le_u32_e32 vcc, s64, v5
	v_cndmask_b32_e32 v5, v5, v9, vcc
	v_cndmask_b32_e32 v3, v3, v7, vcc
	v_add_u32_e32 v7, 1, v3
	v_cmp_le_u32_e32 vcc, s64, v5
	v_cndmask_b32_e32 v14, v3, v7, vcc
.LBB53_33:                              ;   in Loop: Header=BB53_21 Depth=2
	s_or_b64 exec, exec, s[0:1]
	s_add_u32 s0, s4, s40
	s_addc_u32 s1, s5, s41
	s_add_i32 s38, s20, -3
	s_mov_b32 s39, s21
	s_lshl_b64 s[38:39], s[38:39], 2
	s_add_u32 s40, s48, s38
	s_addc_u32 s41, s49, s39
	s_load_dword s67, s[40:41], 0x8
	s_load_dword s68, s[42:43], 0x6c
	;; [unrolled: 1-line block ×3, first 2 shown]
                                        ; implicit-def: $vgpr16_vgpr17
	s_waitcnt lgkmcnt(0)
	s_ashr_i32 s0, s67, 31
	v_or_b32_e32 v3, s0, v15
	v_cmp_ne_u64_e32 vcc, 0, v[2:3]
	s_and_saveexec_b64 s[42:43], vcc
	s_xor_b64 s[42:43], exec, s[42:43]
	s_cbranch_execz .LBB53_35
; %bb.34:                               ;   in Loop: Header=BB53_21 Depth=2
	s_ashr_i32 s44, s0, 31
	s_add_u32 s46, s67, s44
	s_mov_b32 s45, s44
	s_addc_u32 s47, s0, s44
	s_xor_b64 s[46:47], s[46:47], s[44:45]
	v_cvt_f32_u32_e32 v3, s46
	v_cvt_f32_u32_e32 v5, s47
	s_sub_u32 s45, 0, s46
	s_subb_u32 s69, 0, s47
	v_mac_f32_e32 v3, 0x4f800000, v5
	v_rcp_f32_e32 v3, v3
	v_mul_f32_e32 v3, 0x5f7ffffc, v3
	v_mul_f32_e32 v5, 0x2f800000, v3
	v_trunc_f32_e32 v5, v5
	v_mac_f32_e32 v3, 0xcf800000, v5
	v_cvt_u32_f32_e32 v5, v5
	v_cvt_u32_f32_e32 v3, v3
	v_readfirstlane_b32 s70, v5
	v_readfirstlane_b32 s0, v3
	s_mul_i32 s1, s45, s70
	s_mul_hi_u32 s72, s45, s0
	s_mul_i32 s71, s69, s0
	s_add_i32 s1, s72, s1
	s_add_i32 s1, s1, s71
	s_mul_i32 s73, s45, s0
	s_mul_i32 s72, s0, s1
	s_mul_hi_u32 s74, s0, s73
	s_mul_hi_u32 s71, s0, s1
	s_add_u32 s72, s74, s72
	s_addc_u32 s71, 0, s71
	s_mul_hi_u32 s75, s70, s73
	s_mul_i32 s73, s70, s73
	s_add_u32 s72, s72, s73
	s_mul_hi_u32 s74, s70, s1
	s_addc_u32 s71, s71, s75
	s_addc_u32 s72, s74, 0
	s_mul_i32 s1, s70, s1
	s_add_u32 s1, s71, s1
	s_addc_u32 s71, 0, s72
	s_add_u32 s72, s0, s1
	s_cselect_b64 s[0:1], -1, 0
	s_cmp_lg_u64 s[0:1], 0
	s_addc_u32 s70, s70, s71
	s_mul_i32 s0, s45, s70
	s_mul_hi_u32 s1, s45, s72
	s_add_i32 s0, s1, s0
	s_mul_i32 s69, s69, s72
	s_add_i32 s0, s0, s69
	s_mul_i32 s45, s45, s72
	s_mul_hi_u32 s69, s70, s45
	s_mul_i32 s71, s70, s45
	s_mul_i32 s74, s72, s0
	s_mul_hi_u32 s45, s72, s45
	s_mul_hi_u32 s73, s72, s0
	s_add_u32 s45, s45, s74
	s_addc_u32 s73, 0, s73
	s_add_u32 s45, s45, s71
	s_mul_hi_u32 s1, s70, s0
	s_addc_u32 s45, s73, s69
	s_addc_u32 s1, s1, 0
	s_mul_i32 s0, s70, s0
	s_add_u32 s0, s45, s0
	s_addc_u32 s45, 0, s1
	s_add_u32 s69, s72, s0
	s_cselect_b64 s[0:1], -1, 0
	v_ashrrev_i32_e32 v3, 31, v15
	s_cmp_lg_u64 s[0:1], 0
	v_add_co_u32_e32 v5, vcc, v14, v3
	s_addc_u32 s45, s70, s45
	v_xor_b32_e32 v5, v5, v3
	v_addc_co_u32_e32 v7, vcc, v15, v3, vcc
	v_mad_u64_u32 v[15:16], s[0:1], v5, s45, 0
	v_mul_hi_u32 v9, v5, s69
	v_xor_b32_e32 v7, v7, v3
	v_mad_u64_u32 v[20:21], s[0:1], v7, s45, 0
	v_add_co_u32_e32 v9, vcc, v9, v15
	v_addc_co_u32_e32 v11, vcc, 0, v16, vcc
	v_mad_u64_u32 v[15:16], s[0:1], v7, s69, 0
	v_xor_b32_e32 v3, s44, v3
	v_add_co_u32_e32 v9, vcc, v9, v15
	v_addc_co_u32_e32 v9, vcc, v11, v16, vcc
	v_addc_co_u32_e32 v11, vcc, 0, v21, vcc
	v_add_co_u32_e32 v9, vcc, v9, v20
	v_addc_co_u32_e32 v11, vcc, 0, v11, vcc
	v_mul_lo_u32 v13, s47, v9
	v_mul_lo_u32 v17, s46, v11
	v_mad_u64_u32 v[15:16], s[0:1], s46, v9, 0
	v_add3_u32 v13, v16, v17, v13
	v_sub_u32_e32 v16, v7, v13
	v_mov_b32_e32 v17, s47
	v_sub_co_u32_e32 v5, vcc, v5, v15
	v_subb_co_u32_e64 v15, s[0:1], v16, v17, vcc
	v_subrev_co_u32_e64 v16, s[0:1], s46, v5
	v_subbrev_co_u32_e64 v15, s[0:1], 0, v15, s[0:1]
	v_cmp_le_u32_e64 s[0:1], s47, v15
	v_cndmask_b32_e64 v17, 0, -1, s[0:1]
	v_cmp_le_u32_e64 s[0:1], s46, v16
	v_cndmask_b32_e64 v16, 0, -1, s[0:1]
	v_cmp_eq_u32_e64 s[0:1], s47, v15
	v_cndmask_b32_e64 v15, v17, v16, s[0:1]
	v_add_co_u32_e64 v16, s[0:1], 2, v9
	v_subb_co_u32_e32 v7, vcc, v7, v13, vcc
	v_addc_co_u32_e64 v17, s[0:1], 0, v11, s[0:1]
	v_cmp_le_u32_e32 vcc, s47, v7
	v_add_co_u32_e64 v20, s[0:1], 1, v9
	v_cndmask_b32_e64 v13, 0, -1, vcc
	v_cmp_le_u32_e32 vcc, s46, v5
	v_addc_co_u32_e64 v21, s[0:1], 0, v11, s[0:1]
	v_cndmask_b32_e64 v5, 0, -1, vcc
	v_cmp_eq_u32_e32 vcc, s47, v7
	v_cmp_ne_u32_e64 s[0:1], 0, v15
	v_cndmask_b32_e32 v5, v13, v5, vcc
	v_cmp_ne_u32_e32 vcc, 0, v5
	v_cndmask_b32_e64 v7, v20, v16, s[0:1]
	v_cndmask_b32_e64 v15, v21, v17, s[0:1]
	v_cndmask_b32_e32 v7, v9, v7, vcc
	v_cndmask_b32_e32 v5, v11, v15, vcc
	v_xor_b32_e32 v7, v7, v3
	v_xor_b32_e32 v5, v5, v3
	v_sub_co_u32_e32 v16, vcc, v7, v3
	v_subb_co_u32_e32 v17, vcc, v5, v3, vcc
.LBB53_35:                              ;   in Loop: Header=BB53_21 Depth=2
	s_andn2_saveexec_b64 s[0:1], s[42:43]
	s_cbranch_execz .LBB53_37
; %bb.36:                               ;   in Loop: Header=BB53_21 Depth=2
	v_cvt_f32_u32_e32 v3, s67
	s_sub_i32 s42, 0, s67
	v_mov_b32_e32 v17, v2
	v_rcp_iflag_f32_e32 v3, v3
	v_mul_f32_e32 v3, 0x4f7ffffe, v3
	v_cvt_u32_f32_e32 v3, v3
	v_mul_lo_u32 v5, s42, v3
	v_mul_hi_u32 v5, v3, v5
	v_add_u32_e32 v3, v3, v5
	v_mul_hi_u32 v3, v14, v3
	v_mul_lo_u32 v5, v3, s67
	v_add_u32_e32 v7, 1, v3
	v_sub_u32_e32 v5, v14, v5
	v_subrev_u32_e32 v9, s67, v5
	v_cmp_le_u32_e32 vcc, s67, v5
	v_cndmask_b32_e32 v5, v5, v9, vcc
	v_cndmask_b32_e32 v3, v3, v7, vcc
	v_add_u32_e32 v7, 1, v3
	v_cmp_le_u32_e32 vcc, s67, v5
	v_cndmask_b32_e32 v16, v3, v7, vcc
.LBB53_37:                              ;   in Loop: Header=BB53_21 Depth=2
	s_or_b64 exec, exec, s[0:1]
	v_mul_lo_u32 v3, v10, s59
	v_mul_lo_u32 v5, v12, s62
	;; [unrolled: 1-line block ×3, first 2 shown]
	s_add_u32 s0, s4, s38
	v_sub_u32_e32 v3, v8, v3
	v_sub_u32_e32 v5, v10, v5
	v_mul_lo_u32 v7, s61, v3
	v_mul_lo_u32 v8, s65, v5
	s_addc_u32 s1, s5, s39
	s_load_dword s40, s[40:41], 0x6c
	v_mul_lo_u32 v3, s60, v3
	v_add3_u32 v6, v7, v6, v8
	v_sub_u32_e32 v7, v12, v9
	v_mul_lo_u32 v9, v16, s67
	s_load_dword s0, s[0:1], 0x6c
	v_mul_lo_u32 v5, s63, v5
	v_mul_lo_u32 v8, s68, v7
	v_sub_u32_e32 v9, v14, v9
	s_waitcnt lgkmcnt(0)
	v_mul_lo_u32 v10, s40, v9
	v_add3_u32 v3, v3, v4, v5
	v_mul_lo_u32 v4, s66, v7
	v_mul_lo_u32 v5, s0, v9
	s_add_i32 s20, s20, -4
	v_add3_u32 v6, v8, v6, v10
	s_cmp_eq_u32 s20, -1
	v_add3_u32 v4, v4, v3, v5
	s_cbranch_scc1 .LBB53_39
; %bb.38:                               ;   in Loop: Header=BB53_21 Depth=2
	v_mov_b32_e32 v8, v16
	v_mov_b32_e32 v9, v17
	s_branch .LBB53_21
.LBB53_39:                              ;   in Loop: Header=BB53_3 Depth=1
	v_sub_u32_e32 v5, v18, v19
	v_add_u32_e32 v7, 4, v5
	v_ashrrev_i32_e32 v8, 31, v7
	v_cmp_le_i64_e32 vcc, s[8:9], v[7:8]
	v_mov_b32_e32 v3, 0
	s_and_saveexec_b64 s[38:39], vcc
	s_cbranch_execz .LBB53_49
; %bb.40:                               ;   in Loop: Header=BB53_3 Depth=1
	v_cmp_gt_i32_e32 vcc, s7, v18
	v_mov_b32_e32 v3, 0
	v_mov_b32_e32 v9, 0
	;; [unrolled: 1-line block ×4, first 2 shown]
	s_and_saveexec_b64 s[0:1], vcc
	s_cbranch_execz .LBB53_48
; %bb.41:                               ;   in Loop: Header=BB53_3 Depth=1
	v_ashrrev_i32_e32 v3, 31, v6
	v_mov_b32_e32 v8, s3
	v_add_co_u32_e32 v7, vcc, s2, v6
	v_addc_co_u32_e32 v8, vcc, v8, v3, vcc
	global_load_ubyte v3, v[7:8], off
	v_add_u32_e32 v10, 1, v18
	v_mov_b32_e32 v9, 0
	v_cmp_gt_i32_e32 vcc, s7, v10
	v_mov_b32_e32 v10, 0
	v_mov_b32_e32 v11, 0
	s_and_saveexec_b64 s[40:41], vcc
	s_xor_b64 s[40:41], exec, s[40:41]
	s_cbranch_execz .LBB53_47
; %bb.42:                               ;   in Loop: Header=BB53_3 Depth=1
	v_mov_b32_e32 v9, s55
	v_add_co_u32_e32 v7, vcc, s56, v7
	v_addc_co_u32_e32 v8, vcc, v8, v9, vcc
	global_load_ubyte v9, v[7:8], off
	v_add_u32_e32 v7, 2, v18
	v_mov_b32_e32 v10, 0
	v_cmp_gt_i32_e32 vcc, s7, v7
	v_mov_b32_e32 v11, 0
	s_and_saveexec_b64 s[42:43], vcc
	s_xor_b64 s[42:43], exec, s[42:43]
	s_cbranch_execz .LBB53_46
; %bb.43:                               ;   in Loop: Header=BB53_3 Depth=1
	v_add_u32_e32 v6, s15, v6
	v_ashrrev_i32_e32 v8, 31, v6
	v_mov_b32_e32 v10, s3
	v_add_co_u32_e32 v7, vcc, s2, v6
	v_addc_co_u32_e32 v8, vcc, v10, v8, vcc
	global_load_ubyte v10, v[7:8], off
	v_add_u32_e32 v7, 3, v18
	v_mov_b32_e32 v11, 0
	v_cmp_gt_i32_e32 vcc, s7, v7
	s_and_saveexec_b64 s[44:45], vcc
	s_xor_b64 s[44:45], exec, s[44:45]
	s_cbranch_execz .LBB53_45
; %bb.44:                               ;   in Loop: Header=BB53_3 Depth=1
	v_add_u32_e32 v6, s56, v6
	v_ashrrev_i32_e32 v7, 31, v6
	v_mov_b32_e32 v8, s3
	v_add_co_u32_e32 v6, vcc, s2, v6
	v_addc_co_u32_e32 v7, vcc, v8, v7, vcc
	global_load_ubyte v11, v[6:7], off
.LBB53_45:                              ;   in Loop: Header=BB53_3 Depth=1
	s_or_b64 exec, exec, s[44:45]
.LBB53_46:                              ;   in Loop: Header=BB53_3 Depth=1
	s_or_b64 exec, exec, s[42:43]
.LBB53_47:                              ;   in Loop: Header=BB53_3 Depth=1
	s_or_b64 exec, exec, s[40:41]
.LBB53_48:                              ;   in Loop: Header=BB53_3 Depth=1
	s_or_b64 exec, exec, s[0:1]
	v_add_u32_e32 v7, 1, v5
	v_ashrrev_i32_e32 v8, 31, v7
	v_add_u32_e32 v12, 3, v5
	v_ashrrev_i32_e32 v6, 31, v5
	v_cmp_le_i64_e32 vcc, s[24:25], v[7:8]
	v_ashrrev_i32_e32 v13, 31, v12
	v_cmp_le_i64_e64 s[0:1], s[22:23], v[5:6]
	v_add_u32_e32 v14, 2, v5
	s_waitcnt vmcnt(0)
	v_cndmask_b32_sdwa v5, v2, v9, vcc dst_sel:BYTE_1 dst_unused:UNUSED_PAD src0_sel:DWORD src1_sel:DWORD
	v_cmp_le_i64_e32 vcc, s[28:29], v[12:13]
	v_ashrrev_i32_e32 v15, 31, v14
	v_cndmask_b32_e64 v3, 0, v3, s[0:1]
	v_or_b32_sdwa v3, v3, v5 dst_sel:DWORD dst_unused:UNUSED_PAD src0_sel:BYTE_0 src1_sel:DWORD
	v_cndmask_b32_sdwa v5, v2, v11, vcc dst_sel:BYTE_1 dst_unused:UNUSED_PAD src0_sel:DWORD src1_sel:DWORD
	v_cmp_le_i64_e32 vcc, s[26:27], v[14:15]
	v_cndmask_b32_e32 v6, 0, v10, vcc
	v_or_b32_sdwa v5, v6, v5 dst_sel:WORD_1 dst_unused:UNUSED_PAD src0_sel:BYTE_0 src1_sel:DWORD
	v_or_b32_sdwa v3, v3, v5 dst_sel:DWORD dst_unused:UNUSED_PAD src0_sel:WORD_0 src1_sel:DWORD
.LBB53_49:                              ;   in Loop: Header=BB53_3 Depth=1
	s_or_b64 exec, exec, s[38:39]
	v_cmp_gt_i32_e32 vcc, s7, v18
	s_and_saveexec_b64 s[0:1], vcc
	s_cbranch_execz .LBB53_2
; %bb.50:                               ;   in Loop: Header=BB53_3 Depth=1
	v_ashrrev_i32_e32 v6, 31, v4
	v_mov_b32_e32 v7, s19
	v_add_co_u32_e32 v5, vcc, s18, v4
	v_addc_co_u32_e32 v6, vcc, v7, v6, vcc
	v_add_u32_e32 v7, 1, v18
	v_cmp_gt_i32_e32 vcc, s7, v7
	global_store_byte v[5:6], v3, off
	s_and_saveexec_b64 s[38:39], vcc
	s_xor_b64 s[38:39], exec, s[38:39]
	s_cbranch_execz .LBB53_2
; %bb.51:                               ;   in Loop: Header=BB53_3 Depth=1
	v_mov_b32_e32 v8, s57
	v_add_co_u32_e32 v5, vcc, s58, v5
	v_lshrrev_b32_e32 v7, 8, v3
	v_addc_co_u32_e32 v6, vcc, v6, v8, vcc
	global_store_byte v[5:6], v7, off
	v_add_u32_e32 v5, 2, v18
	v_cmp_gt_i32_e32 vcc, s7, v5
	s_and_saveexec_b64 s[38:39], vcc
	s_xor_b64 s[38:39], exec, s[38:39]
	s_cbranch_execz .LBB53_2
; %bb.52:                               ;   in Loop: Header=BB53_3 Depth=1
	v_add_u32_e32 v4, s17, v4
	v_ashrrev_i32_e32 v6, 31, v4
	v_mov_b32_e32 v7, s19
	v_add_co_u32_e32 v5, vcc, s18, v4
	v_addc_co_u32_e32 v6, vcc, v7, v6, vcc
	global_store_byte_d16_hi v[5:6], v3, off
	v_add_u32_e32 v5, 3, v18
	v_cmp_gt_i32_e32 vcc, s7, v5
	s_and_saveexec_b64 s[38:39], vcc
	s_xor_b64 s[38:39], exec, s[38:39]
	s_cbranch_execz .LBB53_2
; %bb.53:                               ;   in Loop: Header=BB53_3 Depth=1
	v_lshrrev_b32_e32 v5, 24, v3
	v_add_u32_e32 v3, s58, v4
	v_ashrrev_i32_e32 v4, 31, v3
	v_mov_b32_e32 v6, s19
	v_add_co_u32_e32 v3, vcc, s18, v3
	v_addc_co_u32_e32 v4, vcc, v6, v4, vcc
	global_store_byte v[3:4], v5, off
	s_branch .LBB53_2
.LBB53_54:
	s_endpgm
	.section	.rodata,"a",@progbits
	.p2align	6, 0x0
	.amdhsa_kernel _ZN2at6native16triu_tril_kernelIhiLb1ELi4ELb0EEEvNS_4cuda6detail10TensorInfoIT_T0_EENS4_IKS5_S6_EEllS6_
		.amdhsa_group_segment_fixed_size 0
		.amdhsa_private_segment_fixed_size 0
		.amdhsa_kernarg_size 712
		.amdhsa_user_sgpr_count 6
		.amdhsa_user_sgpr_private_segment_buffer 1
		.amdhsa_user_sgpr_dispatch_ptr 0
		.amdhsa_user_sgpr_queue_ptr 0
		.amdhsa_user_sgpr_kernarg_segment_ptr 1
		.amdhsa_user_sgpr_dispatch_id 0
		.amdhsa_user_sgpr_flat_scratch_init 0
		.amdhsa_user_sgpr_private_segment_size 0
		.amdhsa_uses_dynamic_stack 0
		.amdhsa_system_sgpr_private_segment_wavefront_offset 0
		.amdhsa_system_sgpr_workgroup_id_x 1
		.amdhsa_system_sgpr_workgroup_id_y 0
		.amdhsa_system_sgpr_workgroup_id_z 0
		.amdhsa_system_sgpr_workgroup_info 0
		.amdhsa_system_vgpr_workitem_id 0
		.amdhsa_next_free_vgpr 22
		.amdhsa_next_free_sgpr 76
		.amdhsa_reserve_vcc 1
		.amdhsa_reserve_flat_scratch 0
		.amdhsa_float_round_mode_32 0
		.amdhsa_float_round_mode_16_64 0
		.amdhsa_float_denorm_mode_32 3
		.amdhsa_float_denorm_mode_16_64 3
		.amdhsa_dx10_clamp 1
		.amdhsa_ieee_mode 1
		.amdhsa_fp16_overflow 0
		.amdhsa_exception_fp_ieee_invalid_op 0
		.amdhsa_exception_fp_denorm_src 0
		.amdhsa_exception_fp_ieee_div_zero 0
		.amdhsa_exception_fp_ieee_overflow 0
		.amdhsa_exception_fp_ieee_underflow 0
		.amdhsa_exception_fp_ieee_inexact 0
		.amdhsa_exception_int_div_zero 0
	.end_amdhsa_kernel
	.section	.text._ZN2at6native16triu_tril_kernelIhiLb1ELi4ELb0EEEvNS_4cuda6detail10TensorInfoIT_T0_EENS4_IKS5_S6_EEllS6_,"axG",@progbits,_ZN2at6native16triu_tril_kernelIhiLb1ELi4ELb0EEEvNS_4cuda6detail10TensorInfoIT_T0_EENS4_IKS5_S6_EEllS6_,comdat
.Lfunc_end53:
	.size	_ZN2at6native16triu_tril_kernelIhiLb1ELi4ELb0EEEvNS_4cuda6detail10TensorInfoIT_T0_EENS4_IKS5_S6_EEllS6_, .Lfunc_end53-_ZN2at6native16triu_tril_kernelIhiLb1ELi4ELb0EEEvNS_4cuda6detail10TensorInfoIT_T0_EENS4_IKS5_S6_EEllS6_
                                        ; -- End function
	.set _ZN2at6native16triu_tril_kernelIhiLb1ELi4ELb0EEEvNS_4cuda6detail10TensorInfoIT_T0_EENS4_IKS5_S6_EEllS6_.num_vgpr, 22
	.set _ZN2at6native16triu_tril_kernelIhiLb1ELi4ELb0EEEvNS_4cuda6detail10TensorInfoIT_T0_EENS4_IKS5_S6_EEllS6_.num_agpr, 0
	.set _ZN2at6native16triu_tril_kernelIhiLb1ELi4ELb0EEEvNS_4cuda6detail10TensorInfoIT_T0_EENS4_IKS5_S6_EEllS6_.numbered_sgpr, 76
	.set _ZN2at6native16triu_tril_kernelIhiLb1ELi4ELb0EEEvNS_4cuda6detail10TensorInfoIT_T0_EENS4_IKS5_S6_EEllS6_.num_named_barrier, 0
	.set _ZN2at6native16triu_tril_kernelIhiLb1ELi4ELb0EEEvNS_4cuda6detail10TensorInfoIT_T0_EENS4_IKS5_S6_EEllS6_.private_seg_size, 0
	.set _ZN2at6native16triu_tril_kernelIhiLb1ELi4ELb0EEEvNS_4cuda6detail10TensorInfoIT_T0_EENS4_IKS5_S6_EEllS6_.uses_vcc, 1
	.set _ZN2at6native16triu_tril_kernelIhiLb1ELi4ELb0EEEvNS_4cuda6detail10TensorInfoIT_T0_EENS4_IKS5_S6_EEllS6_.uses_flat_scratch, 0
	.set _ZN2at6native16triu_tril_kernelIhiLb1ELi4ELb0EEEvNS_4cuda6detail10TensorInfoIT_T0_EENS4_IKS5_S6_EEllS6_.has_dyn_sized_stack, 0
	.set _ZN2at6native16triu_tril_kernelIhiLb1ELi4ELb0EEEvNS_4cuda6detail10TensorInfoIT_T0_EENS4_IKS5_S6_EEllS6_.has_recursion, 0
	.set _ZN2at6native16triu_tril_kernelIhiLb1ELi4ELb0EEEvNS_4cuda6detail10TensorInfoIT_T0_EENS4_IKS5_S6_EEllS6_.has_indirect_call, 0
	.section	.AMDGPU.csdata,"",@progbits
; Kernel info:
; codeLenInByte = 6668
; TotalNumSgprs: 80
; NumVgprs: 22
; ScratchSize: 0
; MemoryBound: 0
; FloatMode: 240
; IeeeMode: 1
; LDSByteSize: 0 bytes/workgroup (compile time only)
; SGPRBlocks: 9
; VGPRBlocks: 5
; NumSGPRsForWavesPerEU: 80
; NumVGPRsForWavesPerEU: 22
; Occupancy: 10
; WaveLimiterHint : 1
; COMPUTE_PGM_RSRC2:SCRATCH_EN: 0
; COMPUTE_PGM_RSRC2:USER_SGPR: 6
; COMPUTE_PGM_RSRC2:TRAP_HANDLER: 0
; COMPUTE_PGM_RSRC2:TGID_X_EN: 1
; COMPUTE_PGM_RSRC2:TGID_Y_EN: 0
; COMPUTE_PGM_RSRC2:TGID_Z_EN: 0
; COMPUTE_PGM_RSRC2:TIDIG_COMP_CNT: 0
	.section	.text._ZN2at6native16triu_tril_kernelIhlLb1ELi4ELb1EEEvNS_4cuda6detail10TensorInfoIT_T0_EENS4_IKS5_S6_EEllS6_,"axG",@progbits,_ZN2at6native16triu_tril_kernelIhlLb1ELi4ELb1EEEvNS_4cuda6detail10TensorInfoIT_T0_EENS4_IKS5_S6_EEllS6_,comdat
	.protected	_ZN2at6native16triu_tril_kernelIhlLb1ELi4ELb1EEEvNS_4cuda6detail10TensorInfoIT_T0_EENS4_IKS5_S6_EEllS6_ ; -- Begin function _ZN2at6native16triu_tril_kernelIhlLb1ELi4ELb1EEEvNS_4cuda6detail10TensorInfoIT_T0_EENS4_IKS5_S6_EEllS6_
	.globl	_ZN2at6native16triu_tril_kernelIhlLb1ELi4ELb1EEEvNS_4cuda6detail10TensorInfoIT_T0_EENS4_IKS5_S6_EEllS6_
	.p2align	8
	.type	_ZN2at6native16triu_tril_kernelIhlLb1ELi4ELb1EEEvNS_4cuda6detail10TensorInfoIT_T0_EENS4_IKS5_S6_EEllS6_,@function
_ZN2at6native16triu_tril_kernelIhlLb1ELi4ELb1EEEvNS_4cuda6detail10TensorInfoIT_T0_EENS4_IKS5_S6_EEllS6_: ; @_ZN2at6native16triu_tril_kernelIhlLb1ELi4ELb1EEEvNS_4cuda6detail10TensorInfoIT_T0_EENS4_IKS5_S6_EEllS6_
; %bb.0:
	s_load_dword s2, s[4:5], 0x364
	s_load_dwordx4 s[8:11], s[4:5], 0x340
	s_add_u32 s0, s4, 0x358
	v_mov_b32_e32 v2, 0
	s_addc_u32 s1, s5, 0
	s_waitcnt lgkmcnt(0)
	s_and_b32 s2, s2, 0xffff
	v_mov_b32_e32 v1, v2
	v_mov_b32_e32 v3, s6
	v_mad_u64_u32 v[0:1], s[6:7], s2, v3, v[0:1]
	v_lshlrev_b64 v[0:1], 2, v[0:1]
	v_cmp_gt_i64_e32 vcc, s[10:11], v[0:1]
	s_and_saveexec_b64 s[6:7], vcc
	s_cbranch_execz .LBB54_47
; %bb.1:
	s_load_dword s1, s[0:1], 0x0
	s_add_u32 s34, s4, 0x1a0
	s_load_dword s0, s[4:5], 0x338
	s_addc_u32 s35, s5, 0
	s_load_dwordx2 s[6:7], s[4:5], 0x350
	s_load_dwordx2 s[12:13], s[4:5], 0x0
	s_waitcnt lgkmcnt(0)
	s_mul_i32 s24, s1, s2
	s_mov_b32 s25, 0
	s_add_i32 s2, s0, -2
	s_ashr_i32 s3, s2, 31
	s_ashr_i32 s1, s0, 31
	s_lshl_b64 s[16:17], s[2:3], 3
	s_add_u32 s16, s34, s16
	s_addc_u32 s17, s35, s17
	s_lshl_b64 s[22:23], s[0:1], 3
	s_add_u32 s18, s4, s22
	s_addc_u32 s19, s5, s23
	s_add_i32 s20, s0, -3
	s_ashr_i32 s21, s20, 31
	s_add_u32 s22, s34, s22
	v_cmp_gt_i64_e64 s[14:15], s[0:1], 2
	s_addc_u32 s23, s35, s23
	s_lshl_b32 s33, s24, 2
	s_and_b32 s24, s2, 3
	s_and_b32 s0, s20, 3
	s_cmp_lg_u32 s0, 3
	s_cselect_b64 s[26:27], -1, 0
	s_cmp_gt_u32 s20, 2
	s_cselect_b64 s[28:29], -1, 0
	s_lshl_b64 s[0:1], s[20:21], 3
	s_add_u32 s2, s4, s0
	s_addc_u32 s3, s5, s1
	s_add_u32 s30, s2, 0xd0
	s_addc_u32 s31, s3, 0
	;; [unrolled: 2-line block ×3, first 2 shown]
	s_add_u32 s34, s0, 8
	s_load_dwordx2 s[16:17], s[16:17], 0x8
	s_addc_u32 s35, s1, 0
	s_add_u32 s64, s4, 0xb8
	s_addc_u32 s65, s5, 0
	s_add_u32 s66, s4, 0x190
	s_addc_u32 s67, s5, 0
	s_mov_b64 s[4:5], 0
	s_branch .LBB54_3
.LBB54_2:                               ;   in Loop: Header=BB54_3 Depth=1
	s_or_b64 exec, exec, s[36:37]
	v_add_co_u32_e32 v0, vcc, s33, v0
	v_addc_co_u32_e32 v1, vcc, 0, v1, vcc
	v_cmp_le_i64_e32 vcc, s[10:11], v[0:1]
	s_or_b64 s[4:5], vcc, s[4:5]
	s_andn2_b64 exec, exec, s[4:5]
	s_cbranch_execz .LBB54_47
.LBB54_3:                               ; =>This Loop Header: Depth=1
                                        ;     Child Loop BB54_17 Depth 2
                                        ;     Child Loop BB54_22 Depth 2
	v_or_b32_e32 v3, s7, v1
	v_cmp_ne_u64_e32 vcc, 0, v[2:3]
                                        ; implicit-def: $vgpr6_vgpr7
	s_and_saveexec_b64 s[0:1], vcc
	s_xor_b64 s[2:3], exec, s[0:1]
	s_cbranch_execz .LBB54_5
; %bb.4:                                ;   in Loop: Header=BB54_3 Depth=1
	s_ashr_i32 s36, s7, 31
	s_add_u32 s0, s6, s36
	s_mov_b32 s37, s36
	s_addc_u32 s1, s7, s36
	s_xor_b64 s[38:39], s[0:1], s[36:37]
	v_cvt_f32_u32_e32 v3, s38
	v_cvt_f32_u32_e32 v4, s39
	s_sub_u32 s37, 0, s38
	s_subb_u32 s40, 0, s39
	v_ashrrev_i32_e32 v7, 31, v1
	v_mac_f32_e32 v3, 0x4f800000, v4
	v_rcp_f32_e32 v3, v3
	v_mul_f32_e32 v3, 0x5f7ffffc, v3
	v_mul_f32_e32 v4, 0x2f800000, v3
	v_trunc_f32_e32 v4, v4
	v_mac_f32_e32 v3, 0xcf800000, v4
	v_cvt_u32_f32_e32 v4, v4
	v_cvt_u32_f32_e32 v3, v3
	v_readfirstlane_b32 s41, v4
	v_readfirstlane_b32 s0, v3
	s_mul_i32 s1, s37, s41
	s_mul_hi_u32 s43, s37, s0
	s_mul_i32 s42, s40, s0
	s_add_i32 s1, s43, s1
	s_add_i32 s1, s1, s42
	s_mul_i32 s44, s37, s0
	s_mul_i32 s43, s0, s1
	s_mul_hi_u32 s45, s0, s44
	s_mul_hi_u32 s42, s0, s1
	s_add_u32 s43, s45, s43
	s_addc_u32 s42, 0, s42
	s_mul_hi_u32 s46, s41, s44
	s_mul_i32 s44, s41, s44
	s_add_u32 s43, s43, s44
	s_mul_hi_u32 s45, s41, s1
	s_addc_u32 s42, s42, s46
	s_addc_u32 s43, s45, 0
	s_mul_i32 s1, s41, s1
	s_add_u32 s1, s42, s1
	s_addc_u32 s42, 0, s43
	s_add_u32 s43, s0, s1
	s_cselect_b64 s[0:1], -1, 0
	s_cmp_lg_u64 s[0:1], 0
	s_addc_u32 s41, s41, s42
	s_mul_i32 s0, s37, s41
	s_mul_hi_u32 s1, s37, s43
	s_add_i32 s0, s1, s0
	s_mul_i32 s40, s40, s43
	s_add_i32 s0, s0, s40
	s_mul_i32 s37, s37, s43
	s_mul_hi_u32 s40, s41, s37
	s_mul_i32 s42, s41, s37
	s_mul_i32 s45, s43, s0
	s_mul_hi_u32 s37, s43, s37
	s_mul_hi_u32 s44, s43, s0
	s_add_u32 s37, s37, s45
	s_addc_u32 s44, 0, s44
	s_add_u32 s37, s37, s42
	s_mul_hi_u32 s1, s41, s0
	s_addc_u32 s37, s44, s40
	s_addc_u32 s1, s1, 0
	s_mul_i32 s0, s41, s0
	s_add_u32 s0, s37, s0
	s_addc_u32 s37, 0, s1
	s_add_u32 s40, s43, s0
	s_cselect_b64 s[0:1], -1, 0
	s_cmp_lg_u64 s[0:1], 0
	v_add_co_u32_e32 v3, vcc, v0, v7
	s_addc_u32 s37, s41, s37
	v_xor_b32_e32 v8, v3, v7
	v_mad_u64_u32 v[3:4], s[0:1], v8, s37, 0
	v_mul_hi_u32 v6, v8, s40
	v_addc_co_u32_e32 v5, vcc, v1, v7, vcc
	v_xor_b32_e32 v9, v5, v7
	v_add_co_u32_e32 v10, vcc, v6, v3
	v_addc_co_u32_e32 v11, vcc, 0, v4, vcc
	v_mad_u64_u32 v[3:4], s[0:1], v9, s40, 0
	v_mad_u64_u32 v[5:6], s[0:1], v9, s37, 0
	v_add_co_u32_e32 v3, vcc, v10, v3
	v_addc_co_u32_e32 v3, vcc, v11, v4, vcc
	v_addc_co_u32_e32 v4, vcc, 0, v6, vcc
	v_add_co_u32_e32 v5, vcc, v3, v5
	v_addc_co_u32_e32 v6, vcc, 0, v4, vcc
	v_mul_lo_u32 v10, s39, v5
	v_mul_lo_u32 v11, s38, v6
	v_mad_u64_u32 v[3:4], s[0:1], s38, v5, 0
	v_add3_u32 v4, v4, v11, v10
	v_sub_u32_e32 v10, v9, v4
	v_mov_b32_e32 v11, s39
	v_sub_co_u32_e32 v3, vcc, v8, v3
	v_subb_co_u32_e64 v8, s[0:1], v10, v11, vcc
	v_subrev_co_u32_e64 v10, s[0:1], s38, v3
	v_subbrev_co_u32_e64 v8, s[0:1], 0, v8, s[0:1]
	v_cmp_le_u32_e64 s[0:1], s39, v8
	v_cndmask_b32_e64 v11, 0, -1, s[0:1]
	v_cmp_le_u32_e64 s[0:1], s38, v10
	v_cndmask_b32_e64 v10, 0, -1, s[0:1]
	v_cmp_eq_u32_e64 s[0:1], s39, v8
	v_cndmask_b32_e64 v8, v11, v10, s[0:1]
	v_add_co_u32_e64 v10, s[0:1], 2, v5
	v_subb_co_u32_e32 v4, vcc, v9, v4, vcc
	v_addc_co_u32_e64 v11, s[0:1], 0, v6, s[0:1]
	v_cmp_le_u32_e32 vcc, s39, v4
	v_add_co_u32_e64 v12, s[0:1], 1, v5
	v_cndmask_b32_e64 v9, 0, -1, vcc
	v_cmp_le_u32_e32 vcc, s38, v3
	v_addc_co_u32_e64 v13, s[0:1], 0, v6, s[0:1]
	v_cndmask_b32_e64 v3, 0, -1, vcc
	v_cmp_eq_u32_e32 vcc, s39, v4
	v_cmp_ne_u32_e64 s[0:1], 0, v8
	v_cndmask_b32_e32 v3, v9, v3, vcc
	v_cmp_ne_u32_e32 vcc, 0, v3
	v_cndmask_b32_e64 v4, v12, v10, s[0:1]
	v_cndmask_b32_e64 v8, v13, v11, s[0:1]
	v_cndmask_b32_e32 v4, v5, v4, vcc
	v_xor_b32_e32 v5, s36, v7
	v_cndmask_b32_e32 v3, v6, v8, vcc
	v_xor_b32_e32 v4, v4, v5
	v_xor_b32_e32 v3, v3, v5
	v_sub_co_u32_e32 v6, vcc, v4, v5
	v_subb_co_u32_e32 v7, vcc, v3, v5, vcc
.LBB54_5:                               ;   in Loop: Header=BB54_3 Depth=1
	s_andn2_saveexec_b64 s[0:1], s[2:3]
	s_cbranch_execz .LBB54_7
; %bb.6:                                ;   in Loop: Header=BB54_3 Depth=1
	v_cvt_f32_u32_e32 v3, s6
	s_sub_i32 s2, 0, s6
	v_mov_b32_e32 v7, v2
	v_rcp_iflag_f32_e32 v3, v3
	v_mul_f32_e32 v3, 0x4f7ffffe, v3
	v_cvt_u32_f32_e32 v3, v3
	v_mul_lo_u32 v4, s2, v3
	v_mul_hi_u32 v4, v3, v4
	v_add_u32_e32 v3, v3, v4
	v_mul_hi_u32 v3, v0, v3
	v_mul_lo_u32 v4, v3, s6
	v_add_u32_e32 v5, 1, v3
	v_sub_u32_e32 v4, v0, v4
	v_subrev_u32_e32 v6, s6, v4
	v_cmp_le_u32_e32 vcc, s6, v4
	v_cndmask_b32_e32 v4, v4, v6, vcc
	v_cndmask_b32_e32 v3, v3, v5, vcc
	v_add_u32_e32 v5, 1, v3
	v_cmp_le_u32_e32 vcc, s6, v4
	v_cndmask_b32_e32 v6, v3, v5, vcc
.LBB54_7:                               ;   in Loop: Header=BB54_3 Depth=1
	s_or_b64 exec, exec, s[0:1]
	s_waitcnt lgkmcnt(0)
	v_or_b32_e32 v3, s17, v7
	v_cmp_ne_u64_e32 vcc, 0, v[2:3]
                                        ; implicit-def: $vgpr8_vgpr9
	s_and_saveexec_b64 s[0:1], vcc
	s_xor_b64 s[2:3], exec, s[0:1]
	s_cbranch_execz .LBB54_9
; %bb.8:                                ;   in Loop: Header=BB54_3 Depth=1
	s_ashr_i32 s36, s17, 31
	s_add_u32 s0, s16, s36
	s_mov_b32 s37, s36
	s_addc_u32 s1, s17, s36
	s_xor_b64 s[38:39], s[0:1], s[36:37]
	v_cvt_f32_u32_e32 v3, s38
	v_cvt_f32_u32_e32 v4, s39
	s_sub_u32 s37, 0, s38
	s_subb_u32 s40, 0, s39
	v_ashrrev_i32_e32 v5, 31, v7
	v_mac_f32_e32 v3, 0x4f800000, v4
	v_rcp_f32_e32 v3, v3
	v_mul_f32_e32 v3, 0x5f7ffffc, v3
	v_mul_f32_e32 v4, 0x2f800000, v3
	v_trunc_f32_e32 v4, v4
	v_mac_f32_e32 v3, 0xcf800000, v4
	v_cvt_u32_f32_e32 v4, v4
	v_cvt_u32_f32_e32 v3, v3
	v_readfirstlane_b32 s41, v4
	v_readfirstlane_b32 s0, v3
	s_mul_i32 s1, s37, s41
	s_mul_hi_u32 s43, s37, s0
	s_mul_i32 s42, s40, s0
	s_add_i32 s1, s43, s1
	s_add_i32 s1, s1, s42
	s_mul_i32 s44, s37, s0
	s_mul_i32 s43, s0, s1
	s_mul_hi_u32 s45, s0, s44
	s_mul_hi_u32 s42, s0, s1
	s_add_u32 s43, s45, s43
	s_addc_u32 s42, 0, s42
	s_mul_hi_u32 s46, s41, s44
	s_mul_i32 s44, s41, s44
	s_add_u32 s43, s43, s44
	s_mul_hi_u32 s45, s41, s1
	s_addc_u32 s42, s42, s46
	s_addc_u32 s43, s45, 0
	s_mul_i32 s1, s41, s1
	s_add_u32 s1, s42, s1
	s_addc_u32 s42, 0, s43
	s_add_u32 s43, s0, s1
	s_cselect_b64 s[0:1], -1, 0
	s_cmp_lg_u64 s[0:1], 0
	s_addc_u32 s41, s41, s42
	s_mul_i32 s0, s37, s41
	s_mul_hi_u32 s1, s37, s43
	s_add_i32 s0, s1, s0
	s_mul_i32 s40, s40, s43
	s_add_i32 s0, s0, s40
	s_mul_i32 s37, s37, s43
	s_mul_hi_u32 s40, s41, s37
	s_mul_i32 s42, s41, s37
	s_mul_i32 s45, s43, s0
	s_mul_hi_u32 s37, s43, s37
	s_mul_hi_u32 s44, s43, s0
	s_add_u32 s37, s37, s45
	s_addc_u32 s44, 0, s44
	s_add_u32 s37, s37, s42
	s_mul_hi_u32 s1, s41, s0
	s_addc_u32 s37, s44, s40
	s_addc_u32 s1, s1, 0
	s_mul_i32 s0, s41, s0
	s_add_u32 s0, s37, s0
	s_addc_u32 s37, 0, s1
	s_add_u32 s40, s43, s0
	s_cselect_b64 s[0:1], -1, 0
	s_cmp_lg_u64 s[0:1], 0
	v_add_co_u32_e32 v3, vcc, v6, v5
	s_addc_u32 s37, s41, s37
	v_xor_b32_e32 v10, v3, v5
	v_mad_u64_u32 v[3:4], s[0:1], v10, s37, 0
	v_mul_hi_u32 v9, v10, s40
	v_addc_co_u32_e32 v8, vcc, v7, v5, vcc
	v_xor_b32_e32 v11, v8, v5
	v_add_co_u32_e32 v12, vcc, v9, v3
	v_addc_co_u32_e32 v13, vcc, 0, v4, vcc
	v_mad_u64_u32 v[3:4], s[0:1], v11, s40, 0
	v_mad_u64_u32 v[8:9], s[0:1], v11, s37, 0
	v_add_co_u32_e32 v3, vcc, v12, v3
	v_addc_co_u32_e32 v3, vcc, v13, v4, vcc
	v_addc_co_u32_e32 v4, vcc, 0, v9, vcc
	v_add_co_u32_e32 v8, vcc, v3, v8
	v_addc_co_u32_e32 v9, vcc, 0, v4, vcc
	v_mul_lo_u32 v12, s39, v8
	v_mul_lo_u32 v13, s38, v9
	v_mad_u64_u32 v[3:4], s[0:1], s38, v8, 0
	v_xor_b32_e32 v5, s36, v5
	v_add3_u32 v4, v4, v13, v12
	v_sub_u32_e32 v12, v11, v4
	v_mov_b32_e32 v13, s39
	v_sub_co_u32_e32 v3, vcc, v10, v3
	v_subb_co_u32_e64 v10, s[0:1], v12, v13, vcc
	v_subrev_co_u32_e64 v12, s[0:1], s38, v3
	v_subbrev_co_u32_e64 v10, s[0:1], 0, v10, s[0:1]
	v_cmp_le_u32_e64 s[0:1], s39, v10
	v_cndmask_b32_e64 v13, 0, -1, s[0:1]
	v_cmp_le_u32_e64 s[0:1], s38, v12
	v_cndmask_b32_e64 v12, 0, -1, s[0:1]
	v_cmp_eq_u32_e64 s[0:1], s39, v10
	v_cndmask_b32_e64 v10, v13, v12, s[0:1]
	v_add_co_u32_e64 v12, s[0:1], 2, v8
	v_subb_co_u32_e32 v4, vcc, v11, v4, vcc
	v_addc_co_u32_e64 v13, s[0:1], 0, v9, s[0:1]
	v_cmp_le_u32_e32 vcc, s39, v4
	v_add_co_u32_e64 v14, s[0:1], 1, v8
	v_cndmask_b32_e64 v11, 0, -1, vcc
	v_cmp_le_u32_e32 vcc, s38, v3
	v_addc_co_u32_e64 v15, s[0:1], 0, v9, s[0:1]
	v_cndmask_b32_e64 v3, 0, -1, vcc
	v_cmp_eq_u32_e32 vcc, s39, v4
	v_cmp_ne_u32_e64 s[0:1], 0, v10
	v_cndmask_b32_e32 v3, v11, v3, vcc
	v_cmp_ne_u32_e32 vcc, 0, v3
	v_cndmask_b32_e64 v4, v14, v12, s[0:1]
	v_cndmask_b32_e64 v10, v15, v13, s[0:1]
	v_cndmask_b32_e32 v4, v8, v4, vcc
	v_cndmask_b32_e32 v3, v9, v10, vcc
	v_xor_b32_e32 v4, v4, v5
	v_xor_b32_e32 v3, v3, v5
	v_sub_co_u32_e32 v8, vcc, v4, v5
	v_subb_co_u32_e32 v9, vcc, v3, v5, vcc
.LBB54_9:                               ;   in Loop: Header=BB54_3 Depth=1
	s_andn2_saveexec_b64 s[0:1], s[2:3]
	s_cbranch_execz .LBB54_11
; %bb.10:                               ;   in Loop: Header=BB54_3 Depth=1
	v_cvt_f32_u32_e32 v3, s16
	s_sub_i32 s2, 0, s16
	v_mov_b32_e32 v9, v2
	v_rcp_iflag_f32_e32 v3, v3
	v_mul_f32_e32 v3, 0x4f7ffffe, v3
	v_cvt_u32_f32_e32 v3, v3
	v_mul_lo_u32 v4, s2, v3
	v_mul_hi_u32 v4, v3, v4
	v_add_u32_e32 v3, v3, v4
	v_mul_hi_u32 v3, v6, v3
	v_mul_lo_u32 v4, v3, s16
	v_add_u32_e32 v5, 1, v3
	v_sub_u32_e32 v4, v6, v4
	v_subrev_u32_e32 v8, s16, v4
	v_cmp_le_u32_e32 vcc, s16, v4
	v_cndmask_b32_e32 v4, v4, v8, vcc
	v_cndmask_b32_e32 v3, v3, v5, vcc
	v_add_u32_e32 v5, 1, v3
	v_cmp_le_u32_e32 vcc, s16, v4
	v_cndmask_b32_e32 v8, v3, v5, vcc
.LBB54_11:                              ;   in Loop: Header=BB54_3 Depth=1
	s_or_b64 exec, exec, s[0:1]
	v_mul_lo_u32 v5, v7, s6
	v_mul_lo_u32 v10, v6, s7
	v_mad_u64_u32 v[3:4], s[0:1], v6, s6, 0
	v_mul_lo_u32 v12, v9, s16
	v_mul_lo_u32 v13, v8, s17
	v_add3_u32 v5, v4, v10, v5
	v_mad_u64_u32 v[10:11], s[0:1], v8, s16, 0
	v_sub_co_u32_e32 v4, vcc, v0, v3
	v_subb_co_u32_e32 v5, vcc, v1, v5, vcc
	v_add3_u32 v3, v11, v13, v12
	v_sub_co_u32_e32 v18, vcc, v6, v10
	v_subb_co_u32_e32 v19, vcc, v7, v3, vcc
	v_sub_co_u32_e32 v6, vcc, v4, v18
	v_subb_co_u32_e32 v7, vcc, v5, v19, vcc
	v_cmp_gt_i64_e32 vcc, s[8:9], v[6:7]
	s_and_saveexec_b64 s[36:37], vcc
	s_cbranch_execz .LBB54_2
; %bb.12:                               ;   in Loop: Header=BB54_3 Depth=1
	s_load_dwordx4 s[0:3], s[18:19], 0xc0
	s_andn2_b64 vcc, exec, s[14:15]
	s_waitcnt lgkmcnt(0)
	v_mul_lo_u32 v3, s3, v4
	v_mul_lo_u32 v10, s2, v5
	v_mad_u64_u32 v[6:7], s[38:39], s2, v4, 0
	v_mul_lo_u32 v11, s0, v19
	v_add3_u32 v7, v7, v10, v3
	v_mad_u64_u32 v[6:7], s[38:39], s0, v18, v[6:7]
	v_mul_lo_u32 v3, s1, v18
	v_add3_u32 v7, v3, v7, v11
	s_cbranch_vccnz .LBB54_38
; %bb.13:                               ;   in Loop: Header=BB54_3 Depth=1
	s_andn2_b64 vcc, exec, s[26:27]
	s_mov_b64 s[38:39], s[24:25]
	s_mov_b64 s[40:41], s[34:35]
	;; [unrolled: 1-line block ×4, first 2 shown]
	s_cbranch_vccz .LBB54_17
.LBB54_14:                              ;   in Loop: Header=BB54_3 Depth=1
	s_andn2_b64 vcc, exec, s[28:29]
	s_cbranch_vccnz .LBB54_38
; %bb.15:                               ;   in Loop: Header=BB54_3 Depth=1
	s_lshl_b64 s[0:1], s[42:43], 3
	s_add_u32 s38, s64, s0
	s_addc_u32 s39, s65, s1
	s_add_u32 s40, s66, s0
	s_addc_u32 s41, s67, s1
	;; [unrolled: 2-line block ×3, first 2 shown]
	s_branch .LBB54_22
.LBB54_16:                              ;   in Loop: Header=BB54_17 Depth=2
	s_or_b64 exec, exec, s[0:1]
	v_mul_lo_u32 v3, v11, s46
	v_mul_lo_u32 v14, v10, s47
	v_mad_u64_u32 v[12:13], s[0:1], v10, s46, 0
	s_load_dwordx2 s[0:1], s[44:45], 0x0
	s_add_u32 s42, s42, -1
	v_add3_u32 v3, v13, v14, v3
	v_sub_co_u32_e32 v8, vcc, v8, v12
	s_addc_u32 s43, s43, -1
	v_subb_co_u32_e32 v3, vcc, v9, v3, vcc
	s_add_u32 s44, s44, -8
	s_waitcnt lgkmcnt(0)
	v_mul_lo_u32 v3, s0, v3
	v_mul_lo_u32 v9, s1, v8
	v_mad_u64_u32 v[6:7], s[0:1], s0, v8, v[6:7]
	s_addc_u32 s45, s45, -1
	s_add_u32 s40, s40, -8
	s_addc_u32 s41, s41, -1
	s_add_u32 s38, s38, -1
	s_addc_u32 s39, s39, -1
	v_add3_u32 v7, v9, v7, v3
	v_mov_b32_e32 v8, v10
	s_cmp_lg_u64 s[38:39], 0
	v_mov_b32_e32 v9, v11
	s_cbranch_scc0 .LBB54_14
.LBB54_17:                              ;   Parent Loop BB54_3 Depth=1
                                        ; =>  This Inner Loop Header: Depth=2
	s_load_dwordx2 s[46:47], s[40:41], 0x0
                                        ; implicit-def: $vgpr10_vgpr11
	s_waitcnt lgkmcnt(0)
	v_or_b32_e32 v3, s47, v9
	v_cmp_ne_u64_e32 vcc, 0, v[2:3]
	s_and_saveexec_b64 s[0:1], vcc
	s_xor_b64 s[48:49], exec, s[0:1]
	s_cbranch_execz .LBB54_19
; %bb.18:                               ;   in Loop: Header=BB54_17 Depth=2
	s_ashr_i32 s50, s47, 31
	s_add_u32 s0, s46, s50
	s_mov_b32 s51, s50
	s_addc_u32 s1, s47, s50
	s_xor_b64 s[52:53], s[0:1], s[50:51]
	v_cvt_f32_u32_e32 v3, s52
	v_cvt_f32_u32_e32 v10, s53
	s_sub_u32 s51, 0, s52
	s_subb_u32 s54, 0, s53
	v_mac_f32_e32 v3, 0x4f800000, v10
	v_rcp_f32_e32 v3, v3
	v_mul_f32_e32 v3, 0x5f7ffffc, v3
	v_mul_f32_e32 v10, 0x2f800000, v3
	v_trunc_f32_e32 v10, v10
	v_mac_f32_e32 v3, 0xcf800000, v10
	v_cvt_u32_f32_e32 v10, v10
	v_cvt_u32_f32_e32 v3, v3
	v_readfirstlane_b32 s55, v10
	v_readfirstlane_b32 s0, v3
	s_mul_i32 s1, s51, s55
	s_mul_hi_u32 s57, s51, s0
	s_mul_i32 s56, s54, s0
	s_add_i32 s1, s57, s1
	s_add_i32 s1, s1, s56
	s_mul_i32 s58, s51, s0
	s_mul_i32 s57, s0, s1
	s_mul_hi_u32 s59, s0, s58
	s_mul_hi_u32 s56, s0, s1
	s_add_u32 s57, s59, s57
	s_addc_u32 s56, 0, s56
	s_mul_hi_u32 s60, s55, s58
	s_mul_i32 s58, s55, s58
	s_add_u32 s57, s57, s58
	s_mul_hi_u32 s59, s55, s1
	s_addc_u32 s56, s56, s60
	s_addc_u32 s57, s59, 0
	s_mul_i32 s1, s55, s1
	s_add_u32 s1, s56, s1
	s_addc_u32 s56, 0, s57
	s_add_u32 s57, s0, s1
	s_cselect_b64 s[0:1], -1, 0
	s_cmp_lg_u64 s[0:1], 0
	s_addc_u32 s55, s55, s56
	s_mul_i32 s0, s51, s55
	s_mul_hi_u32 s1, s51, s57
	s_add_i32 s0, s1, s0
	s_mul_i32 s54, s54, s57
	s_add_i32 s0, s0, s54
	s_mul_i32 s51, s51, s57
	s_mul_hi_u32 s54, s55, s51
	s_mul_i32 s56, s55, s51
	s_mul_i32 s59, s57, s0
	s_mul_hi_u32 s51, s57, s51
	s_mul_hi_u32 s58, s57, s0
	s_add_u32 s51, s51, s59
	s_addc_u32 s58, 0, s58
	s_add_u32 s51, s51, s56
	s_mul_hi_u32 s1, s55, s0
	s_addc_u32 s51, s58, s54
	s_addc_u32 s1, s1, 0
	s_mul_i32 s0, s55, s0
	s_add_u32 s0, s51, s0
	s_addc_u32 s51, 0, s1
	s_add_u32 s54, s57, s0
	s_cselect_b64 s[0:1], -1, 0
	v_ashrrev_i32_e32 v3, 31, v9
	s_cmp_lg_u64 s[0:1], 0
	v_add_co_u32_e32 v10, vcc, v8, v3
	s_addc_u32 s51, s55, s51
	v_xor_b32_e32 v14, v10, v3
	v_mad_u64_u32 v[10:11], s[0:1], v14, s51, 0
	v_mul_hi_u32 v13, v14, s54
	v_addc_co_u32_e32 v12, vcc, v9, v3, vcc
	v_xor_b32_e32 v15, v12, v3
	v_add_co_u32_e32 v16, vcc, v13, v10
	v_addc_co_u32_e32 v17, vcc, 0, v11, vcc
	v_mad_u64_u32 v[10:11], s[0:1], v15, s54, 0
	v_mad_u64_u32 v[12:13], s[0:1], v15, s51, 0
	v_add_co_u32_e32 v10, vcc, v16, v10
	v_addc_co_u32_e32 v10, vcc, v17, v11, vcc
	v_addc_co_u32_e32 v11, vcc, 0, v13, vcc
	v_add_co_u32_e32 v12, vcc, v10, v12
	v_addc_co_u32_e32 v13, vcc, 0, v11, vcc
	v_mul_lo_u32 v16, s53, v12
	v_mul_lo_u32 v17, s52, v13
	v_mad_u64_u32 v[10:11], s[0:1], s52, v12, 0
	v_xor_b32_e32 v3, s50, v3
	v_add3_u32 v11, v11, v17, v16
	v_sub_u32_e32 v16, v15, v11
	v_mov_b32_e32 v17, s53
	v_sub_co_u32_e32 v10, vcc, v14, v10
	v_subb_co_u32_e64 v14, s[0:1], v16, v17, vcc
	v_subrev_co_u32_e64 v16, s[0:1], s52, v10
	v_subbrev_co_u32_e64 v14, s[0:1], 0, v14, s[0:1]
	v_cmp_le_u32_e64 s[0:1], s53, v14
	v_cndmask_b32_e64 v17, 0, -1, s[0:1]
	v_cmp_le_u32_e64 s[0:1], s52, v16
	v_cndmask_b32_e64 v16, 0, -1, s[0:1]
	v_cmp_eq_u32_e64 s[0:1], s53, v14
	v_cndmask_b32_e64 v14, v17, v16, s[0:1]
	v_add_co_u32_e64 v16, s[0:1], 2, v12
	v_subb_co_u32_e32 v11, vcc, v15, v11, vcc
	v_addc_co_u32_e64 v17, s[0:1], 0, v13, s[0:1]
	v_cmp_le_u32_e32 vcc, s53, v11
	v_add_co_u32_e64 v20, s[0:1], 1, v12
	v_cndmask_b32_e64 v15, 0, -1, vcc
	v_cmp_le_u32_e32 vcc, s52, v10
	v_addc_co_u32_e64 v21, s[0:1], 0, v13, s[0:1]
	v_cndmask_b32_e64 v10, 0, -1, vcc
	v_cmp_eq_u32_e32 vcc, s53, v11
	v_cmp_ne_u32_e64 s[0:1], 0, v14
	v_cndmask_b32_e32 v10, v15, v10, vcc
	v_cndmask_b32_e64 v14, v21, v17, s[0:1]
	v_cmp_ne_u32_e32 vcc, 0, v10
	v_cndmask_b32_e64 v11, v20, v16, s[0:1]
	v_cndmask_b32_e32 v10, v13, v14, vcc
	v_cndmask_b32_e32 v11, v12, v11, vcc
	v_xor_b32_e32 v12, v10, v3
	v_xor_b32_e32 v10, v11, v3
	v_sub_co_u32_e32 v10, vcc, v10, v3
	v_subb_co_u32_e32 v11, vcc, v12, v3, vcc
.LBB54_19:                              ;   in Loop: Header=BB54_17 Depth=2
	s_andn2_saveexec_b64 s[0:1], s[48:49]
	s_cbranch_execz .LBB54_16
; %bb.20:                               ;   in Loop: Header=BB54_17 Depth=2
	v_cvt_f32_u32_e32 v3, s46
	s_sub_i32 s48, 0, s46
	v_rcp_iflag_f32_e32 v3, v3
	v_mul_f32_e32 v3, 0x4f7ffffe, v3
	v_cvt_u32_f32_e32 v3, v3
	v_mul_lo_u32 v10, s48, v3
	v_mul_hi_u32 v10, v3, v10
	v_add_u32_e32 v3, v3, v10
	v_mul_hi_u32 v3, v8, v3
	v_mul_lo_u32 v10, v3, s46
	v_add_u32_e32 v11, 1, v3
	v_sub_u32_e32 v10, v8, v10
	v_subrev_u32_e32 v12, s46, v10
	v_cmp_le_u32_e32 vcc, s46, v10
	v_cndmask_b32_e32 v10, v10, v12, vcc
	v_cndmask_b32_e32 v3, v3, v11, vcc
	v_add_u32_e32 v11, 1, v3
	v_cmp_le_u32_e32 vcc, s46, v10
	v_cndmask_b32_e32 v10, v3, v11, vcc
	v_mov_b32_e32 v11, v2
	s_branch .LBB54_16
.LBB54_21:                              ;   in Loop: Header=BB54_22 Depth=2
	s_or_b64 exec, exec, s[0:1]
	v_mul_lo_u32 v3, v11, s44
	v_mul_lo_u32 v22, v10, s45
	v_mad_u64_u32 v[20:21], s[0:1], v10, s44, 0
	v_add3_u32 v3, v21, v22, v3
	v_sub_co_u32_e32 v8, vcc, v8, v20
	v_subb_co_u32_e32 v3, vcc, v9, v3, vcc
	v_mul_lo_u32 v3, s48, v3
	v_mul_lo_u32 v20, s49, v8
	v_mad_u64_u32 v[6:7], s[0:1], s48, v8, v[6:7]
	v_mul_lo_u32 v21, v13, s46
	v_mul_lo_u32 v22, v12, s47
	v_mad_u64_u32 v[8:9], s[0:1], v12, s46, 0
	v_add3_u32 v7, v20, v7, v3
	v_mul_lo_u32 v20, v14, s51
	v_add3_u32 v3, v9, v22, v21
	v_sub_co_u32_e32 v8, vcc, v10, v8
	v_subb_co_u32_e32 v3, vcc, v11, v3, vcc
	v_mad_u64_u32 v[6:7], s[0:1], s52, v8, v[6:7]
	v_mul_lo_u32 v3, s52, v3
	v_mul_lo_u32 v10, s53, v8
	;; [unrolled: 1-line block ×3, first 2 shown]
	v_mad_u64_u32 v[8:9], s[0:1], v14, s50, 0
	v_add3_u32 v7, v10, v7, v3
	v_add3_u32 v3, v9, v20, v11
	v_sub_co_u32_e32 v8, vcc, v12, v8
	v_subb_co_u32_e32 v3, vcc, v13, v3, vcc
	v_mad_u64_u32 v[6:7], s[0:1], s56, v8, v[6:7]
	v_mul_lo_u32 v3, s56, v3
	v_mul_lo_u32 v10, s57, v8
	;; [unrolled: 1-line block ×4, first 2 shown]
	v_mad_u64_u32 v[8:9], s[0:1], v16, s54, 0
	s_load_dwordx2 s[0:1], s[38:39], 0x0
	v_add3_u32 v7, v10, v7, v3
	v_add3_u32 v3, v9, v12, v11
	v_sub_co_u32_e32 v8, vcc, v14, v8
	v_subb_co_u32_e32 v3, vcc, v15, v3, vcc
	s_add_u32 s38, s38, 0xffffffe0
	s_waitcnt lgkmcnt(0)
	v_mad_u64_u32 v[6:7], s[44:45], s0, v8, v[6:7]
	v_mul_lo_u32 v3, s0, v3
	v_mul_lo_u32 v8, s1, v8
	s_addc_u32 s39, s39, -1
	s_add_u32 s40, s40, 0xffffffe0
	s_addc_u32 s41, s41, -1
	s_add_u32 s42, s42, -4
	v_add3_u32 v7, v8, v7, v3
	s_addc_u32 s43, s43, -1
	v_mov_b32_e32 v8, v16
	s_cmp_eq_u64 s[42:43], 0
	v_mov_b32_e32 v9, v17
	s_cbranch_scc1 .LBB54_38
.LBB54_22:                              ;   Parent Loop BB54_3 Depth=1
                                        ; =>  This Inner Loop Header: Depth=2
	s_load_dwordx2 s[44:45], s[40:41], 0x18
                                        ; implicit-def: $vgpr10_vgpr11
	s_waitcnt lgkmcnt(0)
	v_or_b32_e32 v3, s45, v9
	v_cmp_ne_u64_e32 vcc, 0, v[2:3]
	s_and_saveexec_b64 s[0:1], vcc
	s_xor_b64 s[46:47], exec, s[0:1]
	s_cbranch_execz .LBB54_24
; %bb.23:                               ;   in Loop: Header=BB54_22 Depth=2
	s_ashr_i32 s48, s45, 31
	s_add_u32 s0, s44, s48
	s_mov_b32 s49, s48
	s_addc_u32 s1, s45, s48
	s_xor_b64 s[50:51], s[0:1], s[48:49]
	v_cvt_f32_u32_e32 v3, s50
	v_cvt_f32_u32_e32 v10, s51
	s_sub_u32 s49, 0, s50
	s_subb_u32 s52, 0, s51
	v_mac_f32_e32 v3, 0x4f800000, v10
	v_rcp_f32_e32 v3, v3
	v_mul_f32_e32 v3, 0x5f7ffffc, v3
	v_mul_f32_e32 v10, 0x2f800000, v3
	v_trunc_f32_e32 v10, v10
	v_mac_f32_e32 v3, 0xcf800000, v10
	v_cvt_u32_f32_e32 v10, v10
	v_cvt_u32_f32_e32 v3, v3
	v_readfirstlane_b32 s53, v10
	v_readfirstlane_b32 s0, v3
	s_mul_i32 s1, s49, s53
	s_mul_hi_u32 s55, s49, s0
	s_mul_i32 s54, s52, s0
	s_add_i32 s1, s55, s1
	s_add_i32 s1, s1, s54
	s_mul_i32 s56, s49, s0
	s_mul_i32 s55, s0, s1
	s_mul_hi_u32 s57, s0, s56
	s_mul_hi_u32 s54, s0, s1
	s_add_u32 s55, s57, s55
	s_addc_u32 s54, 0, s54
	s_mul_hi_u32 s58, s53, s56
	s_mul_i32 s56, s53, s56
	s_add_u32 s55, s55, s56
	s_mul_hi_u32 s57, s53, s1
	s_addc_u32 s54, s54, s58
	s_addc_u32 s55, s57, 0
	s_mul_i32 s1, s53, s1
	s_add_u32 s1, s54, s1
	s_addc_u32 s54, 0, s55
	s_add_u32 s55, s0, s1
	s_cselect_b64 s[0:1], -1, 0
	s_cmp_lg_u64 s[0:1], 0
	s_addc_u32 s53, s53, s54
	s_mul_i32 s0, s49, s53
	s_mul_hi_u32 s1, s49, s55
	s_add_i32 s0, s1, s0
	s_mul_i32 s52, s52, s55
	s_add_i32 s0, s0, s52
	s_mul_i32 s49, s49, s55
	s_mul_hi_u32 s52, s53, s49
	s_mul_i32 s54, s53, s49
	s_mul_i32 s57, s55, s0
	s_mul_hi_u32 s49, s55, s49
	s_mul_hi_u32 s56, s55, s0
	s_add_u32 s49, s49, s57
	s_addc_u32 s56, 0, s56
	s_add_u32 s49, s49, s54
	s_mul_hi_u32 s1, s53, s0
	s_addc_u32 s49, s56, s52
	s_addc_u32 s1, s1, 0
	s_mul_i32 s0, s53, s0
	s_add_u32 s0, s49, s0
	s_addc_u32 s49, 0, s1
	s_add_u32 s52, s55, s0
	s_cselect_b64 s[0:1], -1, 0
	v_ashrrev_i32_e32 v3, 31, v9
	s_cmp_lg_u64 s[0:1], 0
	v_add_co_u32_e32 v10, vcc, v8, v3
	s_addc_u32 s49, s53, s49
	v_xor_b32_e32 v14, v10, v3
	v_mad_u64_u32 v[10:11], s[0:1], v14, s49, 0
	v_mul_hi_u32 v13, v14, s52
	v_addc_co_u32_e32 v12, vcc, v9, v3, vcc
	v_xor_b32_e32 v15, v12, v3
	v_add_co_u32_e32 v16, vcc, v13, v10
	v_addc_co_u32_e32 v17, vcc, 0, v11, vcc
	v_mad_u64_u32 v[10:11], s[0:1], v15, s52, 0
	v_mad_u64_u32 v[12:13], s[0:1], v15, s49, 0
	v_add_co_u32_e32 v10, vcc, v16, v10
	v_addc_co_u32_e32 v10, vcc, v17, v11, vcc
	v_addc_co_u32_e32 v11, vcc, 0, v13, vcc
	v_add_co_u32_e32 v12, vcc, v10, v12
	v_addc_co_u32_e32 v13, vcc, 0, v11, vcc
	v_mul_lo_u32 v16, s51, v12
	v_mul_lo_u32 v17, s50, v13
	v_mad_u64_u32 v[10:11], s[0:1], s50, v12, 0
	v_xor_b32_e32 v3, s48, v3
	v_add3_u32 v11, v11, v17, v16
	v_sub_u32_e32 v16, v15, v11
	v_mov_b32_e32 v17, s51
	v_sub_co_u32_e32 v10, vcc, v14, v10
	v_subb_co_u32_e64 v14, s[0:1], v16, v17, vcc
	v_subrev_co_u32_e64 v16, s[0:1], s50, v10
	v_subbrev_co_u32_e64 v14, s[0:1], 0, v14, s[0:1]
	v_cmp_le_u32_e64 s[0:1], s51, v14
	v_cndmask_b32_e64 v17, 0, -1, s[0:1]
	v_cmp_le_u32_e64 s[0:1], s50, v16
	v_cndmask_b32_e64 v16, 0, -1, s[0:1]
	v_cmp_eq_u32_e64 s[0:1], s51, v14
	v_cndmask_b32_e64 v14, v17, v16, s[0:1]
	v_add_co_u32_e64 v16, s[0:1], 2, v12
	v_subb_co_u32_e32 v11, vcc, v15, v11, vcc
	v_addc_co_u32_e64 v17, s[0:1], 0, v13, s[0:1]
	v_cmp_le_u32_e32 vcc, s51, v11
	v_add_co_u32_e64 v20, s[0:1], 1, v12
	v_cndmask_b32_e64 v15, 0, -1, vcc
	v_cmp_le_u32_e32 vcc, s50, v10
	v_addc_co_u32_e64 v21, s[0:1], 0, v13, s[0:1]
	v_cndmask_b32_e64 v10, 0, -1, vcc
	v_cmp_eq_u32_e32 vcc, s51, v11
	v_cmp_ne_u32_e64 s[0:1], 0, v14
	v_cndmask_b32_e32 v10, v15, v10, vcc
	v_cndmask_b32_e64 v14, v21, v17, s[0:1]
	v_cmp_ne_u32_e32 vcc, 0, v10
	v_cndmask_b32_e64 v11, v20, v16, s[0:1]
	v_cndmask_b32_e32 v10, v13, v14, vcc
	v_cndmask_b32_e32 v11, v12, v11, vcc
	v_xor_b32_e32 v12, v10, v3
	v_xor_b32_e32 v10, v11, v3
	v_sub_co_u32_e32 v10, vcc, v10, v3
	v_subb_co_u32_e32 v11, vcc, v12, v3, vcc
.LBB54_24:                              ;   in Loop: Header=BB54_22 Depth=2
	s_andn2_saveexec_b64 s[0:1], s[46:47]
	s_cbranch_execz .LBB54_26
; %bb.25:                               ;   in Loop: Header=BB54_22 Depth=2
	v_cvt_f32_u32_e32 v3, s44
	s_sub_i32 s46, 0, s44
	v_rcp_iflag_f32_e32 v3, v3
	v_mul_f32_e32 v3, 0x4f7ffffe, v3
	v_cvt_u32_f32_e32 v3, v3
	v_mul_lo_u32 v10, s46, v3
	v_mul_hi_u32 v10, v3, v10
	v_add_u32_e32 v3, v3, v10
	v_mul_hi_u32 v3, v8, v3
	v_mul_lo_u32 v10, v3, s44
	v_add_u32_e32 v11, 1, v3
	v_sub_u32_e32 v10, v8, v10
	v_subrev_u32_e32 v12, s44, v10
	v_cmp_le_u32_e32 vcc, s44, v10
	v_cndmask_b32_e32 v10, v10, v12, vcc
	v_cndmask_b32_e32 v3, v3, v11, vcc
	v_add_u32_e32 v11, 1, v3
	v_cmp_le_u32_e32 vcc, s44, v10
	v_cndmask_b32_e32 v10, v3, v11, vcc
	v_mov_b32_e32 v11, v2
.LBB54_26:                              ;   in Loop: Header=BB54_22 Depth=2
	s_or_b64 exec, exec, s[0:1]
	s_load_dwordx2 s[46:47], s[40:41], 0x10
	s_load_dwordx2 s[48:49], s[38:39], 0x18
                                        ; implicit-def: $vgpr12_vgpr13
	s_waitcnt lgkmcnt(0)
	v_or_b32_e32 v3, s47, v11
	v_cmp_ne_u64_e32 vcc, 0, v[2:3]
	s_and_saveexec_b64 s[0:1], vcc
	s_xor_b64 s[50:51], exec, s[0:1]
	s_cbranch_execz .LBB54_28
; %bb.27:                               ;   in Loop: Header=BB54_22 Depth=2
	s_ashr_i32 s52, s47, 31
	s_add_u32 s0, s46, s52
	s_mov_b32 s53, s52
	s_addc_u32 s1, s47, s52
	s_xor_b64 s[54:55], s[0:1], s[52:53]
	v_cvt_f32_u32_e32 v3, s54
	v_cvt_f32_u32_e32 v12, s55
	s_sub_u32 s53, 0, s54
	s_subb_u32 s56, 0, s55
	v_mac_f32_e32 v3, 0x4f800000, v12
	v_rcp_f32_e32 v3, v3
	v_mul_f32_e32 v3, 0x5f7ffffc, v3
	v_mul_f32_e32 v12, 0x2f800000, v3
	v_trunc_f32_e32 v12, v12
	v_mac_f32_e32 v3, 0xcf800000, v12
	v_cvt_u32_f32_e32 v12, v12
	v_cvt_u32_f32_e32 v3, v3
	v_readfirstlane_b32 s57, v12
	v_readfirstlane_b32 s0, v3
	s_mul_i32 s1, s53, s57
	s_mul_hi_u32 s59, s53, s0
	s_mul_i32 s58, s56, s0
	s_add_i32 s1, s59, s1
	s_add_i32 s1, s1, s58
	s_mul_i32 s60, s53, s0
	s_mul_i32 s59, s0, s1
	s_mul_hi_u32 s61, s0, s60
	s_mul_hi_u32 s58, s0, s1
	s_add_u32 s59, s61, s59
	s_addc_u32 s58, 0, s58
	s_mul_hi_u32 s62, s57, s60
	s_mul_i32 s60, s57, s60
	s_add_u32 s59, s59, s60
	s_mul_hi_u32 s61, s57, s1
	s_addc_u32 s58, s58, s62
	s_addc_u32 s59, s61, 0
	s_mul_i32 s1, s57, s1
	s_add_u32 s1, s58, s1
	s_addc_u32 s58, 0, s59
	s_add_u32 s59, s0, s1
	s_cselect_b64 s[0:1], -1, 0
	s_cmp_lg_u64 s[0:1], 0
	s_addc_u32 s57, s57, s58
	s_mul_i32 s0, s53, s57
	s_mul_hi_u32 s1, s53, s59
	s_add_i32 s0, s1, s0
	s_mul_i32 s56, s56, s59
	s_add_i32 s0, s0, s56
	s_mul_i32 s53, s53, s59
	s_mul_hi_u32 s56, s57, s53
	s_mul_i32 s58, s57, s53
	s_mul_i32 s61, s59, s0
	s_mul_hi_u32 s53, s59, s53
	s_mul_hi_u32 s60, s59, s0
	s_add_u32 s53, s53, s61
	s_addc_u32 s60, 0, s60
	s_add_u32 s53, s53, s58
	s_mul_hi_u32 s1, s57, s0
	s_addc_u32 s53, s60, s56
	s_addc_u32 s1, s1, 0
	s_mul_i32 s0, s57, s0
	s_add_u32 s0, s53, s0
	s_addc_u32 s53, 0, s1
	s_add_u32 s56, s59, s0
	s_cselect_b64 s[0:1], -1, 0
	v_ashrrev_i32_e32 v3, 31, v11
	s_cmp_lg_u64 s[0:1], 0
	v_add_co_u32_e32 v12, vcc, v10, v3
	s_addc_u32 s53, s57, s53
	v_xor_b32_e32 v16, v12, v3
	v_mad_u64_u32 v[12:13], s[0:1], v16, s53, 0
	v_mul_hi_u32 v15, v16, s56
	v_addc_co_u32_e32 v14, vcc, v11, v3, vcc
	v_xor_b32_e32 v17, v14, v3
	v_add_co_u32_e32 v20, vcc, v15, v12
	v_addc_co_u32_e32 v21, vcc, 0, v13, vcc
	v_mad_u64_u32 v[12:13], s[0:1], v17, s56, 0
	v_mad_u64_u32 v[14:15], s[0:1], v17, s53, 0
	v_add_co_u32_e32 v12, vcc, v20, v12
	v_addc_co_u32_e32 v12, vcc, v21, v13, vcc
	v_addc_co_u32_e32 v13, vcc, 0, v15, vcc
	v_add_co_u32_e32 v14, vcc, v12, v14
	v_addc_co_u32_e32 v15, vcc, 0, v13, vcc
	v_mul_lo_u32 v20, s55, v14
	v_mul_lo_u32 v21, s54, v15
	v_mad_u64_u32 v[12:13], s[0:1], s54, v14, 0
	v_xor_b32_e32 v3, s52, v3
	v_add3_u32 v13, v13, v21, v20
	v_sub_u32_e32 v20, v17, v13
	v_mov_b32_e32 v21, s55
	v_sub_co_u32_e32 v12, vcc, v16, v12
	v_subb_co_u32_e64 v16, s[0:1], v20, v21, vcc
	v_subrev_co_u32_e64 v20, s[0:1], s54, v12
	v_subbrev_co_u32_e64 v16, s[0:1], 0, v16, s[0:1]
	v_cmp_le_u32_e64 s[0:1], s55, v16
	v_cndmask_b32_e64 v21, 0, -1, s[0:1]
	v_cmp_le_u32_e64 s[0:1], s54, v20
	v_cndmask_b32_e64 v20, 0, -1, s[0:1]
	v_cmp_eq_u32_e64 s[0:1], s55, v16
	v_cndmask_b32_e64 v16, v21, v20, s[0:1]
	v_add_co_u32_e64 v20, s[0:1], 2, v14
	v_subb_co_u32_e32 v13, vcc, v17, v13, vcc
	v_addc_co_u32_e64 v21, s[0:1], 0, v15, s[0:1]
	v_cmp_le_u32_e32 vcc, s55, v13
	v_add_co_u32_e64 v22, s[0:1], 1, v14
	v_cndmask_b32_e64 v17, 0, -1, vcc
	v_cmp_le_u32_e32 vcc, s54, v12
	v_addc_co_u32_e64 v23, s[0:1], 0, v15, s[0:1]
	v_cndmask_b32_e64 v12, 0, -1, vcc
	v_cmp_eq_u32_e32 vcc, s55, v13
	v_cmp_ne_u32_e64 s[0:1], 0, v16
	v_cndmask_b32_e32 v12, v17, v12, vcc
	v_cndmask_b32_e64 v16, v23, v21, s[0:1]
	v_cmp_ne_u32_e32 vcc, 0, v12
	v_cndmask_b32_e64 v13, v22, v20, s[0:1]
	v_cndmask_b32_e32 v12, v15, v16, vcc
	v_cndmask_b32_e32 v13, v14, v13, vcc
	v_xor_b32_e32 v14, v12, v3
	v_xor_b32_e32 v12, v13, v3
	v_sub_co_u32_e32 v12, vcc, v12, v3
	v_subb_co_u32_e32 v13, vcc, v14, v3, vcc
.LBB54_28:                              ;   in Loop: Header=BB54_22 Depth=2
	s_andn2_saveexec_b64 s[0:1], s[50:51]
	s_cbranch_execz .LBB54_30
; %bb.29:                               ;   in Loop: Header=BB54_22 Depth=2
	v_cvt_f32_u32_e32 v3, s46
	s_sub_i32 s50, 0, s46
	v_rcp_iflag_f32_e32 v3, v3
	v_mul_f32_e32 v3, 0x4f7ffffe, v3
	v_cvt_u32_f32_e32 v3, v3
	v_mul_lo_u32 v12, s50, v3
	v_mul_hi_u32 v12, v3, v12
	v_add_u32_e32 v3, v3, v12
	v_mul_hi_u32 v3, v10, v3
	v_mul_lo_u32 v12, v3, s46
	v_add_u32_e32 v13, 1, v3
	v_sub_u32_e32 v12, v10, v12
	v_subrev_u32_e32 v14, s46, v12
	v_cmp_le_u32_e32 vcc, s46, v12
	v_cndmask_b32_e32 v12, v12, v14, vcc
	v_cndmask_b32_e32 v3, v3, v13, vcc
	v_add_u32_e32 v13, 1, v3
	v_cmp_le_u32_e32 vcc, s46, v12
	v_cndmask_b32_e32 v12, v3, v13, vcc
	v_mov_b32_e32 v13, v2
.LBB54_30:                              ;   in Loop: Header=BB54_22 Depth=2
	s_or_b64 exec, exec, s[0:1]
	s_load_dwordx2 s[50:51], s[40:41], 0x8
	s_load_dwordx2 s[52:53], s[38:39], 0x10
                                        ; implicit-def: $vgpr14_vgpr15
	s_waitcnt lgkmcnt(0)
	v_or_b32_e32 v3, s51, v13
	v_cmp_ne_u64_e32 vcc, 0, v[2:3]
	s_and_saveexec_b64 s[0:1], vcc
	s_xor_b64 s[54:55], exec, s[0:1]
	s_cbranch_execz .LBB54_32
; %bb.31:                               ;   in Loop: Header=BB54_22 Depth=2
	s_ashr_i32 s56, s51, 31
	s_add_u32 s0, s50, s56
	s_mov_b32 s57, s56
	s_addc_u32 s1, s51, s56
	s_xor_b64 s[58:59], s[0:1], s[56:57]
	v_cvt_f32_u32_e32 v3, s58
	v_cvt_f32_u32_e32 v14, s59
	s_sub_u32 s57, 0, s58
	s_subb_u32 s60, 0, s59
	v_mac_f32_e32 v3, 0x4f800000, v14
	v_rcp_f32_e32 v3, v3
	v_mul_f32_e32 v3, 0x5f7ffffc, v3
	v_mul_f32_e32 v14, 0x2f800000, v3
	v_trunc_f32_e32 v14, v14
	v_mac_f32_e32 v3, 0xcf800000, v14
	v_cvt_u32_f32_e32 v14, v14
	v_cvt_u32_f32_e32 v3, v3
	v_readfirstlane_b32 s61, v14
	v_readfirstlane_b32 s0, v3
	s_mul_i32 s1, s57, s61
	s_mul_hi_u32 s63, s57, s0
	s_mul_i32 s62, s60, s0
	s_add_i32 s1, s63, s1
	s_add_i32 s1, s1, s62
	s_mul_i32 s68, s57, s0
	s_mul_i32 s63, s0, s1
	s_mul_hi_u32 s69, s0, s68
	s_mul_hi_u32 s62, s0, s1
	s_add_u32 s63, s69, s63
	s_addc_u32 s62, 0, s62
	s_mul_hi_u32 s70, s61, s68
	s_mul_i32 s68, s61, s68
	s_add_u32 s63, s63, s68
	s_mul_hi_u32 s69, s61, s1
	s_addc_u32 s62, s62, s70
	s_addc_u32 s63, s69, 0
	s_mul_i32 s1, s61, s1
	s_add_u32 s1, s62, s1
	s_addc_u32 s62, 0, s63
	s_add_u32 s63, s0, s1
	s_cselect_b64 s[0:1], -1, 0
	s_cmp_lg_u64 s[0:1], 0
	s_addc_u32 s61, s61, s62
	s_mul_i32 s0, s57, s61
	s_mul_hi_u32 s1, s57, s63
	s_add_i32 s0, s1, s0
	s_mul_i32 s60, s60, s63
	s_add_i32 s0, s0, s60
	s_mul_i32 s57, s57, s63
	s_mul_hi_u32 s60, s61, s57
	s_mul_i32 s62, s61, s57
	s_mul_i32 s69, s63, s0
	s_mul_hi_u32 s57, s63, s57
	s_mul_hi_u32 s68, s63, s0
	s_add_u32 s57, s57, s69
	s_addc_u32 s68, 0, s68
	s_add_u32 s57, s57, s62
	s_mul_hi_u32 s1, s61, s0
	s_addc_u32 s57, s68, s60
	s_addc_u32 s1, s1, 0
	s_mul_i32 s0, s61, s0
	s_add_u32 s0, s57, s0
	s_addc_u32 s57, 0, s1
	s_add_u32 s60, s63, s0
	s_cselect_b64 s[0:1], -1, 0
	v_ashrrev_i32_e32 v3, 31, v13
	s_cmp_lg_u64 s[0:1], 0
	v_add_co_u32_e32 v14, vcc, v12, v3
	s_addc_u32 s57, s61, s57
	v_xor_b32_e32 v20, v14, v3
	v_mad_u64_u32 v[14:15], s[0:1], v20, s57, 0
	v_mul_hi_u32 v17, v20, s60
	v_addc_co_u32_e32 v16, vcc, v13, v3, vcc
	v_xor_b32_e32 v21, v16, v3
	v_add_co_u32_e32 v22, vcc, v17, v14
	v_addc_co_u32_e32 v23, vcc, 0, v15, vcc
	v_mad_u64_u32 v[14:15], s[0:1], v21, s60, 0
	v_mad_u64_u32 v[16:17], s[0:1], v21, s57, 0
	v_add_co_u32_e32 v14, vcc, v22, v14
	v_addc_co_u32_e32 v14, vcc, v23, v15, vcc
	v_addc_co_u32_e32 v15, vcc, 0, v17, vcc
	v_add_co_u32_e32 v16, vcc, v14, v16
	v_addc_co_u32_e32 v17, vcc, 0, v15, vcc
	v_mul_lo_u32 v22, s59, v16
	v_mul_lo_u32 v23, s58, v17
	v_mad_u64_u32 v[14:15], s[0:1], s58, v16, 0
	v_xor_b32_e32 v3, s56, v3
	v_add3_u32 v15, v15, v23, v22
	v_sub_u32_e32 v22, v21, v15
	v_mov_b32_e32 v23, s59
	v_sub_co_u32_e32 v14, vcc, v20, v14
	v_subb_co_u32_e64 v20, s[0:1], v22, v23, vcc
	v_subrev_co_u32_e64 v22, s[0:1], s58, v14
	v_subbrev_co_u32_e64 v20, s[0:1], 0, v20, s[0:1]
	v_cmp_le_u32_e64 s[0:1], s59, v20
	v_cndmask_b32_e64 v23, 0, -1, s[0:1]
	v_cmp_le_u32_e64 s[0:1], s58, v22
	v_cndmask_b32_e64 v22, 0, -1, s[0:1]
	v_cmp_eq_u32_e64 s[0:1], s59, v20
	v_cndmask_b32_e64 v20, v23, v22, s[0:1]
	v_add_co_u32_e64 v22, s[0:1], 2, v16
	v_subb_co_u32_e32 v15, vcc, v21, v15, vcc
	v_addc_co_u32_e64 v23, s[0:1], 0, v17, s[0:1]
	v_cmp_le_u32_e32 vcc, s59, v15
	v_add_co_u32_e64 v24, s[0:1], 1, v16
	v_cndmask_b32_e64 v21, 0, -1, vcc
	v_cmp_le_u32_e32 vcc, s58, v14
	v_addc_co_u32_e64 v25, s[0:1], 0, v17, s[0:1]
	v_cndmask_b32_e64 v14, 0, -1, vcc
	v_cmp_eq_u32_e32 vcc, s59, v15
	v_cmp_ne_u32_e64 s[0:1], 0, v20
	v_cndmask_b32_e32 v14, v21, v14, vcc
	v_cndmask_b32_e64 v20, v25, v23, s[0:1]
	v_cmp_ne_u32_e32 vcc, 0, v14
	v_cndmask_b32_e64 v15, v24, v22, s[0:1]
	v_cndmask_b32_e32 v14, v17, v20, vcc
	v_cndmask_b32_e32 v15, v16, v15, vcc
	v_xor_b32_e32 v16, v14, v3
	v_xor_b32_e32 v14, v15, v3
	v_sub_co_u32_e32 v14, vcc, v14, v3
	v_subb_co_u32_e32 v15, vcc, v16, v3, vcc
.LBB54_32:                              ;   in Loop: Header=BB54_22 Depth=2
	s_andn2_saveexec_b64 s[0:1], s[54:55]
	s_cbranch_execz .LBB54_34
; %bb.33:                               ;   in Loop: Header=BB54_22 Depth=2
	v_cvt_f32_u32_e32 v3, s50
	s_sub_i32 s54, 0, s50
	v_rcp_iflag_f32_e32 v3, v3
	v_mul_f32_e32 v3, 0x4f7ffffe, v3
	v_cvt_u32_f32_e32 v3, v3
	v_mul_lo_u32 v14, s54, v3
	v_mul_hi_u32 v14, v3, v14
	v_add_u32_e32 v3, v3, v14
	v_mul_hi_u32 v3, v12, v3
	v_mul_lo_u32 v14, v3, s50
	v_add_u32_e32 v15, 1, v3
	v_sub_u32_e32 v14, v12, v14
	v_subrev_u32_e32 v16, s50, v14
	v_cmp_le_u32_e32 vcc, s50, v14
	v_cndmask_b32_e32 v14, v14, v16, vcc
	v_cndmask_b32_e32 v3, v3, v15, vcc
	v_add_u32_e32 v15, 1, v3
	v_cmp_le_u32_e32 vcc, s50, v14
	v_cndmask_b32_e32 v14, v3, v15, vcc
	v_mov_b32_e32 v15, v2
.LBB54_34:                              ;   in Loop: Header=BB54_22 Depth=2
	s_or_b64 exec, exec, s[0:1]
	s_load_dwordx2 s[54:55], s[40:41], 0x0
	s_load_dwordx2 s[56:57], s[38:39], 0x8
                                        ; implicit-def: $vgpr16_vgpr17
	s_waitcnt lgkmcnt(0)
	v_or_b32_e32 v3, s55, v15
	v_cmp_ne_u64_e32 vcc, 0, v[2:3]
	s_and_saveexec_b64 s[0:1], vcc
	s_xor_b64 s[58:59], exec, s[0:1]
	s_cbranch_execz .LBB54_36
; %bb.35:                               ;   in Loop: Header=BB54_22 Depth=2
	s_ashr_i32 s60, s55, 31
	s_add_u32 s0, s54, s60
	s_mov_b32 s61, s60
	s_addc_u32 s1, s55, s60
	s_xor_b64 s[62:63], s[0:1], s[60:61]
	v_cvt_f32_u32_e32 v3, s62
	v_cvt_f32_u32_e32 v16, s63
	s_sub_u32 s61, 0, s62
	s_subb_u32 s68, 0, s63
	v_mac_f32_e32 v3, 0x4f800000, v16
	v_rcp_f32_e32 v3, v3
	v_mul_f32_e32 v3, 0x5f7ffffc, v3
	v_mul_f32_e32 v16, 0x2f800000, v3
	v_trunc_f32_e32 v16, v16
	v_mac_f32_e32 v3, 0xcf800000, v16
	v_cvt_u32_f32_e32 v16, v16
	v_cvt_u32_f32_e32 v3, v3
	v_readfirstlane_b32 s69, v16
	v_readfirstlane_b32 s0, v3
	s_mul_i32 s1, s61, s69
	s_mul_hi_u32 s71, s61, s0
	s_mul_i32 s70, s68, s0
	s_add_i32 s1, s71, s1
	s_add_i32 s1, s1, s70
	s_mul_i32 s72, s61, s0
	s_mul_i32 s71, s0, s1
	s_mul_hi_u32 s73, s0, s72
	s_mul_hi_u32 s70, s0, s1
	s_add_u32 s71, s73, s71
	s_addc_u32 s70, 0, s70
	s_mul_hi_u32 s74, s69, s72
	s_mul_i32 s72, s69, s72
	s_add_u32 s71, s71, s72
	s_mul_hi_u32 s73, s69, s1
	s_addc_u32 s70, s70, s74
	s_addc_u32 s71, s73, 0
	s_mul_i32 s1, s69, s1
	s_add_u32 s1, s70, s1
	s_addc_u32 s70, 0, s71
	s_add_u32 s71, s0, s1
	s_cselect_b64 s[0:1], -1, 0
	s_cmp_lg_u64 s[0:1], 0
	s_addc_u32 s69, s69, s70
	s_mul_i32 s0, s61, s69
	s_mul_hi_u32 s1, s61, s71
	s_add_i32 s0, s1, s0
	s_mul_i32 s68, s68, s71
	s_add_i32 s0, s0, s68
	s_mul_i32 s61, s61, s71
	s_mul_hi_u32 s68, s69, s61
	s_mul_i32 s70, s69, s61
	s_mul_i32 s73, s71, s0
	s_mul_hi_u32 s61, s71, s61
	s_mul_hi_u32 s72, s71, s0
	s_add_u32 s61, s61, s73
	s_addc_u32 s72, 0, s72
	s_add_u32 s61, s61, s70
	s_mul_hi_u32 s1, s69, s0
	s_addc_u32 s61, s72, s68
	s_addc_u32 s1, s1, 0
	s_mul_i32 s0, s69, s0
	s_add_u32 s0, s61, s0
	s_addc_u32 s61, 0, s1
	s_add_u32 s68, s71, s0
	s_cselect_b64 s[0:1], -1, 0
	v_ashrrev_i32_e32 v3, 31, v15
	s_cmp_lg_u64 s[0:1], 0
	v_add_co_u32_e32 v16, vcc, v14, v3
	s_addc_u32 s61, s69, s61
	v_xor_b32_e32 v22, v16, v3
	v_mad_u64_u32 v[16:17], s[0:1], v22, s61, 0
	v_mul_hi_u32 v21, v22, s68
	v_addc_co_u32_e32 v20, vcc, v15, v3, vcc
	v_xor_b32_e32 v23, v20, v3
	v_add_co_u32_e32 v24, vcc, v21, v16
	v_addc_co_u32_e32 v25, vcc, 0, v17, vcc
	v_mad_u64_u32 v[16:17], s[0:1], v23, s68, 0
	v_mad_u64_u32 v[20:21], s[0:1], v23, s61, 0
	v_add_co_u32_e32 v16, vcc, v24, v16
	v_addc_co_u32_e32 v16, vcc, v25, v17, vcc
	v_addc_co_u32_e32 v17, vcc, 0, v21, vcc
	v_add_co_u32_e32 v20, vcc, v16, v20
	v_addc_co_u32_e32 v21, vcc, 0, v17, vcc
	v_mul_lo_u32 v24, s63, v20
	v_mul_lo_u32 v25, s62, v21
	v_mad_u64_u32 v[16:17], s[0:1], s62, v20, 0
	v_xor_b32_e32 v3, s60, v3
	v_add3_u32 v17, v17, v25, v24
	v_sub_u32_e32 v24, v23, v17
	v_mov_b32_e32 v25, s63
	v_sub_co_u32_e32 v16, vcc, v22, v16
	v_subb_co_u32_e64 v22, s[0:1], v24, v25, vcc
	v_subrev_co_u32_e64 v24, s[0:1], s62, v16
	v_subbrev_co_u32_e64 v22, s[0:1], 0, v22, s[0:1]
	v_cmp_le_u32_e64 s[0:1], s63, v22
	v_cndmask_b32_e64 v25, 0, -1, s[0:1]
	v_cmp_le_u32_e64 s[0:1], s62, v24
	v_cndmask_b32_e64 v24, 0, -1, s[0:1]
	v_cmp_eq_u32_e64 s[0:1], s63, v22
	v_cndmask_b32_e64 v22, v25, v24, s[0:1]
	v_add_co_u32_e64 v24, s[0:1], 2, v20
	v_subb_co_u32_e32 v17, vcc, v23, v17, vcc
	v_addc_co_u32_e64 v25, s[0:1], 0, v21, s[0:1]
	v_cmp_le_u32_e32 vcc, s63, v17
	v_add_co_u32_e64 v26, s[0:1], 1, v20
	v_cndmask_b32_e64 v23, 0, -1, vcc
	v_cmp_le_u32_e32 vcc, s62, v16
	v_addc_co_u32_e64 v27, s[0:1], 0, v21, s[0:1]
	v_cndmask_b32_e64 v16, 0, -1, vcc
	v_cmp_eq_u32_e32 vcc, s63, v17
	v_cmp_ne_u32_e64 s[0:1], 0, v22
	v_cndmask_b32_e32 v16, v23, v16, vcc
	v_cndmask_b32_e64 v22, v27, v25, s[0:1]
	v_cmp_ne_u32_e32 vcc, 0, v16
	v_cndmask_b32_e64 v17, v26, v24, s[0:1]
	v_cndmask_b32_e32 v16, v21, v22, vcc
	v_cndmask_b32_e32 v17, v20, v17, vcc
	v_xor_b32_e32 v20, v16, v3
	v_xor_b32_e32 v16, v17, v3
	v_sub_co_u32_e32 v16, vcc, v16, v3
	v_subb_co_u32_e32 v17, vcc, v20, v3, vcc
.LBB54_36:                              ;   in Loop: Header=BB54_22 Depth=2
	s_andn2_saveexec_b64 s[0:1], s[58:59]
	s_cbranch_execz .LBB54_21
; %bb.37:                               ;   in Loop: Header=BB54_22 Depth=2
	v_cvt_f32_u32_e32 v3, s54
	s_sub_i32 s58, 0, s54
	v_rcp_iflag_f32_e32 v3, v3
	v_mul_f32_e32 v3, 0x4f7ffffe, v3
	v_cvt_u32_f32_e32 v3, v3
	v_mul_lo_u32 v16, s58, v3
	v_mul_hi_u32 v16, v3, v16
	v_add_u32_e32 v3, v3, v16
	v_mul_hi_u32 v3, v14, v3
	v_mul_lo_u32 v16, v3, s54
	v_add_u32_e32 v17, 1, v3
	v_sub_u32_e32 v16, v14, v16
	v_subrev_u32_e32 v20, s54, v16
	v_cmp_le_u32_e32 vcc, s54, v16
	v_cndmask_b32_e32 v16, v16, v20, vcc
	v_cndmask_b32_e32 v3, v3, v17, vcc
	v_add_u32_e32 v17, 1, v3
	v_cmp_le_u32_e32 vcc, s54, v16
	v_cndmask_b32_e32 v16, v3, v17, vcc
	v_mov_b32_e32 v17, v2
	s_branch .LBB54_21
.LBB54_38:                              ;   in Loop: Header=BB54_3 Depth=1
	s_load_dwordx2 s[0:1], s[22:23], 0x0
	s_waitcnt lgkmcnt(0)
	v_cmp_gt_i64_e32 vcc, s[0:1], v[4:5]
	s_and_b64 exec, exec, vcc
	s_cbranch_execz .LBB54_2
; %bb.39:                               ;   in Loop: Header=BB54_3 Depth=1
	v_mov_b32_e32 v3, s13
	v_add_co_u32_e32 v6, vcc, s12, v6
	v_addc_co_u32_e32 v7, vcc, v3, v7, vcc
	v_add_co_u32_e32 v8, vcc, 1, v4
	v_addc_co_u32_e32 v9, vcc, 0, v5, vcc
	v_cmp_gt_i64_e32 vcc, s[0:1], v[8:9]
	global_store_byte v[6:7], v2, off
	s_and_b64 exec, exec, vcc
	s_cbranch_execz .LBB54_2
; %bb.40:                               ;   in Loop: Header=BB54_3 Depth=1
	v_sub_co_u32_e32 v8, vcc, v8, v18
	v_subb_co_u32_e32 v9, vcc, v9, v19, vcc
	v_cmp_gt_i64_e32 vcc, s[8:9], v[8:9]
	s_and_saveexec_b64 s[38:39], vcc
	s_cbranch_execz .LBB54_42
; %bb.41:                               ;   in Loop: Header=BB54_3 Depth=1
	v_mov_b32_e32 v3, s3
	v_add_co_u32_e32 v8, vcc, s2, v6
	v_addc_co_u32_e32 v9, vcc, v7, v3, vcc
	global_store_byte v[8:9], v2, off
.LBB54_42:                              ;   in Loop: Header=BB54_3 Depth=1
	s_or_b64 exec, exec, s[38:39]
	v_add_co_u32_e32 v8, vcc, 2, v4
	v_addc_co_u32_e32 v9, vcc, 0, v5, vcc
	v_cmp_gt_i64_e32 vcc, s[0:1], v[8:9]
	s_and_b64 exec, exec, vcc
	s_cbranch_execz .LBB54_2
; %bb.43:                               ;   in Loop: Header=BB54_3 Depth=1
	v_sub_co_u32_e32 v8, vcc, v8, v18
	v_subb_co_u32_e32 v9, vcc, v9, v19, vcc
	v_cmp_gt_i64_e32 vcc, s[8:9], v[8:9]
	s_and_saveexec_b64 s[38:39], vcc
	s_cbranch_execz .LBB54_45
; %bb.44:                               ;   in Loop: Header=BB54_3 Depth=1
	s_lshl_b64 s[40:41], s[2:3], 1
	v_mov_b32_e32 v3, s41
	v_add_co_u32_e32 v8, vcc, s40, v6
	v_addc_co_u32_e32 v9, vcc, v7, v3, vcc
	global_store_byte v[8:9], v2, off
.LBB54_45:                              ;   in Loop: Header=BB54_3 Depth=1
	s_or_b64 exec, exec, s[38:39]
	v_add_co_u32_e32 v3, vcc, 3, v4
	v_addc_co_u32_e32 v4, vcc, 0, v5, vcc
	v_cmp_gt_i64_e32 vcc, s[0:1], v[3:4]
	v_sub_co_u32_e64 v3, s[0:1], v3, v18
	v_subb_co_u32_e64 v4, s[0:1], v4, v19, s[0:1]
	v_cmp_gt_i64_e64 s[0:1], s[8:9], v[3:4]
	s_and_b64 s[0:1], vcc, s[0:1]
	s_and_b64 exec, exec, s[0:1]
	s_cbranch_execz .LBB54_2
; %bb.46:                               ;   in Loop: Header=BB54_3 Depth=1
	v_mad_u64_u32 v[3:4], s[0:1], s2, 3, v[6:7]
	v_mad_u64_u32 v[4:5], s[0:1], s3, 3, v[4:5]
	global_store_byte v[3:4], v2, off
	s_branch .LBB54_2
.LBB54_47:
	s_endpgm
	.section	.rodata,"a",@progbits
	.p2align	6, 0x0
	.amdhsa_kernel _ZN2at6native16triu_tril_kernelIhlLb1ELi4ELb1EEEvNS_4cuda6detail10TensorInfoIT_T0_EENS4_IKS5_S6_EEllS6_
		.amdhsa_group_segment_fixed_size 0
		.amdhsa_private_segment_fixed_size 0
		.amdhsa_kernarg_size 1112
		.amdhsa_user_sgpr_count 6
		.amdhsa_user_sgpr_private_segment_buffer 1
		.amdhsa_user_sgpr_dispatch_ptr 0
		.amdhsa_user_sgpr_queue_ptr 0
		.amdhsa_user_sgpr_kernarg_segment_ptr 1
		.amdhsa_user_sgpr_dispatch_id 0
		.amdhsa_user_sgpr_flat_scratch_init 0
		.amdhsa_user_sgpr_private_segment_size 0
		.amdhsa_uses_dynamic_stack 0
		.amdhsa_system_sgpr_private_segment_wavefront_offset 0
		.amdhsa_system_sgpr_workgroup_id_x 1
		.amdhsa_system_sgpr_workgroup_id_y 0
		.amdhsa_system_sgpr_workgroup_id_z 0
		.amdhsa_system_sgpr_workgroup_info 0
		.amdhsa_system_vgpr_workitem_id 0
		.amdhsa_next_free_vgpr 28
		.amdhsa_next_free_sgpr 75
		.amdhsa_reserve_vcc 1
		.amdhsa_reserve_flat_scratch 0
		.amdhsa_float_round_mode_32 0
		.amdhsa_float_round_mode_16_64 0
		.amdhsa_float_denorm_mode_32 3
		.amdhsa_float_denorm_mode_16_64 3
		.amdhsa_dx10_clamp 1
		.amdhsa_ieee_mode 1
		.amdhsa_fp16_overflow 0
		.amdhsa_exception_fp_ieee_invalid_op 0
		.amdhsa_exception_fp_denorm_src 0
		.amdhsa_exception_fp_ieee_div_zero 0
		.amdhsa_exception_fp_ieee_overflow 0
		.amdhsa_exception_fp_ieee_underflow 0
		.amdhsa_exception_fp_ieee_inexact 0
		.amdhsa_exception_int_div_zero 0
	.end_amdhsa_kernel
	.section	.text._ZN2at6native16triu_tril_kernelIhlLb1ELi4ELb1EEEvNS_4cuda6detail10TensorInfoIT_T0_EENS4_IKS5_S6_EEllS6_,"axG",@progbits,_ZN2at6native16triu_tril_kernelIhlLb1ELi4ELb1EEEvNS_4cuda6detail10TensorInfoIT_T0_EENS4_IKS5_S6_EEllS6_,comdat
.Lfunc_end54:
	.size	_ZN2at6native16triu_tril_kernelIhlLb1ELi4ELb1EEEvNS_4cuda6detail10TensorInfoIT_T0_EENS4_IKS5_S6_EEllS6_, .Lfunc_end54-_ZN2at6native16triu_tril_kernelIhlLb1ELi4ELb1EEEvNS_4cuda6detail10TensorInfoIT_T0_EENS4_IKS5_S6_EEllS6_
                                        ; -- End function
	.set _ZN2at6native16triu_tril_kernelIhlLb1ELi4ELb1EEEvNS_4cuda6detail10TensorInfoIT_T0_EENS4_IKS5_S6_EEllS6_.num_vgpr, 28
	.set _ZN2at6native16triu_tril_kernelIhlLb1ELi4ELb1EEEvNS_4cuda6detail10TensorInfoIT_T0_EENS4_IKS5_S6_EEllS6_.num_agpr, 0
	.set _ZN2at6native16triu_tril_kernelIhlLb1ELi4ELb1EEEvNS_4cuda6detail10TensorInfoIT_T0_EENS4_IKS5_S6_EEllS6_.numbered_sgpr, 75
	.set _ZN2at6native16triu_tril_kernelIhlLb1ELi4ELb1EEEvNS_4cuda6detail10TensorInfoIT_T0_EENS4_IKS5_S6_EEllS6_.num_named_barrier, 0
	.set _ZN2at6native16triu_tril_kernelIhlLb1ELi4ELb1EEEvNS_4cuda6detail10TensorInfoIT_T0_EENS4_IKS5_S6_EEllS6_.private_seg_size, 0
	.set _ZN2at6native16triu_tril_kernelIhlLb1ELi4ELb1EEEvNS_4cuda6detail10TensorInfoIT_T0_EENS4_IKS5_S6_EEllS6_.uses_vcc, 1
	.set _ZN2at6native16triu_tril_kernelIhlLb1ELi4ELb1EEEvNS_4cuda6detail10TensorInfoIT_T0_EENS4_IKS5_S6_EEllS6_.uses_flat_scratch, 0
	.set _ZN2at6native16triu_tril_kernelIhlLb1ELi4ELb1EEEvNS_4cuda6detail10TensorInfoIT_T0_EENS4_IKS5_S6_EEllS6_.has_dyn_sized_stack, 0
	.set _ZN2at6native16triu_tril_kernelIhlLb1ELi4ELb1EEEvNS_4cuda6detail10TensorInfoIT_T0_EENS4_IKS5_S6_EEllS6_.has_recursion, 0
	.set _ZN2at6native16triu_tril_kernelIhlLb1ELi4ELb1EEEvNS_4cuda6detail10TensorInfoIT_T0_EENS4_IKS5_S6_EEllS6_.has_indirect_call, 0
	.section	.AMDGPU.csdata,"",@progbits
; Kernel info:
; codeLenInByte = 6564
; TotalNumSgprs: 79
; NumVgprs: 28
; ScratchSize: 0
; MemoryBound: 0
; FloatMode: 240
; IeeeMode: 1
; LDSByteSize: 0 bytes/workgroup (compile time only)
; SGPRBlocks: 9
; VGPRBlocks: 6
; NumSGPRsForWavesPerEU: 79
; NumVGPRsForWavesPerEU: 28
; Occupancy: 9
; WaveLimiterHint : 0
; COMPUTE_PGM_RSRC2:SCRATCH_EN: 0
; COMPUTE_PGM_RSRC2:USER_SGPR: 6
; COMPUTE_PGM_RSRC2:TRAP_HANDLER: 0
; COMPUTE_PGM_RSRC2:TGID_X_EN: 1
; COMPUTE_PGM_RSRC2:TGID_Y_EN: 0
; COMPUTE_PGM_RSRC2:TGID_Z_EN: 0
; COMPUTE_PGM_RSRC2:TIDIG_COMP_CNT: 0
	.section	.text._ZN2at6native16triu_tril_kernelIhlLb1ELi4ELb0EEEvNS_4cuda6detail10TensorInfoIT_T0_EENS4_IKS5_S6_EEllS6_,"axG",@progbits,_ZN2at6native16triu_tril_kernelIhlLb1ELi4ELb0EEEvNS_4cuda6detail10TensorInfoIT_T0_EENS4_IKS5_S6_EEllS6_,comdat
	.protected	_ZN2at6native16triu_tril_kernelIhlLb1ELi4ELb0EEEvNS_4cuda6detail10TensorInfoIT_T0_EENS4_IKS5_S6_EEllS6_ ; -- Begin function _ZN2at6native16triu_tril_kernelIhlLb1ELi4ELb0EEEvNS_4cuda6detail10TensorInfoIT_T0_EENS4_IKS5_S6_EEllS6_
	.globl	_ZN2at6native16triu_tril_kernelIhlLb1ELi4ELb0EEEvNS_4cuda6detail10TensorInfoIT_T0_EENS4_IKS5_S6_EEllS6_
	.p2align	8
	.type	_ZN2at6native16triu_tril_kernelIhlLb1ELi4ELb0EEEvNS_4cuda6detail10TensorInfoIT_T0_EENS4_IKS5_S6_EEllS6_,@function
_ZN2at6native16triu_tril_kernelIhlLb1ELi4ELb0EEEvNS_4cuda6detail10TensorInfoIT_T0_EENS4_IKS5_S6_EEllS6_: ; @_ZN2at6native16triu_tril_kernelIhlLb1ELi4ELb0EEEvNS_4cuda6detail10TensorInfoIT_T0_EENS4_IKS5_S6_EEllS6_
; %bb.0:
	s_load_dword s2, s[4:5], 0x364
	s_load_dwordx4 s[8:11], s[4:5], 0x340
	s_add_u32 s0, s4, 0x358
	v_mov_b32_e32 v2, 0
	s_addc_u32 s1, s5, 0
	s_waitcnt lgkmcnt(0)
	s_and_b32 s7, s2, 0xffff
	v_mov_b32_e32 v1, v2
	v_mov_b32_e32 v3, s6
	v_mad_u64_u32 v[0:1], s[2:3], s7, v3, v[0:1]
	v_lshlrev_b64 v[0:1], 2, v[0:1]
	v_cmp_gt_i64_e32 vcc, s[10:11], v[0:1]
	s_and_saveexec_b64 s[2:3], vcc
	s_cbranch_execz .LBB55_44
; %bb.1:
	s_load_dword s6, s[0:1], 0x0
	s_load_dword s24, s[4:5], 0x338
	s_add_u32 s33, s4, 0x1a0
	s_addc_u32 s70, s5, 0
	s_load_dwordx2 s[2:3], s[4:5], 0x1a0
	s_waitcnt lgkmcnt(0)
	s_mul_i32 s30, s6, s7
	s_ashr_i32 s25, s24, 31
	s_lshl_b64 s[0:1], s[24:25], 3
	s_add_u32 s20, s33, s0
	s_addc_u32 s21, s70, s1
	s_add_u32 s22, s20, -8
	s_addc_u32 s23, s21, -1
	s_add_u32 s0, s4, s0
	v_cmp_gt_i64_e64 s[6:7], s[24:25], 2
	s_addc_u32 s1, s5, s1
	s_add_i32 s24, s24, -3
	s_ashr_i32 s25, s24, 31
	s_lshl_b32 s71, s30, 2
	s_bitcmp0_b32 s24, 0
	s_load_dwordx4 s[12:15], s[22:23], 0x0
	s_load_dwordx4 s[16:19], s[20:21], 0xc0
	s_cselect_b64 s[40:41], -1, 0
	s_load_dwordx4 s[20:23], s[0:1], 0xc0
	s_lshl_b64 s[0:1], s[24:25], 3
	s_add_u32 s42, s33, s0
	s_addc_u32 s43, s70, s1
	s_add_u32 s44, s4, s0
	s_addc_u32 s45, s5, s1
	s_load_dwordx2 s[26:27], s[4:5], 0x350
	s_load_dwordx2 s[28:29], s[4:5], 0x0
	s_add_u32 s46, s24, -1
	s_addc_u32 s47, s25, -1
	s_cmp_lg_u32 s24, 0
	s_cselect_b64 s[48:49], -1, 0
	s_add_u32 s72, s4, 0xc8
	s_mov_b32 s30, s8
	s_mov_b32 s31, s9
	s_mov_b32 s34, s8
	s_mov_b32 s35, s9
	s_mov_b32 s36, s8
	s_mov_b32 s37, s9
	s_mov_b32 s38, s8
	s_mov_b32 s39, s9
	s_addc_u32 s73, s5, 0
	s_mov_b64 s[4:5], 0
	s_branch .LBB55_3
.LBB55_2:                               ;   in Loop: Header=BB55_3 Depth=1
	s_or_b64 exec, exec, s[0:1]
	v_add_co_u32_e32 v0, vcc, s71, v0
	v_addc_co_u32_e32 v1, vcc, 0, v1, vcc
	v_cmp_le_i64_e32 vcc, s[10:11], v[0:1]
	s_or_b64 s[4:5], vcc, s[4:5]
	s_andn2_b64 exec, exec, s[4:5]
	s_cbranch_execz .LBB55_44
.LBB55_3:                               ; =>This Loop Header: Depth=1
                                        ;     Child Loop BB55_21 Depth 2
	s_waitcnt lgkmcnt(0)
	v_or_b32_e32 v3, s27, v1
	v_cmp_ne_u64_e32 vcc, 0, v[2:3]
                                        ; implicit-def: $vgpr6_vgpr7
	s_and_saveexec_b64 s[0:1], vcc
	s_xor_b64 s[50:51], exec, s[0:1]
	s_cbranch_execz .LBB55_5
; %bb.4:                                ;   in Loop: Header=BB55_3 Depth=1
	s_ashr_i32 s52, s27, 31
	s_add_u32 s0, s26, s52
	s_mov_b32 s53, s52
	s_addc_u32 s1, s27, s52
	s_xor_b64 s[54:55], s[0:1], s[52:53]
	v_cvt_f32_u32_e32 v3, s54
	v_cvt_f32_u32_e32 v4, s55
	s_sub_u32 s53, 0, s54
	s_subb_u32 s56, 0, s55
	v_ashrrev_i32_e32 v7, 31, v1
	v_mac_f32_e32 v3, 0x4f800000, v4
	v_rcp_f32_e32 v3, v3
	v_mul_f32_e32 v3, 0x5f7ffffc, v3
	v_mul_f32_e32 v4, 0x2f800000, v3
	v_trunc_f32_e32 v4, v4
	v_mac_f32_e32 v3, 0xcf800000, v4
	v_cvt_u32_f32_e32 v4, v4
	v_cvt_u32_f32_e32 v3, v3
	v_readfirstlane_b32 s57, v4
	v_readfirstlane_b32 s0, v3
	s_mul_i32 s1, s53, s57
	s_mul_hi_u32 s59, s53, s0
	s_mul_i32 s58, s56, s0
	s_add_i32 s1, s59, s1
	s_add_i32 s1, s1, s58
	s_mul_i32 s60, s53, s0
	s_mul_i32 s59, s0, s1
	s_mul_hi_u32 s61, s0, s60
	s_mul_hi_u32 s58, s0, s1
	s_add_u32 s59, s61, s59
	s_addc_u32 s58, 0, s58
	s_mul_hi_u32 s62, s57, s60
	s_mul_i32 s60, s57, s60
	s_add_u32 s59, s59, s60
	s_mul_hi_u32 s61, s57, s1
	s_addc_u32 s58, s58, s62
	s_addc_u32 s59, s61, 0
	s_mul_i32 s1, s57, s1
	s_add_u32 s1, s58, s1
	s_addc_u32 s58, 0, s59
	s_add_u32 s59, s0, s1
	s_cselect_b64 s[0:1], -1, 0
	s_cmp_lg_u64 s[0:1], 0
	s_addc_u32 s57, s57, s58
	s_mul_i32 s0, s53, s57
	s_mul_hi_u32 s1, s53, s59
	s_add_i32 s0, s1, s0
	s_mul_i32 s56, s56, s59
	s_add_i32 s0, s0, s56
	s_mul_i32 s53, s53, s59
	s_mul_hi_u32 s56, s57, s53
	s_mul_i32 s58, s57, s53
	s_mul_i32 s61, s59, s0
	s_mul_hi_u32 s53, s59, s53
	s_mul_hi_u32 s60, s59, s0
	s_add_u32 s53, s53, s61
	s_addc_u32 s60, 0, s60
	s_add_u32 s53, s53, s58
	s_mul_hi_u32 s1, s57, s0
	s_addc_u32 s53, s60, s56
	s_addc_u32 s1, s1, 0
	s_mul_i32 s0, s57, s0
	s_add_u32 s0, s53, s0
	s_addc_u32 s53, 0, s1
	s_add_u32 s56, s59, s0
	s_cselect_b64 s[0:1], -1, 0
	s_cmp_lg_u64 s[0:1], 0
	v_add_co_u32_e32 v3, vcc, v0, v7
	s_addc_u32 s53, s57, s53
	v_xor_b32_e32 v8, v3, v7
	v_mad_u64_u32 v[3:4], s[0:1], v8, s53, 0
	v_mul_hi_u32 v6, v8, s56
	v_addc_co_u32_e32 v5, vcc, v1, v7, vcc
	v_xor_b32_e32 v9, v5, v7
	v_add_co_u32_e32 v10, vcc, v6, v3
	v_addc_co_u32_e32 v11, vcc, 0, v4, vcc
	v_mad_u64_u32 v[3:4], s[0:1], v9, s56, 0
	v_mad_u64_u32 v[5:6], s[0:1], v9, s53, 0
	v_add_co_u32_e32 v3, vcc, v10, v3
	v_addc_co_u32_e32 v3, vcc, v11, v4, vcc
	v_addc_co_u32_e32 v4, vcc, 0, v6, vcc
	v_add_co_u32_e32 v5, vcc, v3, v5
	v_addc_co_u32_e32 v6, vcc, 0, v4, vcc
	v_mul_lo_u32 v10, s55, v5
	v_mul_lo_u32 v11, s54, v6
	v_mad_u64_u32 v[3:4], s[0:1], s54, v5, 0
	v_add3_u32 v4, v4, v11, v10
	v_sub_u32_e32 v10, v9, v4
	v_mov_b32_e32 v11, s55
	v_sub_co_u32_e32 v3, vcc, v8, v3
	v_subb_co_u32_e64 v8, s[0:1], v10, v11, vcc
	v_subrev_co_u32_e64 v10, s[0:1], s54, v3
	v_subbrev_co_u32_e64 v8, s[0:1], 0, v8, s[0:1]
	v_cmp_le_u32_e64 s[0:1], s55, v8
	v_cndmask_b32_e64 v11, 0, -1, s[0:1]
	v_cmp_le_u32_e64 s[0:1], s54, v10
	v_cndmask_b32_e64 v10, 0, -1, s[0:1]
	v_cmp_eq_u32_e64 s[0:1], s55, v8
	v_cndmask_b32_e64 v8, v11, v10, s[0:1]
	v_add_co_u32_e64 v10, s[0:1], 2, v5
	v_subb_co_u32_e32 v4, vcc, v9, v4, vcc
	v_addc_co_u32_e64 v11, s[0:1], 0, v6, s[0:1]
	v_cmp_le_u32_e32 vcc, s55, v4
	v_add_co_u32_e64 v12, s[0:1], 1, v5
	v_cndmask_b32_e64 v9, 0, -1, vcc
	v_cmp_le_u32_e32 vcc, s54, v3
	v_addc_co_u32_e64 v13, s[0:1], 0, v6, s[0:1]
	v_cndmask_b32_e64 v3, 0, -1, vcc
	v_cmp_eq_u32_e32 vcc, s55, v4
	v_cmp_ne_u32_e64 s[0:1], 0, v8
	v_cndmask_b32_e32 v3, v9, v3, vcc
	v_cmp_ne_u32_e32 vcc, 0, v3
	v_cndmask_b32_e64 v4, v12, v10, s[0:1]
	v_cndmask_b32_e64 v8, v13, v11, s[0:1]
	v_cndmask_b32_e32 v4, v5, v4, vcc
	v_xor_b32_e32 v5, s52, v7
	v_cndmask_b32_e32 v3, v6, v8, vcc
	v_xor_b32_e32 v4, v4, v5
	v_xor_b32_e32 v3, v3, v5
	v_sub_co_u32_e32 v6, vcc, v4, v5
	v_subb_co_u32_e32 v7, vcc, v3, v5, vcc
.LBB55_5:                               ;   in Loop: Header=BB55_3 Depth=1
	s_andn2_saveexec_b64 s[0:1], s[50:51]
	s_cbranch_execz .LBB55_7
; %bb.6:                                ;   in Loop: Header=BB55_3 Depth=1
	v_cvt_f32_u32_e32 v3, s26
	s_sub_i32 s50, 0, s26
	v_mov_b32_e32 v7, v2
	v_rcp_iflag_f32_e32 v3, v3
	v_mul_f32_e32 v3, 0x4f7ffffe, v3
	v_cvt_u32_f32_e32 v3, v3
	v_mul_lo_u32 v4, s50, v3
	v_mul_hi_u32 v4, v3, v4
	v_add_u32_e32 v3, v3, v4
	v_mul_hi_u32 v3, v0, v3
	v_mul_lo_u32 v4, v3, s26
	v_add_u32_e32 v5, 1, v3
	v_sub_u32_e32 v4, v0, v4
	v_subrev_u32_e32 v6, s26, v4
	v_cmp_le_u32_e32 vcc, s26, v4
	v_cndmask_b32_e32 v4, v4, v6, vcc
	v_cndmask_b32_e32 v3, v3, v5, vcc
	v_add_u32_e32 v5, 1, v3
	v_cmp_le_u32_e32 vcc, s26, v4
	v_cndmask_b32_e32 v6, v3, v5, vcc
.LBB55_7:                               ;   in Loop: Header=BB55_3 Depth=1
	s_or_b64 exec, exec, s[0:1]
	v_or_b32_e32 v3, s13, v7
	v_cmp_ne_u64_e32 vcc, 0, v[2:3]
                                        ; implicit-def: $vgpr10_vgpr11
	s_and_saveexec_b64 s[0:1], vcc
	s_xor_b64 s[50:51], exec, s[0:1]
	s_cbranch_execz .LBB55_9
; %bb.8:                                ;   in Loop: Header=BB55_3 Depth=1
	s_ashr_i32 s52, s13, 31
	s_add_u32 s0, s12, s52
	s_mov_b32 s53, s52
	s_addc_u32 s1, s13, s52
	s_xor_b64 s[54:55], s[0:1], s[52:53]
	v_cvt_f32_u32_e32 v3, s54
	v_cvt_f32_u32_e32 v4, s55
	s_sub_u32 s53, 0, s54
	s_subb_u32 s56, 0, s55
	v_ashrrev_i32_e32 v5, 31, v7
	v_mac_f32_e32 v3, 0x4f800000, v4
	v_rcp_f32_e32 v3, v3
	v_mul_f32_e32 v3, 0x5f7ffffc, v3
	v_mul_f32_e32 v4, 0x2f800000, v3
	v_trunc_f32_e32 v4, v4
	v_mac_f32_e32 v3, 0xcf800000, v4
	v_cvt_u32_f32_e32 v4, v4
	v_cvt_u32_f32_e32 v3, v3
	v_readfirstlane_b32 s57, v4
	v_readfirstlane_b32 s0, v3
	s_mul_i32 s1, s53, s57
	s_mul_hi_u32 s59, s53, s0
	s_mul_i32 s58, s56, s0
	s_add_i32 s1, s59, s1
	s_add_i32 s1, s1, s58
	s_mul_i32 s60, s53, s0
	s_mul_i32 s59, s0, s1
	s_mul_hi_u32 s61, s0, s60
	s_mul_hi_u32 s58, s0, s1
	s_add_u32 s59, s61, s59
	s_addc_u32 s58, 0, s58
	s_mul_hi_u32 s62, s57, s60
	s_mul_i32 s60, s57, s60
	s_add_u32 s59, s59, s60
	s_mul_hi_u32 s61, s57, s1
	s_addc_u32 s58, s58, s62
	s_addc_u32 s59, s61, 0
	s_mul_i32 s1, s57, s1
	s_add_u32 s1, s58, s1
	s_addc_u32 s58, 0, s59
	s_add_u32 s59, s0, s1
	s_cselect_b64 s[0:1], -1, 0
	s_cmp_lg_u64 s[0:1], 0
	s_addc_u32 s57, s57, s58
	s_mul_i32 s0, s53, s57
	s_mul_hi_u32 s1, s53, s59
	s_add_i32 s0, s1, s0
	s_mul_i32 s56, s56, s59
	s_add_i32 s0, s0, s56
	s_mul_i32 s53, s53, s59
	s_mul_hi_u32 s56, s57, s53
	s_mul_i32 s58, s57, s53
	s_mul_i32 s61, s59, s0
	s_mul_hi_u32 s53, s59, s53
	s_mul_hi_u32 s60, s59, s0
	s_add_u32 s53, s53, s61
	s_addc_u32 s60, 0, s60
	s_add_u32 s53, s53, s58
	s_mul_hi_u32 s1, s57, s0
	s_addc_u32 s53, s60, s56
	s_addc_u32 s1, s1, 0
	s_mul_i32 s0, s57, s0
	s_add_u32 s0, s53, s0
	s_addc_u32 s53, 0, s1
	s_add_u32 s56, s59, s0
	s_cselect_b64 s[0:1], -1, 0
	s_cmp_lg_u64 s[0:1], 0
	v_add_co_u32_e32 v3, vcc, v6, v5
	s_addc_u32 s53, s57, s53
	v_xor_b32_e32 v10, v3, v5
	v_mad_u64_u32 v[3:4], s[0:1], v10, s53, 0
	v_mul_hi_u32 v9, v10, s56
	v_addc_co_u32_e32 v8, vcc, v7, v5, vcc
	v_xor_b32_e32 v11, v8, v5
	v_add_co_u32_e32 v12, vcc, v9, v3
	v_addc_co_u32_e32 v13, vcc, 0, v4, vcc
	v_mad_u64_u32 v[3:4], s[0:1], v11, s56, 0
	v_mad_u64_u32 v[8:9], s[0:1], v11, s53, 0
	v_add_co_u32_e32 v3, vcc, v12, v3
	v_addc_co_u32_e32 v3, vcc, v13, v4, vcc
	v_addc_co_u32_e32 v4, vcc, 0, v9, vcc
	v_add_co_u32_e32 v8, vcc, v3, v8
	v_addc_co_u32_e32 v9, vcc, 0, v4, vcc
	v_mul_lo_u32 v12, s55, v8
	v_mul_lo_u32 v13, s54, v9
	v_mad_u64_u32 v[3:4], s[0:1], s54, v8, 0
	v_xor_b32_e32 v5, s52, v5
	v_add3_u32 v4, v4, v13, v12
	v_sub_u32_e32 v12, v11, v4
	v_mov_b32_e32 v13, s55
	v_sub_co_u32_e32 v3, vcc, v10, v3
	v_subb_co_u32_e64 v10, s[0:1], v12, v13, vcc
	v_subrev_co_u32_e64 v12, s[0:1], s54, v3
	v_subbrev_co_u32_e64 v10, s[0:1], 0, v10, s[0:1]
	v_cmp_le_u32_e64 s[0:1], s55, v10
	v_cndmask_b32_e64 v13, 0, -1, s[0:1]
	v_cmp_le_u32_e64 s[0:1], s54, v12
	v_cndmask_b32_e64 v12, 0, -1, s[0:1]
	v_cmp_eq_u32_e64 s[0:1], s55, v10
	v_cndmask_b32_e64 v10, v13, v12, s[0:1]
	v_add_co_u32_e64 v12, s[0:1], 2, v8
	v_subb_co_u32_e32 v4, vcc, v11, v4, vcc
	v_addc_co_u32_e64 v13, s[0:1], 0, v9, s[0:1]
	v_cmp_le_u32_e32 vcc, s55, v4
	v_add_co_u32_e64 v14, s[0:1], 1, v8
	v_cndmask_b32_e64 v11, 0, -1, vcc
	v_cmp_le_u32_e32 vcc, s54, v3
	v_addc_co_u32_e64 v15, s[0:1], 0, v9, s[0:1]
	v_cndmask_b32_e64 v3, 0, -1, vcc
	v_cmp_eq_u32_e32 vcc, s55, v4
	v_cmp_ne_u32_e64 s[0:1], 0, v10
	v_cndmask_b32_e32 v3, v11, v3, vcc
	v_cmp_ne_u32_e32 vcc, 0, v3
	v_cndmask_b32_e64 v4, v14, v12, s[0:1]
	v_cndmask_b32_e64 v10, v15, v13, s[0:1]
	v_cndmask_b32_e32 v4, v8, v4, vcc
	v_cndmask_b32_e32 v3, v9, v10, vcc
	v_xor_b32_e32 v4, v4, v5
	v_xor_b32_e32 v3, v3, v5
	v_sub_co_u32_e32 v10, vcc, v4, v5
	v_subb_co_u32_e32 v11, vcc, v3, v5, vcc
.LBB55_9:                               ;   in Loop: Header=BB55_3 Depth=1
	s_andn2_saveexec_b64 s[0:1], s[50:51]
	s_cbranch_execz .LBB55_11
; %bb.10:                               ;   in Loop: Header=BB55_3 Depth=1
	v_cvt_f32_u32_e32 v3, s12
	s_sub_i32 s50, 0, s12
	v_mov_b32_e32 v11, v2
	v_rcp_iflag_f32_e32 v3, v3
	v_mul_f32_e32 v3, 0x4f7ffffe, v3
	v_cvt_u32_f32_e32 v3, v3
	v_mul_lo_u32 v4, s50, v3
	v_mul_hi_u32 v4, v3, v4
	v_add_u32_e32 v3, v3, v4
	v_mul_hi_u32 v3, v6, v3
	v_mul_lo_u32 v4, v3, s12
	v_add_u32_e32 v5, 1, v3
	v_sub_u32_e32 v4, v6, v4
	v_subrev_u32_e32 v8, s12, v4
	v_cmp_le_u32_e32 vcc, s12, v4
	v_cndmask_b32_e32 v4, v4, v8, vcc
	v_cndmask_b32_e32 v3, v3, v5, vcc
	v_add_u32_e32 v5, 1, v3
	v_cmp_le_u32_e32 vcc, s12, v4
	v_cndmask_b32_e32 v10, v3, v5, vcc
.LBB55_11:                              ;   in Loop: Header=BB55_3 Depth=1
	s_or_b64 exec, exec, s[0:1]
	v_mul_lo_u32 v5, v7, s26
	v_mul_lo_u32 v8, v6, s27
	v_mad_u64_u32 v[3:4], s[0:1], v6, s26, 0
	v_mul_lo_u32 v12, v11, s12
	v_mul_lo_u32 v13, v10, s13
	v_add3_u32 v5, v4, v8, v5
	v_mad_u64_u32 v[8:9], s[0:1], v10, s12, 0
	v_sub_co_u32_e32 v4, vcc, v0, v3
	v_subb_co_u32_e32 v5, vcc, v1, v5, vcc
	v_add3_u32 v3, v9, v13, v12
	v_mul_lo_u32 v9, s19, v4
	v_mul_lo_u32 v14, s18, v5
	v_mad_u64_u32 v[12:13], s[0:1], s18, v4, 0
	v_sub_co_u32_e32 v16, vcc, v6, v8
	v_subb_co_u32_e32 v17, vcc, v7, v3, vcc
	v_add3_u32 v13, v13, v14, v9
	v_mul_lo_u32 v3, s23, v4
	v_mul_lo_u32 v14, s22, v5
	v_mad_u64_u32 v[6:7], s[0:1], s22, v4, 0
	v_mad_u64_u32 v[8:9], s[0:1], s16, v16, v[12:13]
	v_mul_lo_u32 v12, s16, v17
	v_mul_lo_u32 v13, s17, v16
	v_add3_u32 v7, v7, v14, v3
	v_mad_u64_u32 v[6:7], s[0:1], s20, v16, v[6:7]
	v_add3_u32 v9, v13, v9, v12
	v_mul_lo_u32 v3, s20, v17
	v_mul_lo_u32 v12, s21, v16
	s_andn2_b64 vcc, exec, s[6:7]
	v_add3_u32 v7, v12, v7, v3
	s_cbranch_vccnz .LBB55_29
; %bb.12:                               ;   in Loop: Header=BB55_3 Depth=1
	s_andn2_b64 vcc, exec, s[40:41]
	s_cbranch_vccnz .LBB55_18
; %bb.13:                               ;   in Loop: Header=BB55_3 Depth=1
	s_load_dwordx2 s[50:51], s[42:43], 0x8
                                        ; implicit-def: $vgpr12_vgpr13
	s_waitcnt lgkmcnt(0)
	v_or_b32_e32 v3, s51, v11
	v_cmp_ne_u64_e32 vcc, 0, v[2:3]
	s_and_saveexec_b64 s[0:1], vcc
	s_xor_b64 s[52:53], exec, s[0:1]
	s_cbranch_execz .LBB55_15
; %bb.14:                               ;   in Loop: Header=BB55_3 Depth=1
	s_ashr_i32 s54, s51, 31
	s_add_u32 s0, s50, s54
	s_mov_b32 s55, s54
	s_addc_u32 s1, s51, s54
	s_xor_b64 s[56:57], s[0:1], s[54:55]
	v_cvt_f32_u32_e32 v3, s56
	v_cvt_f32_u32_e32 v12, s57
	s_sub_u32 s55, 0, s56
	s_subb_u32 s58, 0, s57
	v_mac_f32_e32 v3, 0x4f800000, v12
	v_rcp_f32_e32 v3, v3
	v_mul_f32_e32 v3, 0x5f7ffffc, v3
	v_mul_f32_e32 v12, 0x2f800000, v3
	v_trunc_f32_e32 v12, v12
	v_mac_f32_e32 v3, 0xcf800000, v12
	v_cvt_u32_f32_e32 v12, v12
	v_cvt_u32_f32_e32 v3, v3
	v_readfirstlane_b32 s59, v12
	v_readfirstlane_b32 s0, v3
	s_mul_i32 s1, s55, s59
	s_mul_hi_u32 s61, s55, s0
	s_mul_i32 s60, s58, s0
	s_add_i32 s1, s61, s1
	s_add_i32 s1, s1, s60
	s_mul_i32 s62, s55, s0
	s_mul_i32 s61, s0, s1
	s_mul_hi_u32 s63, s0, s62
	s_mul_hi_u32 s60, s0, s1
	s_add_u32 s61, s63, s61
	s_addc_u32 s60, 0, s60
	s_mul_hi_u32 s64, s59, s62
	s_mul_i32 s62, s59, s62
	s_add_u32 s61, s61, s62
	s_mul_hi_u32 s63, s59, s1
	s_addc_u32 s60, s60, s64
	s_addc_u32 s61, s63, 0
	s_mul_i32 s1, s59, s1
	s_add_u32 s1, s60, s1
	s_addc_u32 s60, 0, s61
	s_add_u32 s61, s0, s1
	s_cselect_b64 s[0:1], -1, 0
	s_cmp_lg_u64 s[0:1], 0
	s_addc_u32 s59, s59, s60
	s_mul_i32 s0, s55, s59
	s_mul_hi_u32 s1, s55, s61
	s_add_i32 s0, s1, s0
	s_mul_i32 s58, s58, s61
	s_add_i32 s0, s0, s58
	s_mul_i32 s55, s55, s61
	s_mul_hi_u32 s58, s59, s55
	s_mul_i32 s60, s59, s55
	s_mul_i32 s63, s61, s0
	s_mul_hi_u32 s55, s61, s55
	s_mul_hi_u32 s62, s61, s0
	s_add_u32 s55, s55, s63
	s_addc_u32 s62, 0, s62
	s_add_u32 s55, s55, s60
	s_mul_hi_u32 s1, s59, s0
	s_addc_u32 s55, s62, s58
	s_addc_u32 s1, s1, 0
	s_mul_i32 s0, s59, s0
	s_add_u32 s0, s55, s0
	s_addc_u32 s55, 0, s1
	s_add_u32 s58, s61, s0
	s_cselect_b64 s[0:1], -1, 0
	v_ashrrev_i32_e32 v3, 31, v11
	s_cmp_lg_u64 s[0:1], 0
	v_add_co_u32_e32 v12, vcc, v10, v3
	s_addc_u32 s55, s59, s55
	v_xor_b32_e32 v18, v12, v3
	v_mad_u64_u32 v[12:13], s[0:1], v18, s55, 0
	v_mul_hi_u32 v15, v18, s58
	v_addc_co_u32_e32 v14, vcc, v11, v3, vcc
	v_xor_b32_e32 v19, v14, v3
	v_add_co_u32_e32 v20, vcc, v15, v12
	v_addc_co_u32_e32 v21, vcc, 0, v13, vcc
	v_mad_u64_u32 v[12:13], s[0:1], v19, s58, 0
	v_mad_u64_u32 v[14:15], s[0:1], v19, s55, 0
	v_add_co_u32_e32 v12, vcc, v20, v12
	v_addc_co_u32_e32 v12, vcc, v21, v13, vcc
	v_addc_co_u32_e32 v13, vcc, 0, v15, vcc
	v_add_co_u32_e32 v14, vcc, v12, v14
	v_addc_co_u32_e32 v15, vcc, 0, v13, vcc
	v_mul_lo_u32 v20, s57, v14
	v_mul_lo_u32 v21, s56, v15
	v_mad_u64_u32 v[12:13], s[0:1], s56, v14, 0
	v_xor_b32_e32 v3, s54, v3
	v_add3_u32 v13, v13, v21, v20
	v_sub_u32_e32 v20, v19, v13
	v_mov_b32_e32 v21, s57
	v_sub_co_u32_e32 v12, vcc, v18, v12
	v_subb_co_u32_e64 v18, s[0:1], v20, v21, vcc
	v_subrev_co_u32_e64 v20, s[0:1], s56, v12
	v_subbrev_co_u32_e64 v18, s[0:1], 0, v18, s[0:1]
	v_cmp_le_u32_e64 s[0:1], s57, v18
	v_cndmask_b32_e64 v21, 0, -1, s[0:1]
	v_cmp_le_u32_e64 s[0:1], s56, v20
	v_cndmask_b32_e64 v20, 0, -1, s[0:1]
	v_cmp_eq_u32_e64 s[0:1], s57, v18
	v_cndmask_b32_e64 v18, v21, v20, s[0:1]
	v_add_co_u32_e64 v20, s[0:1], 2, v14
	v_subb_co_u32_e32 v13, vcc, v19, v13, vcc
	v_addc_co_u32_e64 v21, s[0:1], 0, v15, s[0:1]
	v_cmp_le_u32_e32 vcc, s57, v13
	v_add_co_u32_e64 v22, s[0:1], 1, v14
	v_cndmask_b32_e64 v19, 0, -1, vcc
	v_cmp_le_u32_e32 vcc, s56, v12
	v_addc_co_u32_e64 v23, s[0:1], 0, v15, s[0:1]
	v_cndmask_b32_e64 v12, 0, -1, vcc
	v_cmp_eq_u32_e32 vcc, s57, v13
	v_cmp_ne_u32_e64 s[0:1], 0, v18
	v_cndmask_b32_e32 v12, v19, v12, vcc
	v_cndmask_b32_e64 v18, v23, v21, s[0:1]
	v_cmp_ne_u32_e32 vcc, 0, v12
	v_cndmask_b32_e64 v13, v22, v20, s[0:1]
	v_cndmask_b32_e32 v12, v15, v18, vcc
	v_cndmask_b32_e32 v13, v14, v13, vcc
	v_xor_b32_e32 v14, v12, v3
	v_xor_b32_e32 v12, v13, v3
	v_sub_co_u32_e32 v12, vcc, v12, v3
	v_subb_co_u32_e32 v13, vcc, v14, v3, vcc
.LBB55_15:                              ;   in Loop: Header=BB55_3 Depth=1
	s_andn2_saveexec_b64 s[0:1], s[52:53]
	s_cbranch_execz .LBB55_17
; %bb.16:                               ;   in Loop: Header=BB55_3 Depth=1
	v_cvt_f32_u32_e32 v3, s50
	s_sub_i32 s52, 0, s50
	v_rcp_iflag_f32_e32 v3, v3
	v_mul_f32_e32 v3, 0x4f7ffffe, v3
	v_cvt_u32_f32_e32 v3, v3
	v_mul_lo_u32 v12, s52, v3
	v_mul_hi_u32 v12, v3, v12
	v_add_u32_e32 v3, v3, v12
	v_mul_hi_u32 v3, v10, v3
	v_mul_lo_u32 v12, v3, s50
	v_add_u32_e32 v13, 1, v3
	v_sub_u32_e32 v12, v10, v12
	v_subrev_u32_e32 v14, s50, v12
	v_cmp_le_u32_e32 vcc, s50, v12
	v_cndmask_b32_e32 v12, v12, v14, vcc
	v_cndmask_b32_e32 v3, v3, v13, vcc
	v_add_u32_e32 v13, 1, v3
	v_cmp_le_u32_e32 vcc, s50, v12
	v_cndmask_b32_e32 v12, v3, v13, vcc
	v_mov_b32_e32 v13, v2
.LBB55_17:                              ;   in Loop: Header=BB55_3 Depth=1
	s_or_b64 exec, exec, s[0:1]
	v_mul_lo_u32 v3, v13, s50
	v_mul_lo_u32 v18, v12, s51
	v_mad_u64_u32 v[14:15], s[0:1], v12, s50, 0
	s_load_dwordx2 s[0:1], s[42:43], 0xd0
	s_load_dwordx2 s[50:51], s[44:45], 0xd0
	v_add3_u32 v3, v15, v18, v3
	v_sub_co_u32_e32 v10, vcc, v10, v14
	v_subb_co_u32_e32 v3, vcc, v11, v3, vcc
	s_waitcnt lgkmcnt(0)
	v_mul_lo_u32 v11, s0, v3
	v_mul_lo_u32 v14, s1, v10
	v_mad_u64_u32 v[8:9], s[0:1], s0, v10, v[8:9]
	v_mul_lo_u32 v3, s50, v3
	v_mul_lo_u32 v15, s51, v10
	v_mad_u64_u32 v[6:7], s[0:1], s50, v10, v[6:7]
	v_add3_u32 v9, v14, v9, v11
	v_mov_b32_e32 v10, v12
	v_add3_u32 v7, v15, v7, v3
	v_mov_b32_e32 v11, v13
	s_mov_b64 s[0:1], s[46:47]
	s_andn2_b64 vcc, exec, s[48:49]
	s_cbranch_vccz .LBB55_19
	s_branch .LBB55_29
.LBB55_18:                              ;   in Loop: Header=BB55_3 Depth=1
	s_mov_b64 s[0:1], s[24:25]
	s_andn2_b64 vcc, exec, s[48:49]
	s_cbranch_vccnz .LBB55_29
.LBB55_19:                              ;   in Loop: Header=BB55_3 Depth=1
	s_lshl_b64 s[52:53], s[0:1], 3
	s_add_u32 s50, s72, s52
	s_addc_u32 s51, s73, s53
	s_add_u32 s52, s33, s52
	s_addc_u32 s53, s70, s53
	;; [unrolled: 2-line block ×3, first 2 shown]
	s_branch .LBB55_21
.LBB55_20:                              ;   in Loop: Header=BB55_21 Depth=2
	s_or_b64 exec, exec, s[0:1]
	v_mul_lo_u32 v3, v13, s56
	v_mul_lo_u32 v20, v12, s57
	v_mad_u64_u32 v[18:19], s[0:1], v12, s56, 0
	v_mul_lo_u32 v21, v15, s58
	v_mul_lo_u32 v22, v14, s59
	v_add3_u32 v3, v19, v20, v3
	v_sub_co_u32_e32 v10, vcc, v10, v18
	v_subb_co_u32_e32 v3, vcc, v11, v3, vcc
	v_mul_lo_u32 v18, s62, v3
	v_mul_lo_u32 v19, s63, v10
	v_mad_u64_u32 v[8:9], s[0:1], s62, v10, v[8:9]
	v_mul_lo_u32 v3, s60, v3
	v_mul_lo_u32 v20, s61, v10
	v_mad_u64_u32 v[6:7], s[0:1], s60, v10, v[6:7]
	v_mad_u64_u32 v[10:11], s[0:1], v14, s58, 0
	s_load_dwordx2 s[0:1], s[52:53], 0xc8
	s_load_dwordx2 s[56:57], s[50:51], 0x0
	v_add3_u32 v7, v20, v7, v3
	v_add3_u32 v3, v11, v22, v21
	v_sub_co_u32_e32 v10, vcc, v12, v10
	v_add3_u32 v9, v19, v9, v18
	v_subb_co_u32_e32 v3, vcc, v13, v3, vcc
	s_add_u32 s50, s50, -16
	s_waitcnt lgkmcnt(0)
	v_mad_u64_u32 v[8:9], s[58:59], s0, v10, v[8:9]
	v_mul_lo_u32 v11, s0, v3
	v_mul_lo_u32 v12, s1, v10
	v_mad_u64_u32 v[6:7], s[0:1], s56, v10, v[6:7]
	v_mul_lo_u32 v3, s56, v3
	v_mul_lo_u32 v10, s57, v10
	s_addc_u32 s51, s51, -1
	s_add_u32 s52, s52, -16
	s_addc_u32 s53, s53, -1
	s_add_u32 s54, s54, -2
	v_add3_u32 v9, v12, v9, v11
	v_add3_u32 v7, v10, v7, v3
	s_addc_u32 s55, s55, -1
	v_mov_b32_e32 v10, v14
	s_cmp_eq_u64 s[54:55], 0
	v_mov_b32_e32 v11, v15
	s_cbranch_scc1 .LBB55_29
.LBB55_21:                              ;   Parent Loop BB55_3 Depth=1
                                        ; =>  This Inner Loop Header: Depth=2
	s_load_dwordx2 s[56:57], s[52:53], 0x8
                                        ; implicit-def: $vgpr12_vgpr13
	s_waitcnt lgkmcnt(0)
	v_or_b32_e32 v3, s57, v11
	v_cmp_ne_u64_e32 vcc, 0, v[2:3]
	s_and_saveexec_b64 s[0:1], vcc
	s_xor_b64 s[58:59], exec, s[0:1]
	s_cbranch_execz .LBB55_23
; %bb.22:                               ;   in Loop: Header=BB55_21 Depth=2
	s_ashr_i32 s60, s57, 31
	s_add_u32 s0, s56, s60
	s_mov_b32 s61, s60
	s_addc_u32 s1, s57, s60
	s_xor_b64 s[62:63], s[0:1], s[60:61]
	v_cvt_f32_u32_e32 v3, s62
	v_cvt_f32_u32_e32 v12, s63
	s_sub_u32 s61, 0, s62
	s_subb_u32 s64, 0, s63
	v_mac_f32_e32 v3, 0x4f800000, v12
	v_rcp_f32_e32 v3, v3
	v_mul_f32_e32 v3, 0x5f7ffffc, v3
	v_mul_f32_e32 v12, 0x2f800000, v3
	v_trunc_f32_e32 v12, v12
	v_mac_f32_e32 v3, 0xcf800000, v12
	v_cvt_u32_f32_e32 v12, v12
	v_cvt_u32_f32_e32 v3, v3
	v_readfirstlane_b32 s65, v12
	v_readfirstlane_b32 s0, v3
	s_mul_i32 s1, s61, s65
	s_mul_hi_u32 s67, s61, s0
	s_mul_i32 s66, s64, s0
	s_add_i32 s1, s67, s1
	s_add_i32 s1, s1, s66
	s_mul_i32 s68, s61, s0
	s_mul_i32 s67, s0, s1
	s_mul_hi_u32 s69, s0, s68
	s_mul_hi_u32 s66, s0, s1
	s_add_u32 s67, s69, s67
	s_addc_u32 s66, 0, s66
	s_mul_hi_u32 s74, s65, s68
	s_mul_i32 s68, s65, s68
	s_add_u32 s67, s67, s68
	s_mul_hi_u32 s69, s65, s1
	s_addc_u32 s66, s66, s74
	s_addc_u32 s67, s69, 0
	s_mul_i32 s1, s65, s1
	s_add_u32 s1, s66, s1
	s_addc_u32 s66, 0, s67
	s_add_u32 s67, s0, s1
	s_cselect_b64 s[0:1], -1, 0
	s_cmp_lg_u64 s[0:1], 0
	s_addc_u32 s65, s65, s66
	s_mul_i32 s0, s61, s65
	s_mul_hi_u32 s1, s61, s67
	s_add_i32 s0, s1, s0
	s_mul_i32 s64, s64, s67
	s_add_i32 s0, s0, s64
	s_mul_i32 s61, s61, s67
	s_mul_hi_u32 s64, s65, s61
	s_mul_i32 s66, s65, s61
	s_mul_i32 s69, s67, s0
	s_mul_hi_u32 s61, s67, s61
	s_mul_hi_u32 s68, s67, s0
	s_add_u32 s61, s61, s69
	s_addc_u32 s68, 0, s68
	s_add_u32 s61, s61, s66
	s_mul_hi_u32 s1, s65, s0
	s_addc_u32 s61, s68, s64
	s_addc_u32 s1, s1, 0
	s_mul_i32 s0, s65, s0
	s_add_u32 s0, s61, s0
	s_addc_u32 s61, 0, s1
	s_add_u32 s64, s67, s0
	s_cselect_b64 s[0:1], -1, 0
	v_ashrrev_i32_e32 v3, 31, v11
	s_cmp_lg_u64 s[0:1], 0
	v_add_co_u32_e32 v12, vcc, v10, v3
	s_addc_u32 s61, s65, s61
	v_xor_b32_e32 v18, v12, v3
	v_mad_u64_u32 v[12:13], s[0:1], v18, s61, 0
	v_mul_hi_u32 v15, v18, s64
	v_addc_co_u32_e32 v14, vcc, v11, v3, vcc
	v_xor_b32_e32 v19, v14, v3
	v_add_co_u32_e32 v20, vcc, v15, v12
	v_addc_co_u32_e32 v21, vcc, 0, v13, vcc
	v_mad_u64_u32 v[12:13], s[0:1], v19, s64, 0
	v_mad_u64_u32 v[14:15], s[0:1], v19, s61, 0
	v_add_co_u32_e32 v12, vcc, v20, v12
	v_addc_co_u32_e32 v12, vcc, v21, v13, vcc
	v_addc_co_u32_e32 v13, vcc, 0, v15, vcc
	v_add_co_u32_e32 v14, vcc, v12, v14
	v_addc_co_u32_e32 v15, vcc, 0, v13, vcc
	v_mul_lo_u32 v20, s63, v14
	v_mul_lo_u32 v21, s62, v15
	v_mad_u64_u32 v[12:13], s[0:1], s62, v14, 0
	v_xor_b32_e32 v3, s60, v3
	v_add3_u32 v13, v13, v21, v20
	v_sub_u32_e32 v20, v19, v13
	v_mov_b32_e32 v21, s63
	v_sub_co_u32_e32 v12, vcc, v18, v12
	v_subb_co_u32_e64 v18, s[0:1], v20, v21, vcc
	v_subrev_co_u32_e64 v20, s[0:1], s62, v12
	v_subbrev_co_u32_e64 v18, s[0:1], 0, v18, s[0:1]
	v_cmp_le_u32_e64 s[0:1], s63, v18
	v_cndmask_b32_e64 v21, 0, -1, s[0:1]
	v_cmp_le_u32_e64 s[0:1], s62, v20
	v_cndmask_b32_e64 v20, 0, -1, s[0:1]
	v_cmp_eq_u32_e64 s[0:1], s63, v18
	v_cndmask_b32_e64 v18, v21, v20, s[0:1]
	v_add_co_u32_e64 v20, s[0:1], 2, v14
	v_subb_co_u32_e32 v13, vcc, v19, v13, vcc
	v_addc_co_u32_e64 v21, s[0:1], 0, v15, s[0:1]
	v_cmp_le_u32_e32 vcc, s63, v13
	v_add_co_u32_e64 v22, s[0:1], 1, v14
	v_cndmask_b32_e64 v19, 0, -1, vcc
	v_cmp_le_u32_e32 vcc, s62, v12
	v_addc_co_u32_e64 v23, s[0:1], 0, v15, s[0:1]
	v_cndmask_b32_e64 v12, 0, -1, vcc
	v_cmp_eq_u32_e32 vcc, s63, v13
	v_cmp_ne_u32_e64 s[0:1], 0, v18
	v_cndmask_b32_e32 v12, v19, v12, vcc
	v_cndmask_b32_e64 v18, v23, v21, s[0:1]
	v_cmp_ne_u32_e32 vcc, 0, v12
	v_cndmask_b32_e64 v13, v22, v20, s[0:1]
	v_cndmask_b32_e32 v12, v15, v18, vcc
	v_cndmask_b32_e32 v13, v14, v13, vcc
	v_xor_b32_e32 v14, v12, v3
	v_xor_b32_e32 v12, v13, v3
	v_sub_co_u32_e32 v12, vcc, v12, v3
	v_subb_co_u32_e32 v13, vcc, v14, v3, vcc
.LBB55_23:                              ;   in Loop: Header=BB55_21 Depth=2
	s_andn2_saveexec_b64 s[0:1], s[58:59]
	s_cbranch_execz .LBB55_25
; %bb.24:                               ;   in Loop: Header=BB55_21 Depth=2
	v_cvt_f32_u32_e32 v3, s56
	s_sub_i32 s58, 0, s56
	v_rcp_iflag_f32_e32 v3, v3
	v_mul_f32_e32 v3, 0x4f7ffffe, v3
	v_cvt_u32_f32_e32 v3, v3
	v_mul_lo_u32 v12, s58, v3
	v_mul_hi_u32 v12, v3, v12
	v_add_u32_e32 v3, v3, v12
	v_mul_hi_u32 v3, v10, v3
	v_mul_lo_u32 v12, v3, s56
	v_add_u32_e32 v13, 1, v3
	v_sub_u32_e32 v12, v10, v12
	v_subrev_u32_e32 v14, s56, v12
	v_cmp_le_u32_e32 vcc, s56, v12
	v_cndmask_b32_e32 v12, v12, v14, vcc
	v_cndmask_b32_e32 v3, v3, v13, vcc
	v_add_u32_e32 v13, 1, v3
	v_cmp_le_u32_e32 vcc, s56, v12
	v_cndmask_b32_e32 v12, v3, v13, vcc
	v_mov_b32_e32 v13, v2
.LBB55_25:                              ;   in Loop: Header=BB55_21 Depth=2
	s_or_b64 exec, exec, s[0:1]
	s_load_dwordx2 s[58:59], s[52:53], 0x0
	s_load_dwordx2 s[62:63], s[52:53], 0xd0
	;; [unrolled: 1-line block ×3, first 2 shown]
                                        ; implicit-def: $vgpr14_vgpr15
	s_waitcnt lgkmcnt(0)
	v_or_b32_e32 v3, s59, v13
	v_cmp_ne_u64_e32 vcc, 0, v[2:3]
	s_and_saveexec_b64 s[0:1], vcc
	s_xor_b64 s[64:65], exec, s[0:1]
	s_cbranch_execz .LBB55_27
; %bb.26:                               ;   in Loop: Header=BB55_21 Depth=2
	s_ashr_i32 s66, s59, 31
	s_add_u32 s0, s58, s66
	s_mov_b32 s67, s66
	s_addc_u32 s1, s59, s66
	s_xor_b64 s[68:69], s[0:1], s[66:67]
	v_cvt_f32_u32_e32 v3, s68
	v_cvt_f32_u32_e32 v14, s69
	s_sub_u32 s67, 0, s68
	s_subb_u32 s74, 0, s69
	v_mac_f32_e32 v3, 0x4f800000, v14
	v_rcp_f32_e32 v3, v3
	v_mul_f32_e32 v3, 0x5f7ffffc, v3
	v_mul_f32_e32 v14, 0x2f800000, v3
	v_trunc_f32_e32 v14, v14
	v_mac_f32_e32 v3, 0xcf800000, v14
	v_cvt_u32_f32_e32 v14, v14
	v_cvt_u32_f32_e32 v3, v3
	v_readfirstlane_b32 s75, v14
	v_readfirstlane_b32 s0, v3
	s_mul_i32 s1, s67, s75
	s_mul_hi_u32 s77, s67, s0
	s_mul_i32 s76, s74, s0
	s_add_i32 s1, s77, s1
	s_add_i32 s1, s1, s76
	s_mul_i32 s78, s67, s0
	s_mul_i32 s77, s0, s1
	s_mul_hi_u32 s79, s0, s78
	s_mul_hi_u32 s76, s0, s1
	s_add_u32 s77, s79, s77
	s_addc_u32 s76, 0, s76
	s_mul_hi_u32 s80, s75, s78
	s_mul_i32 s78, s75, s78
	s_add_u32 s77, s77, s78
	s_mul_hi_u32 s79, s75, s1
	s_addc_u32 s76, s76, s80
	s_addc_u32 s77, s79, 0
	s_mul_i32 s1, s75, s1
	s_add_u32 s1, s76, s1
	s_addc_u32 s76, 0, s77
	s_add_u32 s77, s0, s1
	s_cselect_b64 s[0:1], -1, 0
	s_cmp_lg_u64 s[0:1], 0
	s_addc_u32 s75, s75, s76
	s_mul_i32 s0, s67, s75
	s_mul_hi_u32 s1, s67, s77
	s_add_i32 s0, s1, s0
	s_mul_i32 s74, s74, s77
	s_add_i32 s0, s0, s74
	s_mul_i32 s67, s67, s77
	s_mul_hi_u32 s74, s75, s67
	s_mul_i32 s76, s75, s67
	s_mul_i32 s79, s77, s0
	s_mul_hi_u32 s67, s77, s67
	s_mul_hi_u32 s78, s77, s0
	s_add_u32 s67, s67, s79
	s_addc_u32 s78, 0, s78
	s_add_u32 s67, s67, s76
	s_mul_hi_u32 s1, s75, s0
	s_addc_u32 s67, s78, s74
	s_addc_u32 s1, s1, 0
	s_mul_i32 s0, s75, s0
	s_add_u32 s0, s67, s0
	s_addc_u32 s67, 0, s1
	s_add_u32 s74, s77, s0
	s_cselect_b64 s[0:1], -1, 0
	v_ashrrev_i32_e32 v3, 31, v13
	s_cmp_lg_u64 s[0:1], 0
	v_add_co_u32_e32 v14, vcc, v12, v3
	s_addc_u32 s67, s75, s67
	v_xor_b32_e32 v20, v14, v3
	v_mad_u64_u32 v[14:15], s[0:1], v20, s67, 0
	v_mul_hi_u32 v19, v20, s74
	v_addc_co_u32_e32 v18, vcc, v13, v3, vcc
	v_xor_b32_e32 v21, v18, v3
	v_add_co_u32_e32 v22, vcc, v19, v14
	v_addc_co_u32_e32 v23, vcc, 0, v15, vcc
	v_mad_u64_u32 v[14:15], s[0:1], v21, s74, 0
	v_mad_u64_u32 v[18:19], s[0:1], v21, s67, 0
	v_add_co_u32_e32 v14, vcc, v22, v14
	v_addc_co_u32_e32 v14, vcc, v23, v15, vcc
	v_addc_co_u32_e32 v15, vcc, 0, v19, vcc
	v_add_co_u32_e32 v18, vcc, v14, v18
	v_addc_co_u32_e32 v19, vcc, 0, v15, vcc
	v_mul_lo_u32 v22, s69, v18
	v_mul_lo_u32 v23, s68, v19
	v_mad_u64_u32 v[14:15], s[0:1], s68, v18, 0
	v_xor_b32_e32 v3, s66, v3
	v_add3_u32 v15, v15, v23, v22
	v_sub_u32_e32 v22, v21, v15
	v_mov_b32_e32 v23, s69
	v_sub_co_u32_e32 v14, vcc, v20, v14
	v_subb_co_u32_e64 v20, s[0:1], v22, v23, vcc
	v_subrev_co_u32_e64 v22, s[0:1], s68, v14
	v_subbrev_co_u32_e64 v20, s[0:1], 0, v20, s[0:1]
	v_cmp_le_u32_e64 s[0:1], s69, v20
	v_cndmask_b32_e64 v23, 0, -1, s[0:1]
	v_cmp_le_u32_e64 s[0:1], s68, v22
	v_cndmask_b32_e64 v22, 0, -1, s[0:1]
	v_cmp_eq_u32_e64 s[0:1], s69, v20
	v_cndmask_b32_e64 v20, v23, v22, s[0:1]
	v_add_co_u32_e64 v22, s[0:1], 2, v18
	v_subb_co_u32_e32 v15, vcc, v21, v15, vcc
	v_addc_co_u32_e64 v23, s[0:1], 0, v19, s[0:1]
	v_cmp_le_u32_e32 vcc, s69, v15
	v_add_co_u32_e64 v24, s[0:1], 1, v18
	v_cndmask_b32_e64 v21, 0, -1, vcc
	v_cmp_le_u32_e32 vcc, s68, v14
	v_addc_co_u32_e64 v25, s[0:1], 0, v19, s[0:1]
	v_cndmask_b32_e64 v14, 0, -1, vcc
	v_cmp_eq_u32_e32 vcc, s69, v15
	v_cmp_ne_u32_e64 s[0:1], 0, v20
	v_cndmask_b32_e32 v14, v21, v14, vcc
	v_cndmask_b32_e64 v20, v25, v23, s[0:1]
	v_cmp_ne_u32_e32 vcc, 0, v14
	v_cndmask_b32_e64 v15, v24, v22, s[0:1]
	v_cndmask_b32_e32 v14, v19, v20, vcc
	v_cndmask_b32_e32 v15, v18, v15, vcc
	v_xor_b32_e32 v18, v14, v3
	v_xor_b32_e32 v14, v15, v3
	v_sub_co_u32_e32 v14, vcc, v14, v3
	v_subb_co_u32_e32 v15, vcc, v18, v3, vcc
.LBB55_27:                              ;   in Loop: Header=BB55_21 Depth=2
	s_andn2_saveexec_b64 s[0:1], s[64:65]
	s_cbranch_execz .LBB55_20
; %bb.28:                               ;   in Loop: Header=BB55_21 Depth=2
	v_cvt_f32_u32_e32 v3, s58
	s_sub_i32 s64, 0, s58
	v_rcp_iflag_f32_e32 v3, v3
	v_mul_f32_e32 v3, 0x4f7ffffe, v3
	v_cvt_u32_f32_e32 v3, v3
	v_mul_lo_u32 v14, s64, v3
	v_mul_hi_u32 v14, v3, v14
	v_add_u32_e32 v3, v3, v14
	v_mul_hi_u32 v3, v12, v3
	v_mul_lo_u32 v14, v3, s58
	v_add_u32_e32 v15, 1, v3
	v_sub_u32_e32 v14, v12, v14
	v_subrev_u32_e32 v18, s58, v14
	v_cmp_le_u32_e32 vcc, s58, v14
	v_cndmask_b32_e32 v14, v14, v18, vcc
	v_cndmask_b32_e32 v3, v3, v15, vcc
	v_add_u32_e32 v15, 1, v3
	v_cmp_le_u32_e32 vcc, s58, v14
	v_cndmask_b32_e32 v14, v3, v15, vcc
	v_mov_b32_e32 v15, v2
	s_branch .LBB55_20
.LBB55_29:                              ;   in Loop: Header=BB55_3 Depth=1
	v_sub_co_u32_e32 v10, vcc, v4, v16
	v_subb_co_u32_e32 v11, vcc, v5, v17, vcc
	v_add_co_u32_e32 v12, vcc, 4, v10
	v_addc_co_u32_e32 v13, vcc, 0, v11, vcc
	v_cmp_le_i64_e32 vcc, s[8:9], v[12:13]
	v_mov_b32_e32 v3, 0
	s_and_saveexec_b64 s[50:51], vcc
	s_cbranch_execz .LBB55_39
; %bb.30:                               ;   in Loop: Header=BB55_3 Depth=1
	v_cmp_gt_i64_e32 vcc, s[14:15], v[4:5]
	v_mov_b32_e32 v3, 0
	v_mov_b32_e32 v12, 0
	;; [unrolled: 1-line block ×4, first 2 shown]
	s_and_saveexec_b64 s[0:1], vcc
	s_cbranch_execz .LBB55_38
; %bb.31:                               ;   in Loop: Header=BB55_3 Depth=1
	v_mov_b32_e32 v3, s3
	v_add_co_u32_e32 v8, vcc, s2, v8
	v_addc_co_u32_e32 v9, vcc, v3, v9, vcc
	global_load_ubyte v3, v[8:9], off
	v_add_co_u32_e32 v13, vcc, 1, v4
	v_addc_co_u32_e32 v14, vcc, 0, v5, vcc
	v_cmp_gt_i64_e32 vcc, s[14:15], v[13:14]
	v_mov_b32_e32 v12, 0
	v_mov_b32_e32 v13, 0
	;; [unrolled: 1-line block ×3, first 2 shown]
	s_and_saveexec_b64 s[52:53], vcc
	s_xor_b64 s[52:53], exec, s[52:53]
	s_cbranch_execz .LBB55_37
; %bb.32:                               ;   in Loop: Header=BB55_3 Depth=1
	v_mov_b32_e32 v12, s19
	v_add_co_u32_e32 v8, vcc, s18, v8
	v_addc_co_u32_e32 v9, vcc, v9, v12, vcc
	global_load_ubyte v12, v[8:9], off
	v_add_co_u32_e32 v14, vcc, 2, v4
	v_addc_co_u32_e32 v15, vcc, 0, v5, vcc
	v_cmp_gt_i64_e32 vcc, s[14:15], v[14:15]
	v_mov_b32_e32 v13, 0
	v_mov_b32_e32 v14, 0
	s_and_saveexec_b64 s[54:55], vcc
	s_xor_b64 s[54:55], exec, s[54:55]
	s_cbranch_execz .LBB55_36
; %bb.33:                               ;   in Loop: Header=BB55_3 Depth=1
	v_mov_b32_e32 v13, s19
	v_add_co_u32_e32 v8, vcc, s18, v8
	v_addc_co_u32_e32 v9, vcc, v9, v13, vcc
	global_load_ubyte v13, v[8:9], off
	v_add_co_u32_e32 v14, vcc, 3, v4
	v_addc_co_u32_e32 v15, vcc, 0, v5, vcc
	v_cmp_gt_i64_e32 vcc, s[14:15], v[14:15]
	v_mov_b32_e32 v14, 0
	s_and_saveexec_b64 s[56:57], vcc
	s_xor_b64 s[56:57], exec, s[56:57]
	s_cbranch_execz .LBB55_35
; %bb.34:                               ;   in Loop: Header=BB55_3 Depth=1
	v_mov_b32_e32 v14, s19
	v_add_co_u32_e32 v8, vcc, s18, v8
	v_addc_co_u32_e32 v9, vcc, v9, v14, vcc
	global_load_ubyte v14, v[8:9], off
.LBB55_35:                              ;   in Loop: Header=BB55_3 Depth=1
	s_or_b64 exec, exec, s[56:57]
.LBB55_36:                              ;   in Loop: Header=BB55_3 Depth=1
	s_or_b64 exec, exec, s[54:55]
.LBB55_37:                              ;   in Loop: Header=BB55_3 Depth=1
	s_or_b64 exec, exec, s[52:53]
.LBB55_38:                              ;   in Loop: Header=BB55_3 Depth=1
	s_or_b64 exec, exec, s[0:1]
	v_add_co_u32_e32 v8, vcc, 1, v10
	v_addc_co_u32_e32 v9, vcc, 0, v11, vcc
	v_add_co_u32_e32 v15, vcc, 2, v10
	v_addc_co_u32_e32 v16, vcc, 0, v11, vcc
	v_cmp_le_i64_e32 vcc, s[34:35], v[8:9]
	v_add_co_u32_e64 v8, s[0:1], 3, v10
	s_waitcnt vmcnt(0)
	v_cndmask_b32_sdwa v12, v2, v12, vcc dst_sel:BYTE_1 dst_unused:UNUSED_PAD src0_sel:DWORD src1_sel:DWORD
	v_cmp_le_i64_e32 vcc, s[30:31], v[10:11]
	v_addc_co_u32_e64 v9, s[0:1], 0, v11, s[0:1]
	v_cndmask_b32_e32 v3, 0, v3, vcc
	v_cmp_le_i64_e32 vcc, s[38:39], v[8:9]
	v_or_b32_sdwa v3, v3, v12 dst_sel:DWORD dst_unused:UNUSED_PAD src0_sel:BYTE_0 src1_sel:DWORD
	v_cndmask_b32_sdwa v8, v2, v14, vcc dst_sel:BYTE_1 dst_unused:UNUSED_PAD src0_sel:DWORD src1_sel:DWORD
	v_cmp_le_i64_e32 vcc, s[36:37], v[15:16]
	v_cndmask_b32_e32 v9, 0, v13, vcc
	v_or_b32_sdwa v8, v9, v8 dst_sel:WORD_1 dst_unused:UNUSED_PAD src0_sel:BYTE_0 src1_sel:DWORD
	v_or_b32_sdwa v3, v3, v8 dst_sel:DWORD dst_unused:UNUSED_PAD src0_sel:WORD_0 src1_sel:DWORD
.LBB55_39:                              ;   in Loop: Header=BB55_3 Depth=1
	s_or_b64 exec, exec, s[50:51]
	v_cmp_gt_i64_e32 vcc, s[14:15], v[4:5]
	s_and_saveexec_b64 s[0:1], vcc
	s_cbranch_execz .LBB55_2
; %bb.40:                               ;   in Loop: Header=BB55_3 Depth=1
	v_mov_b32_e32 v8, s29
	v_add_co_u32_e32 v6, vcc, s28, v6
	v_addc_co_u32_e32 v7, vcc, v8, v7, vcc
	v_add_co_u32_e32 v8, vcc, 1, v4
	v_addc_co_u32_e32 v9, vcc, 0, v5, vcc
	v_cmp_gt_i64_e32 vcc, s[14:15], v[8:9]
	global_store_byte v[6:7], v3, off
	s_and_saveexec_b64 s[50:51], vcc
	s_xor_b64 s[50:51], exec, s[50:51]
	s_cbranch_execz .LBB55_2
; %bb.41:                               ;   in Loop: Header=BB55_3 Depth=1
	v_mov_b32_e32 v8, s23
	v_add_co_u32_e32 v6, vcc, s22, v6
	v_addc_co_u32_e32 v7, vcc, v7, v8, vcc
	v_add_co_u32_e32 v8, vcc, 2, v4
	v_addc_co_u32_e32 v9, vcc, 0, v5, vcc
	v_cmp_gt_i64_e32 vcc, s[14:15], v[8:9]
	v_lshrrev_b32_e32 v10, 8, v3
	global_store_byte v[6:7], v10, off
	s_and_saveexec_b64 s[50:51], vcc
	s_xor_b64 s[50:51], exec, s[50:51]
	s_cbranch_execz .LBB55_2
; %bb.42:                               ;   in Loop: Header=BB55_3 Depth=1
	v_mov_b32_e32 v8, s23
	v_add_co_u32_e32 v6, vcc, s22, v6
	v_addc_co_u32_e32 v7, vcc, v7, v8, vcc
	v_add_co_u32_e32 v4, vcc, 3, v4
	v_addc_co_u32_e32 v5, vcc, 0, v5, vcc
	v_cmp_gt_i64_e32 vcc, s[14:15], v[4:5]
	global_store_byte_d16_hi v[6:7], v3, off
	s_and_saveexec_b64 s[50:51], vcc
	s_xor_b64 s[50:51], exec, s[50:51]
	s_cbranch_execz .LBB55_2
; %bb.43:                               ;   in Loop: Header=BB55_3 Depth=1
	v_lshrrev_b32_e32 v5, 24, v3
	v_mov_b32_e32 v4, s23
	v_add_co_u32_e32 v3, vcc, s22, v6
	v_addc_co_u32_e32 v4, vcc, v7, v4, vcc
	global_store_byte v[3:4], v5, off
	s_branch .LBB55_2
.LBB55_44:
	s_endpgm
	.section	.rodata,"a",@progbits
	.p2align	6, 0x0
	.amdhsa_kernel _ZN2at6native16triu_tril_kernelIhlLb1ELi4ELb0EEEvNS_4cuda6detail10TensorInfoIT_T0_EENS4_IKS5_S6_EEllS6_
		.amdhsa_group_segment_fixed_size 0
		.amdhsa_private_segment_fixed_size 0
		.amdhsa_kernarg_size 1112
		.amdhsa_user_sgpr_count 6
		.amdhsa_user_sgpr_private_segment_buffer 1
		.amdhsa_user_sgpr_dispatch_ptr 0
		.amdhsa_user_sgpr_queue_ptr 0
		.amdhsa_user_sgpr_kernarg_segment_ptr 1
		.amdhsa_user_sgpr_dispatch_id 0
		.amdhsa_user_sgpr_flat_scratch_init 0
		.amdhsa_user_sgpr_private_segment_size 0
		.amdhsa_uses_dynamic_stack 0
		.amdhsa_system_sgpr_private_segment_wavefront_offset 0
		.amdhsa_system_sgpr_workgroup_id_x 1
		.amdhsa_system_sgpr_workgroup_id_y 0
		.amdhsa_system_sgpr_workgroup_id_z 0
		.amdhsa_system_sgpr_workgroup_info 0
		.amdhsa_system_vgpr_workitem_id 0
		.amdhsa_next_free_vgpr 26
		.amdhsa_next_free_sgpr 81
		.amdhsa_reserve_vcc 1
		.amdhsa_reserve_flat_scratch 0
		.amdhsa_float_round_mode_32 0
		.amdhsa_float_round_mode_16_64 0
		.amdhsa_float_denorm_mode_32 3
		.amdhsa_float_denorm_mode_16_64 3
		.amdhsa_dx10_clamp 1
		.amdhsa_ieee_mode 1
		.amdhsa_fp16_overflow 0
		.amdhsa_exception_fp_ieee_invalid_op 0
		.amdhsa_exception_fp_denorm_src 0
		.amdhsa_exception_fp_ieee_div_zero 0
		.amdhsa_exception_fp_ieee_overflow 0
		.amdhsa_exception_fp_ieee_underflow 0
		.amdhsa_exception_fp_ieee_inexact 0
		.amdhsa_exception_int_div_zero 0
	.end_amdhsa_kernel
	.section	.text._ZN2at6native16triu_tril_kernelIhlLb1ELi4ELb0EEEvNS_4cuda6detail10TensorInfoIT_T0_EENS4_IKS5_S6_EEllS6_,"axG",@progbits,_ZN2at6native16triu_tril_kernelIhlLb1ELi4ELb0EEEvNS_4cuda6detail10TensorInfoIT_T0_EENS4_IKS5_S6_EEllS6_,comdat
.Lfunc_end55:
	.size	_ZN2at6native16triu_tril_kernelIhlLb1ELi4ELb0EEEvNS_4cuda6detail10TensorInfoIT_T0_EENS4_IKS5_S6_EEllS6_, .Lfunc_end55-_ZN2at6native16triu_tril_kernelIhlLb1ELi4ELb0EEEvNS_4cuda6detail10TensorInfoIT_T0_EENS4_IKS5_S6_EEllS6_
                                        ; -- End function
	.set _ZN2at6native16triu_tril_kernelIhlLb1ELi4ELb0EEEvNS_4cuda6detail10TensorInfoIT_T0_EENS4_IKS5_S6_EEllS6_.num_vgpr, 26
	.set _ZN2at6native16triu_tril_kernelIhlLb1ELi4ELb0EEEvNS_4cuda6detail10TensorInfoIT_T0_EENS4_IKS5_S6_EEllS6_.num_agpr, 0
	.set _ZN2at6native16triu_tril_kernelIhlLb1ELi4ELb0EEEvNS_4cuda6detail10TensorInfoIT_T0_EENS4_IKS5_S6_EEllS6_.numbered_sgpr, 81
	.set _ZN2at6native16triu_tril_kernelIhlLb1ELi4ELb0EEEvNS_4cuda6detail10TensorInfoIT_T0_EENS4_IKS5_S6_EEllS6_.num_named_barrier, 0
	.set _ZN2at6native16triu_tril_kernelIhlLb1ELi4ELb0EEEvNS_4cuda6detail10TensorInfoIT_T0_EENS4_IKS5_S6_EEllS6_.private_seg_size, 0
	.set _ZN2at6native16triu_tril_kernelIhlLb1ELi4ELb0EEEvNS_4cuda6detail10TensorInfoIT_T0_EENS4_IKS5_S6_EEllS6_.uses_vcc, 1
	.set _ZN2at6native16triu_tril_kernelIhlLb1ELi4ELb0EEEvNS_4cuda6detail10TensorInfoIT_T0_EENS4_IKS5_S6_EEllS6_.uses_flat_scratch, 0
	.set _ZN2at6native16triu_tril_kernelIhlLb1ELi4ELb0EEEvNS_4cuda6detail10TensorInfoIT_T0_EENS4_IKS5_S6_EEllS6_.has_dyn_sized_stack, 0
	.set _ZN2at6native16triu_tril_kernelIhlLb1ELi4ELb0EEEvNS_4cuda6detail10TensorInfoIT_T0_EENS4_IKS5_S6_EEllS6_.has_recursion, 0
	.set _ZN2at6native16triu_tril_kernelIhlLb1ELi4ELb0EEEvNS_4cuda6detail10TensorInfoIT_T0_EENS4_IKS5_S6_EEllS6_.has_indirect_call, 0
	.section	.AMDGPU.csdata,"",@progbits
; Kernel info:
; codeLenInByte = 5300
; TotalNumSgprs: 85
; NumVgprs: 26
; ScratchSize: 0
; MemoryBound: 0
; FloatMode: 240
; IeeeMode: 1
; LDSByteSize: 0 bytes/workgroup (compile time only)
; SGPRBlocks: 10
; VGPRBlocks: 6
; NumSGPRsForWavesPerEU: 85
; NumVGPRsForWavesPerEU: 26
; Occupancy: 9
; WaveLimiterHint : 0
; COMPUTE_PGM_RSRC2:SCRATCH_EN: 0
; COMPUTE_PGM_RSRC2:USER_SGPR: 6
; COMPUTE_PGM_RSRC2:TRAP_HANDLER: 0
; COMPUTE_PGM_RSRC2:TGID_X_EN: 1
; COMPUTE_PGM_RSRC2:TGID_Y_EN: 0
; COMPUTE_PGM_RSRC2:TGID_Z_EN: 0
; COMPUTE_PGM_RSRC2:TIDIG_COMP_CNT: 0
	.section	.text._ZN2at6native16triu_tril_kernelIaiLb1ELi4ELb1EEEvNS_4cuda6detail10TensorInfoIT_T0_EENS4_IKS5_S6_EEllS6_,"axG",@progbits,_ZN2at6native16triu_tril_kernelIaiLb1ELi4ELb1EEEvNS_4cuda6detail10TensorInfoIT_T0_EENS4_IKS5_S6_EEllS6_,comdat
	.protected	_ZN2at6native16triu_tril_kernelIaiLb1ELi4ELb1EEEvNS_4cuda6detail10TensorInfoIT_T0_EENS4_IKS5_S6_EEllS6_ ; -- Begin function _ZN2at6native16triu_tril_kernelIaiLb1ELi4ELb1EEEvNS_4cuda6detail10TensorInfoIT_T0_EENS4_IKS5_S6_EEllS6_
	.globl	_ZN2at6native16triu_tril_kernelIaiLb1ELi4ELb1EEEvNS_4cuda6detail10TensorInfoIT_T0_EENS4_IKS5_S6_EEllS6_
	.p2align	8
	.type	_ZN2at6native16triu_tril_kernelIaiLb1ELi4ELb1EEEvNS_4cuda6detail10TensorInfoIT_T0_EENS4_IKS5_S6_EEllS6_,@function
_ZN2at6native16triu_tril_kernelIaiLb1ELi4ELb1EEEvNS_4cuda6detail10TensorInfoIT_T0_EENS4_IKS5_S6_EEllS6_: ; @_ZN2at6native16triu_tril_kernelIaiLb1ELi4ELb1EEEvNS_4cuda6detail10TensorInfoIT_T0_EENS4_IKS5_S6_EEllS6_
; %bb.0:
	s_load_dword s2, s[4:5], 0x1d4
	s_load_dwordx4 s[8:11], s[4:5], 0x1b0
	s_add_u32 s0, s4, 0x1c8
	v_mov_b32_e32 v2, 0
	s_addc_u32 s1, s5, 0
	s_waitcnt lgkmcnt(0)
	s_and_b32 s7, s2, 0xffff
	v_mov_b32_e32 v1, v2
	v_mov_b32_e32 v3, s6
	v_mad_u64_u32 v[0:1], s[2:3], s7, v3, v[0:1]
	v_lshlrev_b64 v[0:1], 2, v[0:1]
	v_cmp_gt_i64_e32 vcc, s[10:11], v[0:1]
	s_and_saveexec_b64 s[2:3], vcc
	s_cbranch_execz .LBB56_67
; %bb.1:
	s_load_dword s33, s[4:5], 0x1c0
	s_load_dword s16, s[4:5], 0x1a8
	s_add_u32 s42, s4, 0xd8
	s_addc_u32 s43, s5, 0
	s_load_dword s6, s[0:1], 0x0
	s_waitcnt lgkmcnt(0)
	s_ashr_i32 s44, s33, 31
	s_ashr_i32 s17, s16, 31
	s_lshl_b64 s[0:1], s[16:17], 2
	s_add_u32 s2, s42, s0
	s_addc_u32 s3, s43, s1
	s_load_dword s45, s[2:3], 0x0
	s_load_dwordx2 s[12:13], s[4:5], 0x0
	s_mul_i32 s18, s6, s7
	v_cmp_gt_i64_e64 s[6:7], s[16:17], 2
	s_mov_b32 s17, 0
	s_waitcnt lgkmcnt(0)
	s_ashr_i32 s46, s45, 31
	s_add_u32 s14, s4, s0
	s_addc_u32 s15, s5, s1
	s_add_i32 s0, s16, 6
	s_add_i32 s47, s16, -3
	s_lshl_b32 s48, s18, 2
	s_and_b32 s49, s0, 7
	s_and_b32 s0, s16, 7
	s_cmp_lg_u32 s0, 2
	s_cselect_b64 s[18:19], -1, 0
	s_cmp_gt_u32 s47, 6
	s_cselect_b64 s[20:21], -1, 0
	s_mov_b64 s[22:23], 0
	s_ashr_i32 s24, s44, 31
	s_branch .LBB56_3
.LBB56_2:                               ;   in Loop: Header=BB56_3 Depth=1
	s_or_b64 exec, exec, s[26:27]
	v_add_co_u32_e32 v0, vcc, s48, v0
	v_addc_co_u32_e32 v1, vcc, 0, v1, vcc
	v_cmp_le_i64_e32 vcc, s[10:11], v[0:1]
	s_or_b64 s[22:23], vcc, s[22:23]
	s_andn2_b64 exec, exec, s[22:23]
	s_cbranch_execz .LBB56_67
.LBB56_3:                               ; =>This Loop Header: Depth=1
                                        ;     Child Loop BB56_14 Depth 2
                                        ;     Child Loop BB56_23 Depth 2
	v_or_b32_e32 v3, s44, v1
	v_cmp_ne_u64_e32 vcc, 0, v[2:3]
                                        ; implicit-def: $vgpr4_vgpr5
	s_and_saveexec_b64 s[0:1], vcc
	s_xor_b64 s[26:27], exec, s[0:1]
	s_cbranch_execz .LBB56_5
; %bb.4:                                ;   in Loop: Header=BB56_3 Depth=1
	s_add_u32 s0, s33, s24
	s_mov_b32 s25, s24
	s_addc_u32 s1, s44, s24
	s_xor_b64 s[28:29], s[0:1], s[24:25]
	v_cvt_f32_u32_e32 v3, s28
	v_cvt_f32_u32_e32 v4, s29
	s_sub_u32 s16, 0, s28
	s_subb_u32 s25, 0, s29
	v_ashrrev_i32_e32 v7, 31, v1
	v_mac_f32_e32 v3, 0x4f800000, v4
	v_rcp_f32_e32 v3, v3
	v_mul_f32_e32 v3, 0x5f7ffffc, v3
	v_mul_f32_e32 v4, 0x2f800000, v3
	v_trunc_f32_e32 v4, v4
	v_mac_f32_e32 v3, 0xcf800000, v4
	v_cvt_u32_f32_e32 v4, v4
	v_cvt_u32_f32_e32 v3, v3
	v_readfirstlane_b32 s30, v4
	v_readfirstlane_b32 s0, v3
	s_mul_i32 s1, s16, s30
	s_mul_hi_u32 s34, s16, s0
	s_mul_i32 s31, s25, s0
	s_add_i32 s1, s34, s1
	s_add_i32 s1, s1, s31
	s_mul_i32 s35, s16, s0
	s_mul_i32 s34, s0, s1
	s_mul_hi_u32 s36, s0, s35
	s_mul_hi_u32 s31, s0, s1
	s_add_u32 s34, s36, s34
	s_addc_u32 s31, 0, s31
	s_mul_hi_u32 s37, s30, s35
	s_mul_i32 s35, s30, s35
	s_add_u32 s34, s34, s35
	s_mul_hi_u32 s36, s30, s1
	s_addc_u32 s31, s31, s37
	s_addc_u32 s34, s36, 0
	s_mul_i32 s1, s30, s1
	s_add_u32 s1, s31, s1
	s_addc_u32 s31, 0, s34
	s_add_u32 s34, s0, s1
	s_cselect_b64 s[0:1], -1, 0
	s_cmp_lg_u64 s[0:1], 0
	s_addc_u32 s30, s30, s31
	s_mul_i32 s0, s16, s30
	s_mul_hi_u32 s1, s16, s34
	s_add_i32 s0, s1, s0
	s_mul_i32 s25, s25, s34
	s_add_i32 s0, s0, s25
	s_mul_i32 s16, s16, s34
	s_mul_hi_u32 s25, s30, s16
	s_mul_i32 s31, s30, s16
	s_mul_i32 s36, s34, s0
	s_mul_hi_u32 s16, s34, s16
	s_mul_hi_u32 s35, s34, s0
	s_add_u32 s16, s16, s36
	s_addc_u32 s35, 0, s35
	s_add_u32 s16, s16, s31
	s_mul_hi_u32 s1, s30, s0
	s_addc_u32 s16, s35, s25
	s_addc_u32 s1, s1, 0
	s_mul_i32 s0, s30, s0
	s_add_u32 s0, s16, s0
	s_addc_u32 s16, 0, s1
	s_add_u32 s25, s34, s0
	s_cselect_b64 s[0:1], -1, 0
	s_cmp_lg_u64 s[0:1], 0
	v_add_co_u32_e32 v3, vcc, v0, v7
	s_addc_u32 s16, s30, s16
	v_xor_b32_e32 v8, v3, v7
	v_mad_u64_u32 v[3:4], s[0:1], v8, s16, 0
	v_mul_hi_u32 v6, v8, s25
	v_addc_co_u32_e32 v5, vcc, v1, v7, vcc
	v_xor_b32_e32 v9, v5, v7
	v_add_co_u32_e32 v10, vcc, v6, v3
	v_addc_co_u32_e32 v11, vcc, 0, v4, vcc
	v_mad_u64_u32 v[3:4], s[0:1], v9, s25, 0
	v_mad_u64_u32 v[5:6], s[0:1], v9, s16, 0
	v_add_co_u32_e32 v3, vcc, v10, v3
	v_addc_co_u32_e32 v3, vcc, v11, v4, vcc
	v_addc_co_u32_e32 v4, vcc, 0, v6, vcc
	v_add_co_u32_e32 v5, vcc, v3, v5
	v_addc_co_u32_e32 v6, vcc, 0, v4, vcc
	v_mul_lo_u32 v10, s29, v5
	v_mul_lo_u32 v11, s28, v6
	v_mad_u64_u32 v[3:4], s[0:1], s28, v5, 0
	v_add3_u32 v4, v4, v11, v10
	v_sub_u32_e32 v10, v9, v4
	v_mov_b32_e32 v11, s29
	v_sub_co_u32_e32 v3, vcc, v8, v3
	v_subb_co_u32_e64 v8, s[0:1], v10, v11, vcc
	v_subrev_co_u32_e64 v10, s[0:1], s28, v3
	v_subbrev_co_u32_e64 v8, s[0:1], 0, v8, s[0:1]
	v_cmp_le_u32_e64 s[0:1], s29, v8
	v_cndmask_b32_e64 v11, 0, -1, s[0:1]
	v_cmp_le_u32_e64 s[0:1], s28, v10
	v_cndmask_b32_e64 v10, 0, -1, s[0:1]
	v_cmp_eq_u32_e64 s[0:1], s29, v8
	v_cndmask_b32_e64 v8, v11, v10, s[0:1]
	v_add_co_u32_e64 v10, s[0:1], 2, v5
	v_subb_co_u32_e32 v4, vcc, v9, v4, vcc
	v_addc_co_u32_e64 v11, s[0:1], 0, v6, s[0:1]
	v_cmp_le_u32_e32 vcc, s29, v4
	v_add_co_u32_e64 v12, s[0:1], 1, v5
	v_cndmask_b32_e64 v9, 0, -1, vcc
	v_cmp_le_u32_e32 vcc, s28, v3
	v_addc_co_u32_e64 v13, s[0:1], 0, v6, s[0:1]
	v_cndmask_b32_e64 v3, 0, -1, vcc
	v_cmp_eq_u32_e32 vcc, s29, v4
	v_cmp_ne_u32_e64 s[0:1], 0, v8
	v_cndmask_b32_e32 v3, v9, v3, vcc
	v_cmp_ne_u32_e32 vcc, 0, v3
	v_cndmask_b32_e64 v4, v12, v10, s[0:1]
	v_cndmask_b32_e64 v8, v13, v11, s[0:1]
	v_cndmask_b32_e32 v4, v5, v4, vcc
	v_xor_b32_e32 v5, s24, v7
	v_cndmask_b32_e32 v3, v6, v8, vcc
	v_xor_b32_e32 v4, v4, v5
	v_xor_b32_e32 v3, v3, v5
	v_sub_co_u32_e32 v4, vcc, v4, v5
	v_subb_co_u32_e32 v5, vcc, v3, v5, vcc
.LBB56_5:                               ;   in Loop: Header=BB56_3 Depth=1
	s_andn2_saveexec_b64 s[0:1], s[26:27]
	s_cbranch_execz .LBB56_7
; %bb.6:                                ;   in Loop: Header=BB56_3 Depth=1
	v_cvt_f32_u32_e32 v3, s33
	s_sub_i32 s16, 0, s33
	v_rcp_iflag_f32_e32 v3, v3
	v_mul_f32_e32 v3, 0x4f7ffffe, v3
	v_cvt_u32_f32_e32 v3, v3
	v_mul_lo_u32 v4, s16, v3
	v_mul_hi_u32 v4, v3, v4
	v_add_u32_e32 v3, v3, v4
	v_mul_hi_u32 v3, v0, v3
	v_mul_lo_u32 v4, v3, s33
	v_add_u32_e32 v5, 1, v3
	v_sub_u32_e32 v4, v0, v4
	v_subrev_u32_e32 v6, s33, v4
	v_cmp_le_u32_e32 vcc, s33, v4
	v_cndmask_b32_e32 v4, v4, v6, vcc
	v_cndmask_b32_e32 v3, v3, v5, vcc
	v_add_u32_e32 v5, 1, v3
	v_cmp_le_u32_e32 vcc, s33, v4
	v_cndmask_b32_e32 v4, v3, v5, vcc
	v_mov_b32_e32 v5, v2
.LBB56_7:                               ;   in Loop: Header=BB56_3 Depth=1
	s_or_b64 exec, exec, s[0:1]
	v_or_b32_e32 v3, s46, v5
	v_cmp_ne_u64_e32 vcc, 0, v[2:3]
                                        ; implicit-def: $vgpr6_vgpr7
	s_and_saveexec_b64 s[0:1], vcc
	s_xor_b64 s[26:27], exec, s[0:1]
	s_cbranch_execz .LBB56_9
; %bb.8:                                ;   in Loop: Header=BB56_3 Depth=1
	s_ashr_i32 s28, s46, 31
	s_add_u32 s0, s45, s28
	s_mov_b32 s29, s28
	s_addc_u32 s1, s46, s28
	s_xor_b64 s[30:31], s[0:1], s[28:29]
	v_cvt_f32_u32_e32 v3, s30
	v_cvt_f32_u32_e32 v6, s31
	s_sub_u32 s16, 0, s30
	s_subb_u32 s25, 0, s31
	v_mac_f32_e32 v3, 0x4f800000, v6
	v_rcp_f32_e32 v3, v3
	v_mul_f32_e32 v3, 0x5f7ffffc, v3
	v_mul_f32_e32 v6, 0x2f800000, v3
	v_trunc_f32_e32 v6, v6
	v_mac_f32_e32 v3, 0xcf800000, v6
	v_cvt_u32_f32_e32 v6, v6
	v_cvt_u32_f32_e32 v3, v3
	v_readfirstlane_b32 s29, v6
	v_readfirstlane_b32 s0, v3
	s_mul_i32 s1, s16, s29
	s_mul_hi_u32 s35, s16, s0
	s_mul_i32 s34, s25, s0
	s_add_i32 s1, s35, s1
	s_add_i32 s1, s1, s34
	s_mul_i32 s36, s16, s0
	s_mul_i32 s35, s0, s1
	s_mul_hi_u32 s37, s0, s36
	s_mul_hi_u32 s34, s0, s1
	s_add_u32 s35, s37, s35
	s_addc_u32 s34, 0, s34
	s_mul_hi_u32 s38, s29, s36
	s_mul_i32 s36, s29, s36
	s_add_u32 s35, s35, s36
	s_mul_hi_u32 s37, s29, s1
	s_addc_u32 s34, s34, s38
	s_addc_u32 s35, s37, 0
	s_mul_i32 s1, s29, s1
	s_add_u32 s1, s34, s1
	s_addc_u32 s34, 0, s35
	s_add_u32 s35, s0, s1
	s_cselect_b64 s[0:1], -1, 0
	s_cmp_lg_u64 s[0:1], 0
	s_addc_u32 s29, s29, s34
	s_mul_i32 s0, s16, s29
	s_mul_hi_u32 s1, s16, s35
	s_add_i32 s0, s1, s0
	s_mul_i32 s25, s25, s35
	s_add_i32 s0, s0, s25
	s_mul_i32 s16, s16, s35
	s_mul_hi_u32 s25, s29, s16
	s_mul_i32 s34, s29, s16
	s_mul_i32 s37, s35, s0
	s_mul_hi_u32 s16, s35, s16
	s_mul_hi_u32 s36, s35, s0
	s_add_u32 s16, s16, s37
	s_addc_u32 s36, 0, s36
	s_add_u32 s16, s16, s34
	s_mul_hi_u32 s1, s29, s0
	s_addc_u32 s16, s36, s25
	s_addc_u32 s1, s1, 0
	s_mul_i32 s0, s29, s0
	s_add_u32 s0, s16, s0
	s_addc_u32 s16, 0, s1
	s_add_u32 s25, s35, s0
	s_cselect_b64 s[0:1], -1, 0
	v_ashrrev_i32_e32 v3, 31, v5
	s_cmp_lg_u64 s[0:1], 0
	v_add_co_u32_e32 v6, vcc, v4, v3
	s_addc_u32 s16, s29, s16
	v_xor_b32_e32 v9, v6, v3
	v_addc_co_u32_e32 v7, vcc, v5, v3, vcc
	v_mad_u64_u32 v[5:6], s[0:1], v9, s16, 0
	v_mul_hi_u32 v8, v9, s25
	v_xor_b32_e32 v10, v7, v3
	v_xor_b32_e32 v3, s28, v3
	v_add_co_u32_e32 v11, vcc, v8, v5
	v_addc_co_u32_e32 v12, vcc, 0, v6, vcc
	v_mad_u64_u32 v[5:6], s[0:1], v10, s25, 0
	v_mad_u64_u32 v[7:8], s[0:1], v10, s16, 0
	v_add_co_u32_e32 v5, vcc, v11, v5
	v_addc_co_u32_e32 v5, vcc, v12, v6, vcc
	v_addc_co_u32_e32 v6, vcc, 0, v8, vcc
	v_add_co_u32_e32 v7, vcc, v5, v7
	v_addc_co_u32_e32 v8, vcc, 0, v6, vcc
	v_mul_lo_u32 v11, s31, v7
	v_mul_lo_u32 v12, s30, v8
	v_mad_u64_u32 v[5:6], s[0:1], s30, v7, 0
	v_add3_u32 v6, v6, v12, v11
	v_sub_u32_e32 v11, v10, v6
	v_mov_b32_e32 v12, s31
	v_sub_co_u32_e32 v5, vcc, v9, v5
	v_subb_co_u32_e64 v9, s[0:1], v11, v12, vcc
	v_subrev_co_u32_e64 v11, s[0:1], s30, v5
	v_subbrev_co_u32_e64 v9, s[0:1], 0, v9, s[0:1]
	v_cmp_le_u32_e64 s[0:1], s31, v9
	v_cndmask_b32_e64 v12, 0, -1, s[0:1]
	v_cmp_le_u32_e64 s[0:1], s30, v11
	v_cndmask_b32_e64 v11, 0, -1, s[0:1]
	v_cmp_eq_u32_e64 s[0:1], s31, v9
	v_cndmask_b32_e64 v9, v12, v11, s[0:1]
	v_add_co_u32_e64 v11, s[0:1], 2, v7
	v_subb_co_u32_e32 v6, vcc, v10, v6, vcc
	v_addc_co_u32_e64 v12, s[0:1], 0, v8, s[0:1]
	v_cmp_le_u32_e32 vcc, s31, v6
	v_add_co_u32_e64 v13, s[0:1], 1, v7
	v_cndmask_b32_e64 v10, 0, -1, vcc
	v_cmp_le_u32_e32 vcc, s30, v5
	v_addc_co_u32_e64 v14, s[0:1], 0, v8, s[0:1]
	v_cndmask_b32_e64 v5, 0, -1, vcc
	v_cmp_eq_u32_e32 vcc, s31, v6
	v_cmp_ne_u32_e64 s[0:1], 0, v9
	v_cndmask_b32_e32 v5, v10, v5, vcc
	v_cmp_ne_u32_e32 vcc, 0, v5
	v_cndmask_b32_e64 v6, v13, v11, s[0:1]
	v_cndmask_b32_e64 v9, v14, v12, s[0:1]
	v_cndmask_b32_e32 v6, v7, v6, vcc
	v_cndmask_b32_e32 v5, v8, v9, vcc
	v_xor_b32_e32 v6, v6, v3
	v_xor_b32_e32 v5, v5, v3
	v_sub_co_u32_e32 v6, vcc, v6, v3
	v_subb_co_u32_e32 v7, vcc, v5, v3, vcc
.LBB56_9:                               ;   in Loop: Header=BB56_3 Depth=1
	s_andn2_saveexec_b64 s[0:1], s[26:27]
	s_cbranch_execz .LBB56_11
; %bb.10:                               ;   in Loop: Header=BB56_3 Depth=1
	v_cvt_f32_u32_e32 v3, s45
	s_sub_i32 s16, 0, s45
	v_rcp_iflag_f32_e32 v3, v3
	v_mul_f32_e32 v3, 0x4f7ffffe, v3
	v_cvt_u32_f32_e32 v3, v3
	v_mul_lo_u32 v5, s16, v3
	v_mul_hi_u32 v5, v3, v5
	v_add_u32_e32 v3, v3, v5
	v_mul_hi_u32 v3, v4, v3
	v_mul_lo_u32 v5, v3, s45
	v_add_u32_e32 v6, 1, v3
	v_sub_u32_e32 v5, v4, v5
	v_subrev_u32_e32 v7, s45, v5
	v_cmp_le_u32_e32 vcc, s45, v5
	v_cndmask_b32_e32 v5, v5, v7, vcc
	v_cndmask_b32_e32 v3, v3, v6, vcc
	v_add_u32_e32 v6, 1, v3
	v_cmp_le_u32_e32 vcc, s45, v5
	v_cndmask_b32_e32 v6, v3, v6, vcc
	v_mov_b32_e32 v7, v2
.LBB56_11:                              ;   in Loop: Header=BB56_3 Depth=1
	s_or_b64 exec, exec, s[0:1]
	v_mad_u64_u32 v[8:9], s[0:1], v4, s33, 0
	v_mad_u64_u32 v[9:10], s[0:1], v6, s45, 0
	v_sub_co_u32_e32 v25, vcc, v0, v8
	v_sub_co_u32_e32 v24, vcc, v4, v9
	v_sub_u32_e32 v3, v25, v24
	v_ashrrev_i32_e32 v4, 31, v3
	v_cmp_gt_i64_e32 vcc, s[8:9], v[3:4]
	s_and_saveexec_b64 s[26:27], vcc
	s_cbranch_execz .LBB56_2
; %bb.12:                               ;   in Loop: Header=BB56_3 Depth=1
	s_load_dwordx2 s[28:29], s[14:15], 0x64
	s_andn2_b64 vcc, exec, s[6:7]
	s_waitcnt lgkmcnt(0)
	v_mul_lo_u32 v3, s29, v25
	v_mad_u64_u32 v[4:5], s[0:1], s28, v24, v[3:4]
	s_cbranch_vccnz .LBB56_57
; %bb.13:                               ;   in Loop: Header=BB56_3 Depth=1
	s_andn2_b64 vcc, exec, s[18:19]
	s_mov_b32 s25, s49
	s_mov_b32 s16, s47
	;; [unrolled: 1-line block ×3, first 2 shown]
	s_cbranch_vccnz .LBB56_21
.LBB56_14:                              ;   Parent Loop BB56_3 Depth=1
                                        ; =>  This Inner Loop Header: Depth=2
	s_lshl_b64 s[30:31], s[16:17], 2
	s_add_u32 s0, s42, s30
	s_addc_u32 s1, s43, s31
	s_load_dword s28, s[0:1], 0x8
                                        ; implicit-def: $vgpr8_vgpr9
	s_waitcnt lgkmcnt(0)
	s_ashr_i32 s0, s28, 31
	v_or_b32_e32 v3, s0, v7
	v_cmp_ne_u64_e32 vcc, 0, v[2:3]
	s_and_saveexec_b64 s[34:35], vcc
	s_xor_b64 s[34:35], exec, s[34:35]
	s_cbranch_execz .LBB56_16
; %bb.15:                               ;   in Loop: Header=BB56_14 Depth=2
	s_ashr_i32 s36, s0, 31
	s_add_u32 s38, s28, s36
	s_mov_b32 s37, s36
	s_addc_u32 s39, s0, s36
	s_xor_b64 s[38:39], s[38:39], s[36:37]
	v_cvt_f32_u32_e32 v3, s38
	v_cvt_f32_u32_e32 v5, s39
	s_sub_u32 s37, 0, s38
	s_subb_u32 s40, 0, s39
	v_mac_f32_e32 v3, 0x4f800000, v5
	v_rcp_f32_e32 v3, v3
	v_mul_f32_e32 v3, 0x5f7ffffc, v3
	v_mul_f32_e32 v5, 0x2f800000, v3
	v_trunc_f32_e32 v5, v5
	v_mac_f32_e32 v3, 0xcf800000, v5
	v_cvt_u32_f32_e32 v5, v5
	v_cvt_u32_f32_e32 v3, v3
	v_readfirstlane_b32 s41, v5
	v_readfirstlane_b32 s0, v3
	s_mul_i32 s1, s37, s41
	s_mul_hi_u32 s51, s37, s0
	s_mul_i32 s50, s40, s0
	s_add_i32 s1, s51, s1
	s_add_i32 s1, s1, s50
	s_mul_i32 s52, s37, s0
	s_mul_i32 s51, s0, s1
	s_mul_hi_u32 s53, s0, s52
	s_mul_hi_u32 s50, s0, s1
	s_add_u32 s51, s53, s51
	s_addc_u32 s50, 0, s50
	s_mul_hi_u32 s54, s41, s52
	s_mul_i32 s52, s41, s52
	s_add_u32 s51, s51, s52
	s_mul_hi_u32 s53, s41, s1
	s_addc_u32 s50, s50, s54
	s_addc_u32 s51, s53, 0
	s_mul_i32 s1, s41, s1
	s_add_u32 s1, s50, s1
	s_addc_u32 s50, 0, s51
	s_add_u32 s51, s0, s1
	s_cselect_b64 s[0:1], -1, 0
	s_cmp_lg_u64 s[0:1], 0
	s_addc_u32 s41, s41, s50
	s_mul_i32 s0, s37, s41
	s_mul_hi_u32 s1, s37, s51
	s_add_i32 s0, s1, s0
	s_mul_i32 s40, s40, s51
	s_add_i32 s0, s0, s40
	s_mul_i32 s37, s37, s51
	s_mul_hi_u32 s40, s41, s37
	s_mul_i32 s50, s41, s37
	s_mul_i32 s53, s51, s0
	s_mul_hi_u32 s37, s51, s37
	s_mul_hi_u32 s52, s51, s0
	s_add_u32 s37, s37, s53
	s_addc_u32 s52, 0, s52
	s_add_u32 s37, s37, s50
	s_mul_hi_u32 s1, s41, s0
	s_addc_u32 s37, s52, s40
	s_addc_u32 s1, s1, 0
	s_mul_i32 s0, s41, s0
	s_add_u32 s0, s37, s0
	s_addc_u32 s37, 0, s1
	s_add_u32 s40, s51, s0
	s_cselect_b64 s[0:1], -1, 0
	v_ashrrev_i32_e32 v3, 31, v7
	s_cmp_lg_u64 s[0:1], 0
	v_add_co_u32_e32 v5, vcc, v6, v3
	s_addc_u32 s37, s41, s37
	v_xor_b32_e32 v5, v5, v3
	v_addc_co_u32_e32 v9, vcc, v7, v3, vcc
	v_mad_u64_u32 v[7:8], s[0:1], v5, s37, 0
	v_mul_hi_u32 v10, v5, s40
	v_xor_b32_e32 v11, v9, v3
	v_xor_b32_e32 v3, s36, v3
	v_add_co_u32_e32 v12, vcc, v10, v7
	v_addc_co_u32_e32 v13, vcc, 0, v8, vcc
	v_mad_u64_u32 v[7:8], s[0:1], v11, s40, 0
	v_mad_u64_u32 v[9:10], s[0:1], v11, s37, 0
	v_add_co_u32_e32 v7, vcc, v12, v7
	v_addc_co_u32_e32 v7, vcc, v13, v8, vcc
	v_addc_co_u32_e32 v8, vcc, 0, v10, vcc
	v_add_co_u32_e32 v9, vcc, v7, v9
	v_addc_co_u32_e32 v10, vcc, 0, v8, vcc
	v_mul_lo_u32 v12, s39, v9
	v_mul_lo_u32 v13, s38, v10
	v_mad_u64_u32 v[7:8], s[0:1], s38, v9, 0
	v_add3_u32 v8, v8, v13, v12
	v_sub_u32_e32 v12, v11, v8
	v_mov_b32_e32 v13, s39
	v_sub_co_u32_e32 v5, vcc, v5, v7
	v_subb_co_u32_e64 v7, s[0:1], v12, v13, vcc
	v_subrev_co_u32_e64 v12, s[0:1], s38, v5
	v_subbrev_co_u32_e64 v7, s[0:1], 0, v7, s[0:1]
	v_cmp_le_u32_e64 s[0:1], s39, v7
	v_cndmask_b32_e64 v13, 0, -1, s[0:1]
	v_cmp_le_u32_e64 s[0:1], s38, v12
	v_cndmask_b32_e64 v12, 0, -1, s[0:1]
	v_cmp_eq_u32_e64 s[0:1], s39, v7
	v_cndmask_b32_e64 v7, v13, v12, s[0:1]
	v_add_co_u32_e64 v12, s[0:1], 2, v9
	v_subb_co_u32_e32 v8, vcc, v11, v8, vcc
	v_addc_co_u32_e64 v13, s[0:1], 0, v10, s[0:1]
	v_cmp_le_u32_e32 vcc, s39, v8
	v_add_co_u32_e64 v14, s[0:1], 1, v9
	v_cndmask_b32_e64 v11, 0, -1, vcc
	v_cmp_le_u32_e32 vcc, s38, v5
	v_addc_co_u32_e64 v15, s[0:1], 0, v10, s[0:1]
	v_cndmask_b32_e64 v5, 0, -1, vcc
	v_cmp_eq_u32_e32 vcc, s39, v8
	v_cmp_ne_u32_e64 s[0:1], 0, v7
	v_cndmask_b32_e32 v5, v11, v5, vcc
	v_cndmask_b32_e64 v7, v15, v13, s[0:1]
	v_cmp_ne_u32_e32 vcc, 0, v5
	v_cndmask_b32_e32 v5, v10, v7, vcc
	v_cndmask_b32_e64 v7, v14, v12, s[0:1]
	v_cndmask_b32_e32 v7, v9, v7, vcc
	v_xor_b32_e32 v7, v7, v3
	v_xor_b32_e32 v5, v5, v3
	v_sub_co_u32_e32 v8, vcc, v7, v3
	v_subb_co_u32_e32 v9, vcc, v5, v3, vcc
.LBB56_16:                              ;   in Loop: Header=BB56_14 Depth=2
	s_andn2_saveexec_b64 s[0:1], s[34:35]
	s_cbranch_execz .LBB56_18
; %bb.17:                               ;   in Loop: Header=BB56_14 Depth=2
	v_cvt_f32_u32_e32 v3, s28
	s_sub_i32 s34, 0, s28
	v_mov_b32_e32 v9, v2
	v_rcp_iflag_f32_e32 v3, v3
	v_mul_f32_e32 v3, 0x4f7ffffe, v3
	v_cvt_u32_f32_e32 v3, v3
	v_mul_lo_u32 v5, s34, v3
	v_mul_hi_u32 v5, v3, v5
	v_add_u32_e32 v3, v3, v5
	v_mul_hi_u32 v3, v6, v3
	v_mul_lo_u32 v5, v3, s28
	v_add_u32_e32 v7, 1, v3
	v_sub_u32_e32 v5, v6, v5
	v_subrev_u32_e32 v8, s28, v5
	v_cmp_le_u32_e32 vcc, s28, v5
	v_cndmask_b32_e32 v5, v5, v8, vcc
	v_cndmask_b32_e32 v3, v3, v7, vcc
	v_add_u32_e32 v7, 1, v3
	v_cmp_le_u32_e32 vcc, s28, v5
	v_cndmask_b32_e32 v8, v3, v7, vcc
.LBB56_18:                              ;   in Loop: Header=BB56_14 Depth=2
	s_or_b64 exec, exec, s[0:1]
	s_add_u32 s0, s4, s30
	s_addc_u32 s1, s5, s31
	v_mul_lo_u32 v3, v8, s28
	s_load_dword s0, s[0:1], 0x6c
	s_add_i32 s16, s16, -1
	s_add_i32 s25, s25, -1
	v_sub_u32_e32 v3, v6, v3
	s_cmp_lg_u32 s25, 0
	s_waitcnt lgkmcnt(0)
	v_mad_u64_u32 v[4:5], s[0:1], s0, v3, v[4:5]
	s_cbranch_scc0 .LBB56_20
; %bb.19:                               ;   in Loop: Header=BB56_14 Depth=2
	v_mov_b32_e32 v6, v8
	v_mov_b32_e32 v7, v9
	s_branch .LBB56_14
.LBB56_20:                              ;   in Loop: Header=BB56_3 Depth=1
	v_mov_b32_e32 v6, v8
	s_mov_b32 s0, s16
	v_mov_b32_e32 v7, v9
.LBB56_21:                              ;   in Loop: Header=BB56_3 Depth=1
	s_andn2_b64 vcc, exec, s[20:21]
	s_cbranch_vccnz .LBB56_57
; %bb.22:                               ;   in Loop: Header=BB56_3 Depth=1
	s_add_i32 s30, s0, -7
.LBB56_23:                              ;   Parent Loop BB56_3 Depth=1
                                        ; =>  This Inner Loop Header: Depth=2
	s_add_i32 s16, s30, 7
	s_lshl_b64 s[34:35], s[16:17], 2
	s_add_u32 s0, s42, s34
	s_addc_u32 s1, s43, s35
	s_load_dword s25, s[0:1], 0x8
                                        ; implicit-def: $vgpr8_vgpr9
	s_waitcnt lgkmcnt(0)
	s_ashr_i32 s0, s25, 31
	v_or_b32_e32 v3, s0, v7
	v_cmp_ne_u64_e32 vcc, 0, v[2:3]
	s_and_saveexec_b64 s[36:37], vcc
	s_xor_b64 s[36:37], exec, s[36:37]
	s_cbranch_execz .LBB56_25
; %bb.24:                               ;   in Loop: Header=BB56_23 Depth=2
	s_ashr_i32 s38, s0, 31
	s_add_u32 s40, s25, s38
	s_mov_b32 s39, s38
	s_addc_u32 s41, s0, s38
	s_xor_b64 s[40:41], s[40:41], s[38:39]
	v_cvt_f32_u32_e32 v3, s40
	v_cvt_f32_u32_e32 v5, s41
	s_sub_u32 s16, 0, s40
	s_subb_u32 s28, 0, s41
	v_mac_f32_e32 v3, 0x4f800000, v5
	v_rcp_f32_e32 v3, v3
	v_mul_f32_e32 v3, 0x5f7ffffc, v3
	v_mul_f32_e32 v5, 0x2f800000, v3
	v_trunc_f32_e32 v5, v5
	v_mac_f32_e32 v3, 0xcf800000, v5
	v_cvt_u32_f32_e32 v5, v5
	v_cvt_u32_f32_e32 v3, v3
	v_readfirstlane_b32 s31, v5
	v_readfirstlane_b32 s0, v3
	s_mul_i32 s1, s16, s31
	s_mul_hi_u32 s50, s16, s0
	s_mul_i32 s39, s28, s0
	s_add_i32 s1, s50, s1
	s_add_i32 s1, s1, s39
	s_mul_i32 s51, s16, s0
	s_mul_i32 s50, s0, s1
	s_mul_hi_u32 s52, s0, s51
	s_mul_hi_u32 s39, s0, s1
	s_add_u32 s50, s52, s50
	s_addc_u32 s39, 0, s39
	s_mul_hi_u32 s53, s31, s51
	s_mul_i32 s51, s31, s51
	s_add_u32 s50, s50, s51
	s_mul_hi_u32 s52, s31, s1
	s_addc_u32 s39, s39, s53
	s_addc_u32 s50, s52, 0
	s_mul_i32 s1, s31, s1
	s_add_u32 s1, s39, s1
	s_addc_u32 s39, 0, s50
	s_add_u32 s50, s0, s1
	s_cselect_b64 s[0:1], -1, 0
	s_cmp_lg_u64 s[0:1], 0
	s_addc_u32 s31, s31, s39
	s_mul_i32 s0, s16, s31
	s_mul_hi_u32 s1, s16, s50
	s_add_i32 s0, s1, s0
	s_mul_i32 s28, s28, s50
	s_add_i32 s0, s0, s28
	s_mul_i32 s16, s16, s50
	s_mul_hi_u32 s28, s31, s16
	s_mul_i32 s39, s31, s16
	s_mul_i32 s52, s50, s0
	s_mul_hi_u32 s16, s50, s16
	s_mul_hi_u32 s51, s50, s0
	s_add_u32 s16, s16, s52
	s_addc_u32 s51, 0, s51
	s_add_u32 s16, s16, s39
	s_mul_hi_u32 s1, s31, s0
	s_addc_u32 s16, s51, s28
	s_addc_u32 s1, s1, 0
	s_mul_i32 s0, s31, s0
	s_add_u32 s0, s16, s0
	s_addc_u32 s16, 0, s1
	s_add_u32 s28, s50, s0
	s_cselect_b64 s[0:1], -1, 0
	v_ashrrev_i32_e32 v3, 31, v7
	s_cmp_lg_u64 s[0:1], 0
	v_add_co_u32_e32 v5, vcc, v6, v3
	s_addc_u32 s16, s31, s16
	v_xor_b32_e32 v5, v5, v3
	v_addc_co_u32_e32 v9, vcc, v7, v3, vcc
	v_mad_u64_u32 v[7:8], s[0:1], v5, s16, 0
	v_mul_hi_u32 v10, v5, s28
	v_xor_b32_e32 v11, v9, v3
	v_xor_b32_e32 v3, s38, v3
	v_add_co_u32_e32 v12, vcc, v10, v7
	v_addc_co_u32_e32 v13, vcc, 0, v8, vcc
	v_mad_u64_u32 v[7:8], s[0:1], v11, s28, 0
	v_mad_u64_u32 v[9:10], s[0:1], v11, s16, 0
	v_add_co_u32_e32 v7, vcc, v12, v7
	v_addc_co_u32_e32 v7, vcc, v13, v8, vcc
	v_addc_co_u32_e32 v8, vcc, 0, v10, vcc
	v_add_co_u32_e32 v9, vcc, v7, v9
	v_addc_co_u32_e32 v10, vcc, 0, v8, vcc
	v_mul_lo_u32 v12, s41, v9
	v_mul_lo_u32 v13, s40, v10
	v_mad_u64_u32 v[7:8], s[0:1], s40, v9, 0
	v_add3_u32 v8, v8, v13, v12
	v_sub_u32_e32 v12, v11, v8
	v_mov_b32_e32 v13, s41
	v_sub_co_u32_e32 v5, vcc, v5, v7
	v_subb_co_u32_e64 v7, s[0:1], v12, v13, vcc
	v_subrev_co_u32_e64 v12, s[0:1], s40, v5
	v_subbrev_co_u32_e64 v7, s[0:1], 0, v7, s[0:1]
	v_cmp_le_u32_e64 s[0:1], s41, v7
	v_cndmask_b32_e64 v13, 0, -1, s[0:1]
	v_cmp_le_u32_e64 s[0:1], s40, v12
	v_cndmask_b32_e64 v12, 0, -1, s[0:1]
	v_cmp_eq_u32_e64 s[0:1], s41, v7
	v_cndmask_b32_e64 v7, v13, v12, s[0:1]
	v_add_co_u32_e64 v12, s[0:1], 2, v9
	v_subb_co_u32_e32 v8, vcc, v11, v8, vcc
	v_addc_co_u32_e64 v13, s[0:1], 0, v10, s[0:1]
	v_cmp_le_u32_e32 vcc, s41, v8
	v_add_co_u32_e64 v14, s[0:1], 1, v9
	v_cndmask_b32_e64 v11, 0, -1, vcc
	v_cmp_le_u32_e32 vcc, s40, v5
	v_addc_co_u32_e64 v15, s[0:1], 0, v10, s[0:1]
	v_cndmask_b32_e64 v5, 0, -1, vcc
	v_cmp_eq_u32_e32 vcc, s41, v8
	v_cmp_ne_u32_e64 s[0:1], 0, v7
	v_cndmask_b32_e32 v5, v11, v5, vcc
	v_cndmask_b32_e64 v7, v15, v13, s[0:1]
	v_cmp_ne_u32_e32 vcc, 0, v5
	v_cndmask_b32_e32 v5, v10, v7, vcc
	v_cndmask_b32_e64 v7, v14, v12, s[0:1]
	v_cndmask_b32_e32 v7, v9, v7, vcc
	v_xor_b32_e32 v7, v7, v3
	v_xor_b32_e32 v5, v5, v3
	v_sub_co_u32_e32 v8, vcc, v7, v3
	v_subb_co_u32_e32 v9, vcc, v5, v3, vcc
.LBB56_25:                              ;   in Loop: Header=BB56_23 Depth=2
	s_andn2_saveexec_b64 s[0:1], s[36:37]
	s_cbranch_execz .LBB56_27
; %bb.26:                               ;   in Loop: Header=BB56_23 Depth=2
	v_cvt_f32_u32_e32 v3, s25
	s_sub_i32 s16, 0, s25
	v_mov_b32_e32 v9, v2
	v_rcp_iflag_f32_e32 v3, v3
	v_mul_f32_e32 v3, 0x4f7ffffe, v3
	v_cvt_u32_f32_e32 v3, v3
	v_mul_lo_u32 v5, s16, v3
	v_mul_hi_u32 v5, v3, v5
	v_add_u32_e32 v3, v3, v5
	v_mul_hi_u32 v3, v6, v3
	v_mul_lo_u32 v5, v3, s25
	v_add_u32_e32 v7, 1, v3
	v_sub_u32_e32 v5, v6, v5
	v_subrev_u32_e32 v8, s25, v5
	v_cmp_le_u32_e32 vcc, s25, v5
	v_cndmask_b32_e32 v5, v5, v8, vcc
	v_cndmask_b32_e32 v3, v3, v7, vcc
	v_add_u32_e32 v7, 1, v3
	v_cmp_le_u32_e32 vcc, s25, v5
	v_cndmask_b32_e32 v8, v3, v7, vcc
.LBB56_27:                              ;   in Loop: Header=BB56_23 Depth=2
	s_or_b64 exec, exec, s[0:1]
	s_add_u32 s0, s4, s34
	s_addc_u32 s1, s5, s35
	s_add_i32 s16, s30, 6
	s_lshl_b64 s[34:35], s[16:17], 2
	s_add_u32 s36, s42, s34
	s_addc_u32 s37, s43, s35
	s_load_dword s50, s[36:37], 0x8
	s_load_dword s28, s[0:1], 0x6c
                                        ; implicit-def: $vgpr10_vgpr11
	s_waitcnt lgkmcnt(0)
	s_ashr_i32 s0, s50, 31
	v_or_b32_e32 v3, s0, v9
	v_cmp_ne_u64_e32 vcc, 0, v[2:3]
	s_and_saveexec_b64 s[36:37], vcc
	s_xor_b64 s[36:37], exec, s[36:37]
	s_cbranch_execz .LBB56_29
; %bb.28:                               ;   in Loop: Header=BB56_23 Depth=2
	s_ashr_i32 s38, s0, 31
	s_add_u32 s40, s50, s38
	s_mov_b32 s39, s38
	s_addc_u32 s41, s0, s38
	s_xor_b64 s[40:41], s[40:41], s[38:39]
	v_cvt_f32_u32_e32 v3, s40
	v_cvt_f32_u32_e32 v5, s41
	s_sub_u32 s16, 0, s40
	s_subb_u32 s31, 0, s41
	v_mac_f32_e32 v3, 0x4f800000, v5
	v_rcp_f32_e32 v3, v3
	v_mul_f32_e32 v3, 0x5f7ffffc, v3
	v_mul_f32_e32 v5, 0x2f800000, v3
	v_trunc_f32_e32 v5, v5
	v_mac_f32_e32 v3, 0xcf800000, v5
	v_cvt_u32_f32_e32 v5, v5
	v_cvt_u32_f32_e32 v3, v3
	v_readfirstlane_b32 s39, v5
	v_readfirstlane_b32 s0, v3
	s_mul_i32 s1, s16, s39
	s_mul_hi_u32 s52, s16, s0
	s_mul_i32 s51, s31, s0
	s_add_i32 s1, s52, s1
	s_add_i32 s1, s1, s51
	s_mul_i32 s53, s16, s0
	s_mul_i32 s52, s0, s1
	s_mul_hi_u32 s54, s0, s53
	s_mul_hi_u32 s51, s0, s1
	s_add_u32 s52, s54, s52
	s_addc_u32 s51, 0, s51
	s_mul_hi_u32 s55, s39, s53
	s_mul_i32 s53, s39, s53
	s_add_u32 s52, s52, s53
	s_mul_hi_u32 s54, s39, s1
	s_addc_u32 s51, s51, s55
	s_addc_u32 s52, s54, 0
	s_mul_i32 s1, s39, s1
	s_add_u32 s1, s51, s1
	s_addc_u32 s51, 0, s52
	s_add_u32 s52, s0, s1
	s_cselect_b64 s[0:1], -1, 0
	s_cmp_lg_u64 s[0:1], 0
	s_addc_u32 s39, s39, s51
	s_mul_i32 s0, s16, s39
	s_mul_hi_u32 s1, s16, s52
	s_add_i32 s0, s1, s0
	s_mul_i32 s31, s31, s52
	s_add_i32 s0, s0, s31
	s_mul_i32 s16, s16, s52
	s_mul_hi_u32 s31, s39, s16
	s_mul_i32 s51, s39, s16
	s_mul_i32 s54, s52, s0
	s_mul_hi_u32 s16, s52, s16
	s_mul_hi_u32 s53, s52, s0
	s_add_u32 s16, s16, s54
	s_addc_u32 s53, 0, s53
	s_add_u32 s16, s16, s51
	s_mul_hi_u32 s1, s39, s0
	s_addc_u32 s16, s53, s31
	s_addc_u32 s1, s1, 0
	s_mul_i32 s0, s39, s0
	s_add_u32 s0, s16, s0
	s_addc_u32 s16, 0, s1
	s_add_u32 s31, s52, s0
	s_cselect_b64 s[0:1], -1, 0
	v_ashrrev_i32_e32 v3, 31, v9
	s_cmp_lg_u64 s[0:1], 0
	v_add_co_u32_e32 v5, vcc, v8, v3
	s_addc_u32 s16, s39, s16
	v_xor_b32_e32 v5, v5, v3
	v_addc_co_u32_e32 v7, vcc, v9, v3, vcc
	v_mad_u64_u32 v[9:10], s[0:1], v5, s16, 0
	v_mul_hi_u32 v11, v5, s31
	v_xor_b32_e32 v7, v7, v3
	v_xor_b32_e32 v3, s38, v3
	v_add_co_u32_e32 v13, vcc, v11, v9
	v_addc_co_u32_e32 v14, vcc, 0, v10, vcc
	v_mad_u64_u32 v[9:10], s[0:1], v7, s31, 0
	v_mad_u64_u32 v[11:12], s[0:1], v7, s16, 0
	v_add_co_u32_e32 v9, vcc, v13, v9
	v_addc_co_u32_e32 v9, vcc, v14, v10, vcc
	v_addc_co_u32_e32 v10, vcc, 0, v12, vcc
	v_add_co_u32_e32 v11, vcc, v9, v11
	v_addc_co_u32_e32 v12, vcc, 0, v10, vcc
	v_mul_lo_u32 v13, s41, v11
	v_mul_lo_u32 v14, s40, v12
	v_mad_u64_u32 v[9:10], s[0:1], s40, v11, 0
	v_add3_u32 v10, v10, v14, v13
	v_sub_u32_e32 v13, v7, v10
	v_mov_b32_e32 v14, s41
	v_sub_co_u32_e32 v5, vcc, v5, v9
	v_subb_co_u32_e64 v9, s[0:1], v13, v14, vcc
	v_subrev_co_u32_e64 v13, s[0:1], s40, v5
	v_subbrev_co_u32_e64 v9, s[0:1], 0, v9, s[0:1]
	v_cmp_le_u32_e64 s[0:1], s41, v9
	v_cndmask_b32_e64 v14, 0, -1, s[0:1]
	v_cmp_le_u32_e64 s[0:1], s40, v13
	v_cndmask_b32_e64 v13, 0, -1, s[0:1]
	v_cmp_eq_u32_e64 s[0:1], s41, v9
	v_cndmask_b32_e64 v9, v14, v13, s[0:1]
	v_add_co_u32_e64 v13, s[0:1], 2, v11
	v_subb_co_u32_e32 v7, vcc, v7, v10, vcc
	v_addc_co_u32_e64 v14, s[0:1], 0, v12, s[0:1]
	v_cmp_le_u32_e32 vcc, s41, v7
	v_add_co_u32_e64 v15, s[0:1], 1, v11
	v_cndmask_b32_e64 v10, 0, -1, vcc
	v_cmp_le_u32_e32 vcc, s40, v5
	v_addc_co_u32_e64 v16, s[0:1], 0, v12, s[0:1]
	v_cndmask_b32_e64 v5, 0, -1, vcc
	v_cmp_eq_u32_e32 vcc, s41, v7
	v_cmp_ne_u32_e64 s[0:1], 0, v9
	v_cndmask_b32_e32 v5, v10, v5, vcc
	v_cmp_ne_u32_e32 vcc, 0, v5
	v_cndmask_b32_e64 v7, v15, v13, s[0:1]
	v_cndmask_b32_e64 v9, v16, v14, s[0:1]
	v_cndmask_b32_e32 v7, v11, v7, vcc
	v_cndmask_b32_e32 v5, v12, v9, vcc
	v_xor_b32_e32 v7, v7, v3
	v_xor_b32_e32 v5, v5, v3
	v_sub_co_u32_e32 v10, vcc, v7, v3
	v_subb_co_u32_e32 v11, vcc, v5, v3, vcc
.LBB56_29:                              ;   in Loop: Header=BB56_23 Depth=2
	s_andn2_saveexec_b64 s[0:1], s[36:37]
	s_cbranch_execz .LBB56_31
; %bb.30:                               ;   in Loop: Header=BB56_23 Depth=2
	v_cvt_f32_u32_e32 v3, s50
	s_sub_i32 s16, 0, s50
	v_mov_b32_e32 v11, v2
	v_rcp_iflag_f32_e32 v3, v3
	v_mul_f32_e32 v3, 0x4f7ffffe, v3
	v_cvt_u32_f32_e32 v3, v3
	v_mul_lo_u32 v5, s16, v3
	v_mul_hi_u32 v5, v3, v5
	v_add_u32_e32 v3, v3, v5
	v_mul_hi_u32 v3, v8, v3
	v_mul_lo_u32 v5, v3, s50
	v_add_u32_e32 v7, 1, v3
	v_sub_u32_e32 v5, v8, v5
	v_subrev_u32_e32 v9, s50, v5
	v_cmp_le_u32_e32 vcc, s50, v5
	v_cndmask_b32_e32 v5, v5, v9, vcc
	v_cndmask_b32_e32 v3, v3, v7, vcc
	v_add_u32_e32 v7, 1, v3
	v_cmp_le_u32_e32 vcc, s50, v5
	v_cndmask_b32_e32 v10, v3, v7, vcc
.LBB56_31:                              ;   in Loop: Header=BB56_23 Depth=2
	s_or_b64 exec, exec, s[0:1]
	s_add_u32 s0, s4, s34
	s_addc_u32 s1, s5, s35
	s_add_i32 s16, s30, 5
	s_lshl_b64 s[34:35], s[16:17], 2
	s_add_u32 s36, s42, s34
	s_addc_u32 s37, s43, s35
	s_load_dword s52, s[36:37], 0x8
	s_load_dword s51, s[0:1], 0x6c
                                        ; implicit-def: $vgpr12_vgpr13
	s_waitcnt lgkmcnt(0)
	s_ashr_i32 s0, s52, 31
	v_or_b32_e32 v3, s0, v11
	v_cmp_ne_u64_e32 vcc, 0, v[2:3]
	s_and_saveexec_b64 s[36:37], vcc
	s_xor_b64 s[36:37], exec, s[36:37]
	s_cbranch_execz .LBB56_33
; %bb.32:                               ;   in Loop: Header=BB56_23 Depth=2
	s_ashr_i32 s38, s0, 31
	s_add_u32 s40, s52, s38
	s_mov_b32 s39, s38
	s_addc_u32 s41, s0, s38
	s_xor_b64 s[40:41], s[40:41], s[38:39]
	v_cvt_f32_u32_e32 v3, s40
	v_cvt_f32_u32_e32 v5, s41
	s_sub_u32 s16, 0, s40
	s_subb_u32 s31, 0, s41
	v_mac_f32_e32 v3, 0x4f800000, v5
	v_rcp_f32_e32 v3, v3
	v_mul_f32_e32 v3, 0x5f7ffffc, v3
	v_mul_f32_e32 v5, 0x2f800000, v3
	v_trunc_f32_e32 v5, v5
	v_mac_f32_e32 v3, 0xcf800000, v5
	v_cvt_u32_f32_e32 v5, v5
	v_cvt_u32_f32_e32 v3, v3
	v_readfirstlane_b32 s39, v5
	v_readfirstlane_b32 s0, v3
	s_mul_i32 s1, s16, s39
	s_mul_hi_u32 s54, s16, s0
	s_mul_i32 s53, s31, s0
	s_add_i32 s1, s54, s1
	s_add_i32 s1, s1, s53
	s_mul_i32 s55, s16, s0
	s_mul_i32 s54, s0, s1
	s_mul_hi_u32 s56, s0, s55
	s_mul_hi_u32 s53, s0, s1
	s_add_u32 s54, s56, s54
	s_addc_u32 s53, 0, s53
	s_mul_hi_u32 s57, s39, s55
	s_mul_i32 s55, s39, s55
	s_add_u32 s54, s54, s55
	s_mul_hi_u32 s56, s39, s1
	s_addc_u32 s53, s53, s57
	s_addc_u32 s54, s56, 0
	s_mul_i32 s1, s39, s1
	s_add_u32 s1, s53, s1
	s_addc_u32 s53, 0, s54
	s_add_u32 s54, s0, s1
	s_cselect_b64 s[0:1], -1, 0
	s_cmp_lg_u64 s[0:1], 0
	s_addc_u32 s39, s39, s53
	s_mul_i32 s0, s16, s39
	s_mul_hi_u32 s1, s16, s54
	s_add_i32 s0, s1, s0
	s_mul_i32 s31, s31, s54
	s_add_i32 s0, s0, s31
	s_mul_i32 s16, s16, s54
	s_mul_hi_u32 s31, s39, s16
	s_mul_i32 s53, s39, s16
	s_mul_i32 s56, s54, s0
	s_mul_hi_u32 s16, s54, s16
	s_mul_hi_u32 s55, s54, s0
	s_add_u32 s16, s16, s56
	s_addc_u32 s55, 0, s55
	s_add_u32 s16, s16, s53
	s_mul_hi_u32 s1, s39, s0
	s_addc_u32 s16, s55, s31
	s_addc_u32 s1, s1, 0
	s_mul_i32 s0, s39, s0
	s_add_u32 s0, s16, s0
	s_addc_u32 s16, 0, s1
	s_add_u32 s31, s54, s0
	s_cselect_b64 s[0:1], -1, 0
	v_ashrrev_i32_e32 v3, 31, v11
	s_cmp_lg_u64 s[0:1], 0
	v_add_co_u32_e32 v5, vcc, v10, v3
	s_addc_u32 s16, s39, s16
	v_xor_b32_e32 v5, v5, v3
	v_addc_co_u32_e32 v7, vcc, v11, v3, vcc
	v_mad_u64_u32 v[11:12], s[0:1], v5, s16, 0
	v_mul_hi_u32 v9, v5, s31
	v_xor_b32_e32 v7, v7, v3
	v_mad_u64_u32 v[13:14], s[0:1], v7, s16, 0
	v_add_co_u32_e32 v9, vcc, v9, v11
	v_addc_co_u32_e32 v15, vcc, 0, v12, vcc
	v_mad_u64_u32 v[11:12], s[0:1], v7, s31, 0
	v_xor_b32_e32 v3, s38, v3
	v_add_co_u32_e32 v9, vcc, v9, v11
	v_addc_co_u32_e32 v9, vcc, v15, v12, vcc
	v_addc_co_u32_e32 v11, vcc, 0, v14, vcc
	v_add_co_u32_e32 v9, vcc, v9, v13
	v_addc_co_u32_e32 v13, vcc, 0, v11, vcc
	v_mul_lo_u32 v14, s41, v9
	v_mul_lo_u32 v15, s40, v13
	v_mad_u64_u32 v[11:12], s[0:1], s40, v9, 0
	v_add3_u32 v12, v12, v15, v14
	v_sub_u32_e32 v14, v7, v12
	v_mov_b32_e32 v15, s41
	v_sub_co_u32_e32 v5, vcc, v5, v11
	v_subb_co_u32_e64 v11, s[0:1], v14, v15, vcc
	v_subrev_co_u32_e64 v14, s[0:1], s40, v5
	v_subbrev_co_u32_e64 v11, s[0:1], 0, v11, s[0:1]
	v_cmp_le_u32_e64 s[0:1], s41, v11
	v_cndmask_b32_e64 v15, 0, -1, s[0:1]
	v_cmp_le_u32_e64 s[0:1], s40, v14
	v_cndmask_b32_e64 v14, 0, -1, s[0:1]
	v_cmp_eq_u32_e64 s[0:1], s41, v11
	v_cndmask_b32_e64 v11, v15, v14, s[0:1]
	v_add_co_u32_e64 v14, s[0:1], 2, v9
	v_subb_co_u32_e32 v7, vcc, v7, v12, vcc
	v_addc_co_u32_e64 v15, s[0:1], 0, v13, s[0:1]
	v_cmp_le_u32_e32 vcc, s41, v7
	v_add_co_u32_e64 v16, s[0:1], 1, v9
	v_cndmask_b32_e64 v12, 0, -1, vcc
	v_cmp_le_u32_e32 vcc, s40, v5
	v_addc_co_u32_e64 v17, s[0:1], 0, v13, s[0:1]
	v_cndmask_b32_e64 v5, 0, -1, vcc
	v_cmp_eq_u32_e32 vcc, s41, v7
	v_cmp_ne_u32_e64 s[0:1], 0, v11
	v_cndmask_b32_e32 v5, v12, v5, vcc
	v_cmp_ne_u32_e32 vcc, 0, v5
	v_cndmask_b32_e64 v7, v16, v14, s[0:1]
	v_cndmask_b32_e64 v11, v17, v15, s[0:1]
	v_cndmask_b32_e32 v7, v9, v7, vcc
	v_cndmask_b32_e32 v5, v13, v11, vcc
	v_xor_b32_e32 v7, v7, v3
	v_xor_b32_e32 v5, v5, v3
	v_sub_co_u32_e32 v12, vcc, v7, v3
	v_subb_co_u32_e32 v13, vcc, v5, v3, vcc
.LBB56_33:                              ;   in Loop: Header=BB56_23 Depth=2
	s_andn2_saveexec_b64 s[0:1], s[36:37]
	s_cbranch_execz .LBB56_35
; %bb.34:                               ;   in Loop: Header=BB56_23 Depth=2
	v_cvt_f32_u32_e32 v3, s52
	s_sub_i32 s16, 0, s52
	v_mov_b32_e32 v13, v2
	v_rcp_iflag_f32_e32 v3, v3
	v_mul_f32_e32 v3, 0x4f7ffffe, v3
	v_cvt_u32_f32_e32 v3, v3
	v_mul_lo_u32 v5, s16, v3
	v_mul_hi_u32 v5, v3, v5
	v_add_u32_e32 v3, v3, v5
	v_mul_hi_u32 v3, v10, v3
	v_mul_lo_u32 v5, v3, s52
	v_add_u32_e32 v7, 1, v3
	v_sub_u32_e32 v5, v10, v5
	v_subrev_u32_e32 v9, s52, v5
	v_cmp_le_u32_e32 vcc, s52, v5
	v_cndmask_b32_e32 v5, v5, v9, vcc
	v_cndmask_b32_e32 v3, v3, v7, vcc
	v_add_u32_e32 v7, 1, v3
	v_cmp_le_u32_e32 vcc, s52, v5
	v_cndmask_b32_e32 v12, v3, v7, vcc
.LBB56_35:                              ;   in Loop: Header=BB56_23 Depth=2
	s_or_b64 exec, exec, s[0:1]
	s_add_u32 s0, s4, s34
	s_addc_u32 s1, s5, s35
	s_add_i32 s16, s30, 4
	s_lshl_b64 s[34:35], s[16:17], 2
	s_add_u32 s36, s42, s34
	s_addc_u32 s37, s43, s35
	s_load_dword s54, s[36:37], 0x8
	s_load_dword s53, s[0:1], 0x6c
                                        ; implicit-def: $vgpr14_vgpr15
	s_waitcnt lgkmcnt(0)
	s_ashr_i32 s0, s54, 31
	v_or_b32_e32 v3, s0, v13
	v_cmp_ne_u64_e32 vcc, 0, v[2:3]
	s_and_saveexec_b64 s[36:37], vcc
	s_xor_b64 s[36:37], exec, s[36:37]
	s_cbranch_execz .LBB56_37
; %bb.36:                               ;   in Loop: Header=BB56_23 Depth=2
	s_ashr_i32 s38, s0, 31
	s_add_u32 s40, s54, s38
	s_mov_b32 s39, s38
	s_addc_u32 s41, s0, s38
	s_xor_b64 s[40:41], s[40:41], s[38:39]
	v_cvt_f32_u32_e32 v3, s40
	v_cvt_f32_u32_e32 v5, s41
	s_sub_u32 s16, 0, s40
	s_subb_u32 s31, 0, s41
	v_mac_f32_e32 v3, 0x4f800000, v5
	v_rcp_f32_e32 v3, v3
	v_mul_f32_e32 v3, 0x5f7ffffc, v3
	v_mul_f32_e32 v5, 0x2f800000, v3
	v_trunc_f32_e32 v5, v5
	v_mac_f32_e32 v3, 0xcf800000, v5
	v_cvt_u32_f32_e32 v5, v5
	v_cvt_u32_f32_e32 v3, v3
	v_readfirstlane_b32 s39, v5
	v_readfirstlane_b32 s0, v3
	s_mul_i32 s1, s16, s39
	s_mul_hi_u32 s56, s16, s0
	s_mul_i32 s55, s31, s0
	s_add_i32 s1, s56, s1
	s_add_i32 s1, s1, s55
	s_mul_i32 s57, s16, s0
	s_mul_i32 s56, s0, s1
	s_mul_hi_u32 s58, s0, s57
	s_mul_hi_u32 s55, s0, s1
	s_add_u32 s56, s58, s56
	s_addc_u32 s55, 0, s55
	s_mul_hi_u32 s59, s39, s57
	s_mul_i32 s57, s39, s57
	s_add_u32 s56, s56, s57
	s_mul_hi_u32 s58, s39, s1
	s_addc_u32 s55, s55, s59
	s_addc_u32 s56, s58, 0
	s_mul_i32 s1, s39, s1
	s_add_u32 s1, s55, s1
	s_addc_u32 s55, 0, s56
	s_add_u32 s56, s0, s1
	s_cselect_b64 s[0:1], -1, 0
	s_cmp_lg_u64 s[0:1], 0
	s_addc_u32 s39, s39, s55
	s_mul_i32 s0, s16, s39
	s_mul_hi_u32 s1, s16, s56
	s_add_i32 s0, s1, s0
	s_mul_i32 s31, s31, s56
	s_add_i32 s0, s0, s31
	s_mul_i32 s16, s16, s56
	s_mul_hi_u32 s31, s39, s16
	s_mul_i32 s55, s39, s16
	s_mul_i32 s58, s56, s0
	s_mul_hi_u32 s16, s56, s16
	s_mul_hi_u32 s57, s56, s0
	s_add_u32 s16, s16, s58
	s_addc_u32 s57, 0, s57
	s_add_u32 s16, s16, s55
	s_mul_hi_u32 s1, s39, s0
	s_addc_u32 s16, s57, s31
	s_addc_u32 s1, s1, 0
	s_mul_i32 s0, s39, s0
	s_add_u32 s0, s16, s0
	s_addc_u32 s16, 0, s1
	s_add_u32 s31, s56, s0
	s_cselect_b64 s[0:1], -1, 0
	v_ashrrev_i32_e32 v3, 31, v13
	s_cmp_lg_u64 s[0:1], 0
	v_add_co_u32_e32 v5, vcc, v12, v3
	s_addc_u32 s16, s39, s16
	v_xor_b32_e32 v5, v5, v3
	v_addc_co_u32_e32 v7, vcc, v13, v3, vcc
	v_mad_u64_u32 v[13:14], s[0:1], v5, s16, 0
	v_mul_hi_u32 v9, v5, s31
	v_xor_b32_e32 v7, v7, v3
	v_mad_u64_u32 v[15:16], s[0:1], v7, s16, 0
	v_add_co_u32_e32 v9, vcc, v9, v13
	v_addc_co_u32_e32 v11, vcc, 0, v14, vcc
	v_mad_u64_u32 v[13:14], s[0:1], v7, s31, 0
	v_xor_b32_e32 v3, s38, v3
	v_add_co_u32_e32 v9, vcc, v9, v13
	v_addc_co_u32_e32 v9, vcc, v11, v14, vcc
	v_addc_co_u32_e32 v11, vcc, 0, v16, vcc
	v_add_co_u32_e32 v9, vcc, v9, v15
	v_addc_co_u32_e32 v11, vcc, 0, v11, vcc
	v_mul_lo_u32 v15, s41, v9
	v_mul_lo_u32 v16, s40, v11
	v_mad_u64_u32 v[13:14], s[0:1], s40, v9, 0
	v_add3_u32 v14, v14, v16, v15
	v_sub_u32_e32 v15, v7, v14
	v_mov_b32_e32 v16, s41
	v_sub_co_u32_e32 v5, vcc, v5, v13
	v_subb_co_u32_e64 v13, s[0:1], v15, v16, vcc
	v_subrev_co_u32_e64 v15, s[0:1], s40, v5
	v_subbrev_co_u32_e64 v13, s[0:1], 0, v13, s[0:1]
	v_cmp_le_u32_e64 s[0:1], s41, v13
	v_cndmask_b32_e64 v16, 0, -1, s[0:1]
	v_cmp_le_u32_e64 s[0:1], s40, v15
	v_cndmask_b32_e64 v15, 0, -1, s[0:1]
	v_cmp_eq_u32_e64 s[0:1], s41, v13
	v_cndmask_b32_e64 v13, v16, v15, s[0:1]
	v_add_co_u32_e64 v15, s[0:1], 2, v9
	v_subb_co_u32_e32 v7, vcc, v7, v14, vcc
	v_addc_co_u32_e64 v16, s[0:1], 0, v11, s[0:1]
	v_cmp_le_u32_e32 vcc, s41, v7
	v_add_co_u32_e64 v17, s[0:1], 1, v9
	v_cndmask_b32_e64 v14, 0, -1, vcc
	v_cmp_le_u32_e32 vcc, s40, v5
	v_addc_co_u32_e64 v18, s[0:1], 0, v11, s[0:1]
	v_cndmask_b32_e64 v5, 0, -1, vcc
	v_cmp_eq_u32_e32 vcc, s41, v7
	v_cmp_ne_u32_e64 s[0:1], 0, v13
	v_cndmask_b32_e32 v5, v14, v5, vcc
	v_cmp_ne_u32_e32 vcc, 0, v5
	v_cndmask_b32_e64 v7, v17, v15, s[0:1]
	v_cndmask_b32_e64 v13, v18, v16, s[0:1]
	v_cndmask_b32_e32 v7, v9, v7, vcc
	v_cndmask_b32_e32 v5, v11, v13, vcc
	v_xor_b32_e32 v7, v7, v3
	v_xor_b32_e32 v5, v5, v3
	v_sub_co_u32_e32 v14, vcc, v7, v3
	v_subb_co_u32_e32 v15, vcc, v5, v3, vcc
.LBB56_37:                              ;   in Loop: Header=BB56_23 Depth=2
	s_andn2_saveexec_b64 s[0:1], s[36:37]
	s_cbranch_execz .LBB56_39
; %bb.38:                               ;   in Loop: Header=BB56_23 Depth=2
	v_cvt_f32_u32_e32 v3, s54
	s_sub_i32 s16, 0, s54
	v_mov_b32_e32 v15, v2
	v_rcp_iflag_f32_e32 v3, v3
	v_mul_f32_e32 v3, 0x4f7ffffe, v3
	v_cvt_u32_f32_e32 v3, v3
	v_mul_lo_u32 v5, s16, v3
	v_mul_hi_u32 v5, v3, v5
	v_add_u32_e32 v3, v3, v5
	v_mul_hi_u32 v3, v12, v3
	v_mul_lo_u32 v5, v3, s54
	v_add_u32_e32 v7, 1, v3
	v_sub_u32_e32 v5, v12, v5
	v_subrev_u32_e32 v9, s54, v5
	v_cmp_le_u32_e32 vcc, s54, v5
	v_cndmask_b32_e32 v5, v5, v9, vcc
	v_cndmask_b32_e32 v3, v3, v7, vcc
	v_add_u32_e32 v7, 1, v3
	v_cmp_le_u32_e32 vcc, s54, v5
	v_cndmask_b32_e32 v14, v3, v7, vcc
.LBB56_39:                              ;   in Loop: Header=BB56_23 Depth=2
	s_or_b64 exec, exec, s[0:1]
	s_add_u32 s0, s4, s34
	s_addc_u32 s1, s5, s35
	s_add_i32 s16, s30, 3
	s_lshl_b64 s[34:35], s[16:17], 2
	s_add_u32 s36, s42, s34
	s_addc_u32 s37, s43, s35
	s_load_dword s55, s[36:37], 0x8
	s_load_dword s56, s[0:1], 0x6c
                                        ; implicit-def: $vgpr16_vgpr17
	s_waitcnt lgkmcnt(0)
	s_ashr_i32 s0, s55, 31
	v_or_b32_e32 v3, s0, v15
	v_cmp_ne_u64_e32 vcc, 0, v[2:3]
	s_and_saveexec_b64 s[36:37], vcc
	s_xor_b64 s[36:37], exec, s[36:37]
	s_cbranch_execz .LBB56_41
; %bb.40:                               ;   in Loop: Header=BB56_23 Depth=2
	s_ashr_i32 s38, s0, 31
	s_add_u32 s40, s55, s38
	s_mov_b32 s39, s38
	s_addc_u32 s41, s0, s38
	s_xor_b64 s[40:41], s[40:41], s[38:39]
	v_cvt_f32_u32_e32 v3, s40
	v_cvt_f32_u32_e32 v5, s41
	s_sub_u32 s16, 0, s40
	s_subb_u32 s31, 0, s41
	v_mac_f32_e32 v3, 0x4f800000, v5
	v_rcp_f32_e32 v3, v3
	v_mul_f32_e32 v3, 0x5f7ffffc, v3
	v_mul_f32_e32 v5, 0x2f800000, v3
	v_trunc_f32_e32 v5, v5
	v_mac_f32_e32 v3, 0xcf800000, v5
	v_cvt_u32_f32_e32 v5, v5
	v_cvt_u32_f32_e32 v3, v3
	v_readfirstlane_b32 s39, v5
	v_readfirstlane_b32 s0, v3
	s_mul_i32 s1, s16, s39
	s_mul_hi_u32 s58, s16, s0
	s_mul_i32 s57, s31, s0
	s_add_i32 s1, s58, s1
	s_add_i32 s1, s1, s57
	s_mul_i32 s59, s16, s0
	s_mul_i32 s58, s0, s1
	s_mul_hi_u32 s60, s0, s59
	s_mul_hi_u32 s57, s0, s1
	s_add_u32 s58, s60, s58
	s_addc_u32 s57, 0, s57
	s_mul_hi_u32 s61, s39, s59
	s_mul_i32 s59, s39, s59
	s_add_u32 s58, s58, s59
	s_mul_hi_u32 s60, s39, s1
	s_addc_u32 s57, s57, s61
	s_addc_u32 s58, s60, 0
	s_mul_i32 s1, s39, s1
	s_add_u32 s1, s57, s1
	s_addc_u32 s57, 0, s58
	s_add_u32 s58, s0, s1
	s_cselect_b64 s[0:1], -1, 0
	s_cmp_lg_u64 s[0:1], 0
	s_addc_u32 s39, s39, s57
	s_mul_i32 s0, s16, s39
	s_mul_hi_u32 s1, s16, s58
	s_add_i32 s0, s1, s0
	s_mul_i32 s31, s31, s58
	s_add_i32 s0, s0, s31
	s_mul_i32 s16, s16, s58
	s_mul_hi_u32 s31, s39, s16
	s_mul_i32 s57, s39, s16
	s_mul_i32 s60, s58, s0
	s_mul_hi_u32 s16, s58, s16
	s_mul_hi_u32 s59, s58, s0
	s_add_u32 s16, s16, s60
	s_addc_u32 s59, 0, s59
	s_add_u32 s16, s16, s57
	s_mul_hi_u32 s1, s39, s0
	s_addc_u32 s16, s59, s31
	s_addc_u32 s1, s1, 0
	s_mul_i32 s0, s39, s0
	s_add_u32 s0, s16, s0
	s_addc_u32 s16, 0, s1
	s_add_u32 s31, s58, s0
	s_cselect_b64 s[0:1], -1, 0
	v_ashrrev_i32_e32 v3, 31, v15
	s_cmp_lg_u64 s[0:1], 0
	v_add_co_u32_e32 v5, vcc, v14, v3
	s_addc_u32 s16, s39, s16
	v_xor_b32_e32 v5, v5, v3
	v_addc_co_u32_e32 v7, vcc, v15, v3, vcc
	v_mad_u64_u32 v[15:16], s[0:1], v5, s16, 0
	v_mul_hi_u32 v9, v5, s31
	v_xor_b32_e32 v7, v7, v3
	v_mad_u64_u32 v[17:18], s[0:1], v7, s16, 0
	v_add_co_u32_e32 v9, vcc, v9, v15
	v_addc_co_u32_e32 v11, vcc, 0, v16, vcc
	v_mad_u64_u32 v[15:16], s[0:1], v7, s31, 0
	v_xor_b32_e32 v3, s38, v3
	v_add_co_u32_e32 v9, vcc, v9, v15
	v_addc_co_u32_e32 v9, vcc, v11, v16, vcc
	v_addc_co_u32_e32 v11, vcc, 0, v18, vcc
	v_add_co_u32_e32 v9, vcc, v9, v17
	v_addc_co_u32_e32 v11, vcc, 0, v11, vcc
	v_mul_lo_u32 v13, s41, v9
	v_mul_lo_u32 v17, s40, v11
	v_mad_u64_u32 v[15:16], s[0:1], s40, v9, 0
	v_add3_u32 v13, v16, v17, v13
	v_sub_u32_e32 v16, v7, v13
	v_mov_b32_e32 v17, s41
	v_sub_co_u32_e32 v5, vcc, v5, v15
	v_subb_co_u32_e64 v15, s[0:1], v16, v17, vcc
	v_subrev_co_u32_e64 v16, s[0:1], s40, v5
	v_subbrev_co_u32_e64 v15, s[0:1], 0, v15, s[0:1]
	v_cmp_le_u32_e64 s[0:1], s41, v15
	v_cndmask_b32_e64 v17, 0, -1, s[0:1]
	v_cmp_le_u32_e64 s[0:1], s40, v16
	v_cndmask_b32_e64 v16, 0, -1, s[0:1]
	v_cmp_eq_u32_e64 s[0:1], s41, v15
	v_cndmask_b32_e64 v15, v17, v16, s[0:1]
	v_add_co_u32_e64 v16, s[0:1], 2, v9
	v_subb_co_u32_e32 v7, vcc, v7, v13, vcc
	v_addc_co_u32_e64 v17, s[0:1], 0, v11, s[0:1]
	v_cmp_le_u32_e32 vcc, s41, v7
	v_add_co_u32_e64 v18, s[0:1], 1, v9
	v_cndmask_b32_e64 v13, 0, -1, vcc
	v_cmp_le_u32_e32 vcc, s40, v5
	v_addc_co_u32_e64 v19, s[0:1], 0, v11, s[0:1]
	v_cndmask_b32_e64 v5, 0, -1, vcc
	v_cmp_eq_u32_e32 vcc, s41, v7
	v_cmp_ne_u32_e64 s[0:1], 0, v15
	v_cndmask_b32_e32 v5, v13, v5, vcc
	v_cmp_ne_u32_e32 vcc, 0, v5
	v_cndmask_b32_e64 v7, v18, v16, s[0:1]
	v_cndmask_b32_e64 v15, v19, v17, s[0:1]
	v_cndmask_b32_e32 v7, v9, v7, vcc
	v_cndmask_b32_e32 v5, v11, v15, vcc
	v_xor_b32_e32 v7, v7, v3
	v_xor_b32_e32 v5, v5, v3
	v_sub_co_u32_e32 v16, vcc, v7, v3
	v_subb_co_u32_e32 v17, vcc, v5, v3, vcc
.LBB56_41:                              ;   in Loop: Header=BB56_23 Depth=2
	s_andn2_saveexec_b64 s[0:1], s[36:37]
	s_cbranch_execz .LBB56_43
; %bb.42:                               ;   in Loop: Header=BB56_23 Depth=2
	v_cvt_f32_u32_e32 v3, s55
	s_sub_i32 s16, 0, s55
	v_mov_b32_e32 v17, v2
	v_rcp_iflag_f32_e32 v3, v3
	v_mul_f32_e32 v3, 0x4f7ffffe, v3
	v_cvt_u32_f32_e32 v3, v3
	v_mul_lo_u32 v5, s16, v3
	v_mul_hi_u32 v5, v3, v5
	v_add_u32_e32 v3, v3, v5
	v_mul_hi_u32 v3, v14, v3
	v_mul_lo_u32 v5, v3, s55
	v_add_u32_e32 v7, 1, v3
	v_sub_u32_e32 v5, v14, v5
	v_subrev_u32_e32 v9, s55, v5
	v_cmp_le_u32_e32 vcc, s55, v5
	v_cndmask_b32_e32 v5, v5, v9, vcc
	v_cndmask_b32_e32 v3, v3, v7, vcc
	v_add_u32_e32 v7, 1, v3
	v_cmp_le_u32_e32 vcc, s55, v5
	v_cndmask_b32_e32 v16, v3, v7, vcc
.LBB56_43:                              ;   in Loop: Header=BB56_23 Depth=2
	s_or_b64 exec, exec, s[0:1]
	s_add_u32 s0, s4, s34
	s_addc_u32 s1, s5, s35
	s_add_i32 s16, s30, 2
	s_lshl_b64 s[34:35], s[16:17], 2
	s_add_u32 s36, s42, s34
	s_addc_u32 s37, s43, s35
	s_load_dword s58, s[36:37], 0x8
	s_load_dword s57, s[0:1], 0x6c
                                        ; implicit-def: $vgpr18_vgpr19
	s_waitcnt lgkmcnt(0)
	s_ashr_i32 s0, s58, 31
	v_or_b32_e32 v3, s0, v17
	v_cmp_ne_u64_e32 vcc, 0, v[2:3]
	s_and_saveexec_b64 s[36:37], vcc
	s_xor_b64 s[36:37], exec, s[36:37]
	s_cbranch_execz .LBB56_45
; %bb.44:                               ;   in Loop: Header=BB56_23 Depth=2
	s_ashr_i32 s38, s0, 31
	s_add_u32 s40, s58, s38
	s_mov_b32 s39, s38
	s_addc_u32 s41, s0, s38
	s_xor_b64 s[40:41], s[40:41], s[38:39]
	v_cvt_f32_u32_e32 v3, s40
	v_cvt_f32_u32_e32 v5, s41
	s_sub_u32 s16, 0, s40
	s_subb_u32 s31, 0, s41
	v_mac_f32_e32 v3, 0x4f800000, v5
	v_rcp_f32_e32 v3, v3
	v_mul_f32_e32 v3, 0x5f7ffffc, v3
	v_mul_f32_e32 v5, 0x2f800000, v3
	v_trunc_f32_e32 v5, v5
	v_mac_f32_e32 v3, 0xcf800000, v5
	v_cvt_u32_f32_e32 v5, v5
	v_cvt_u32_f32_e32 v3, v3
	v_readfirstlane_b32 s39, v5
	v_readfirstlane_b32 s0, v3
	s_mul_i32 s1, s16, s39
	s_mul_hi_u32 s60, s16, s0
	s_mul_i32 s59, s31, s0
	s_add_i32 s1, s60, s1
	s_add_i32 s1, s1, s59
	s_mul_i32 s61, s16, s0
	s_mul_i32 s60, s0, s1
	s_mul_hi_u32 s62, s0, s61
	s_mul_hi_u32 s59, s0, s1
	s_add_u32 s60, s62, s60
	s_addc_u32 s59, 0, s59
	s_mul_hi_u32 s63, s39, s61
	s_mul_i32 s61, s39, s61
	s_add_u32 s60, s60, s61
	s_mul_hi_u32 s62, s39, s1
	s_addc_u32 s59, s59, s63
	s_addc_u32 s60, s62, 0
	s_mul_i32 s1, s39, s1
	s_add_u32 s1, s59, s1
	s_addc_u32 s59, 0, s60
	s_add_u32 s60, s0, s1
	s_cselect_b64 s[0:1], -1, 0
	s_cmp_lg_u64 s[0:1], 0
	s_addc_u32 s39, s39, s59
	s_mul_i32 s0, s16, s39
	s_mul_hi_u32 s1, s16, s60
	s_add_i32 s0, s1, s0
	s_mul_i32 s31, s31, s60
	s_add_i32 s0, s0, s31
	s_mul_i32 s16, s16, s60
	s_mul_hi_u32 s31, s39, s16
	s_mul_i32 s59, s39, s16
	s_mul_i32 s62, s60, s0
	s_mul_hi_u32 s16, s60, s16
	s_mul_hi_u32 s61, s60, s0
	s_add_u32 s16, s16, s62
	s_addc_u32 s61, 0, s61
	s_add_u32 s16, s16, s59
	s_mul_hi_u32 s1, s39, s0
	s_addc_u32 s16, s61, s31
	s_addc_u32 s1, s1, 0
	s_mul_i32 s0, s39, s0
	s_add_u32 s0, s16, s0
	s_addc_u32 s16, 0, s1
	s_add_u32 s31, s60, s0
	s_cselect_b64 s[0:1], -1, 0
	v_ashrrev_i32_e32 v3, 31, v17
	s_cmp_lg_u64 s[0:1], 0
	v_add_co_u32_e32 v5, vcc, v16, v3
	s_addc_u32 s16, s39, s16
	v_xor_b32_e32 v5, v5, v3
	v_addc_co_u32_e32 v7, vcc, v17, v3, vcc
	v_mad_u64_u32 v[17:18], s[0:1], v5, s16, 0
	v_mul_hi_u32 v9, v5, s31
	v_xor_b32_e32 v7, v7, v3
	v_mad_u64_u32 v[19:20], s[0:1], v7, s16, 0
	v_add_co_u32_e32 v9, vcc, v9, v17
	v_addc_co_u32_e32 v11, vcc, 0, v18, vcc
	v_mad_u64_u32 v[17:18], s[0:1], v7, s31, 0
	v_xor_b32_e32 v3, s38, v3
	v_add_co_u32_e32 v9, vcc, v9, v17
	v_addc_co_u32_e32 v9, vcc, v11, v18, vcc
	v_addc_co_u32_e32 v11, vcc, 0, v20, vcc
	v_add_co_u32_e32 v9, vcc, v9, v19
	v_addc_co_u32_e32 v11, vcc, 0, v11, vcc
	v_mul_lo_u32 v13, s41, v9
	v_mul_lo_u32 v15, s40, v11
	v_mad_u64_u32 v[17:18], s[0:1], s40, v9, 0
	v_add3_u32 v13, v18, v15, v13
	v_sub_u32_e32 v15, v7, v13
	v_mov_b32_e32 v18, s41
	v_sub_co_u32_e32 v5, vcc, v5, v17
	v_subb_co_u32_e64 v15, s[0:1], v15, v18, vcc
	v_subrev_co_u32_e64 v17, s[0:1], s40, v5
	v_subbrev_co_u32_e64 v15, s[0:1], 0, v15, s[0:1]
	v_cmp_le_u32_e64 s[0:1], s41, v15
	v_cndmask_b32_e64 v18, 0, -1, s[0:1]
	v_cmp_le_u32_e64 s[0:1], s40, v17
	v_cndmask_b32_e64 v17, 0, -1, s[0:1]
	v_cmp_eq_u32_e64 s[0:1], s41, v15
	v_cndmask_b32_e64 v15, v18, v17, s[0:1]
	v_add_co_u32_e64 v17, s[0:1], 2, v9
	v_subb_co_u32_e32 v7, vcc, v7, v13, vcc
	v_addc_co_u32_e64 v18, s[0:1], 0, v11, s[0:1]
	v_cmp_le_u32_e32 vcc, s41, v7
	v_add_co_u32_e64 v19, s[0:1], 1, v9
	v_cndmask_b32_e64 v13, 0, -1, vcc
	v_cmp_le_u32_e32 vcc, s40, v5
	v_addc_co_u32_e64 v20, s[0:1], 0, v11, s[0:1]
	v_cndmask_b32_e64 v5, 0, -1, vcc
	v_cmp_eq_u32_e32 vcc, s41, v7
	v_cmp_ne_u32_e64 s[0:1], 0, v15
	v_cndmask_b32_e32 v5, v13, v5, vcc
	v_cmp_ne_u32_e32 vcc, 0, v5
	v_cndmask_b32_e64 v7, v19, v17, s[0:1]
	v_cndmask_b32_e64 v15, v20, v18, s[0:1]
	v_cndmask_b32_e32 v7, v9, v7, vcc
	v_cndmask_b32_e32 v5, v11, v15, vcc
	v_xor_b32_e32 v7, v7, v3
	v_xor_b32_e32 v5, v5, v3
	v_sub_co_u32_e32 v18, vcc, v7, v3
	v_subb_co_u32_e32 v19, vcc, v5, v3, vcc
.LBB56_45:                              ;   in Loop: Header=BB56_23 Depth=2
	s_andn2_saveexec_b64 s[0:1], s[36:37]
	s_cbranch_execz .LBB56_47
; %bb.46:                               ;   in Loop: Header=BB56_23 Depth=2
	v_cvt_f32_u32_e32 v3, s58
	s_sub_i32 s16, 0, s58
	v_mov_b32_e32 v19, v2
	v_rcp_iflag_f32_e32 v3, v3
	v_mul_f32_e32 v3, 0x4f7ffffe, v3
	v_cvt_u32_f32_e32 v3, v3
	v_mul_lo_u32 v5, s16, v3
	v_mul_hi_u32 v5, v3, v5
	v_add_u32_e32 v3, v3, v5
	v_mul_hi_u32 v3, v16, v3
	v_mul_lo_u32 v5, v3, s58
	v_add_u32_e32 v7, 1, v3
	v_sub_u32_e32 v5, v16, v5
	v_subrev_u32_e32 v9, s58, v5
	v_cmp_le_u32_e32 vcc, s58, v5
	v_cndmask_b32_e32 v5, v5, v9, vcc
	v_cndmask_b32_e32 v3, v3, v7, vcc
	v_add_u32_e32 v7, 1, v3
	v_cmp_le_u32_e32 vcc, s58, v5
	v_cndmask_b32_e32 v18, v3, v7, vcc
.LBB56_47:                              ;   in Loop: Header=BB56_23 Depth=2
	s_or_b64 exec, exec, s[0:1]
	s_add_u32 s0, s4, s34
	s_addc_u32 s1, s5, s35
	s_add_i32 s16, s30, 1
	s_lshl_b64 s[34:35], s[16:17], 2
	s_add_u32 s36, s42, s34
	s_addc_u32 s37, s43, s35
	s_load_dword s59, s[36:37], 0x8
	s_load_dword s16, s[0:1], 0x6c
                                        ; implicit-def: $vgpr20_vgpr21
	s_waitcnt lgkmcnt(0)
	s_ashr_i32 s0, s59, 31
	v_or_b32_e32 v3, s0, v19
	v_cmp_ne_u64_e32 vcc, 0, v[2:3]
	s_and_saveexec_b64 s[36:37], vcc
	s_xor_b64 s[36:37], exec, s[36:37]
	s_cbranch_execz .LBB56_49
; %bb.48:                               ;   in Loop: Header=BB56_23 Depth=2
	s_ashr_i32 s38, s0, 31
	s_add_u32 s40, s59, s38
	s_mov_b32 s39, s38
	s_addc_u32 s41, s0, s38
	s_xor_b64 s[40:41], s[40:41], s[38:39]
	v_cvt_f32_u32_e32 v3, s40
	v_cvt_f32_u32_e32 v5, s41
	s_sub_u32 s31, 0, s40
	s_subb_u32 s39, 0, s41
	v_mov_b32_e32 v17, s41
	v_mac_f32_e32 v3, 0x4f800000, v5
	v_rcp_f32_e32 v3, v3
	v_mul_f32_e32 v3, 0x5f7ffffc, v3
	v_mul_f32_e32 v5, 0x2f800000, v3
	v_trunc_f32_e32 v5, v5
	v_mac_f32_e32 v3, 0xcf800000, v5
	v_cvt_u32_f32_e32 v5, v5
	v_cvt_u32_f32_e32 v3, v3
	v_readfirstlane_b32 s60, v5
	v_readfirstlane_b32 s0, v3
	s_mul_i32 s1, s31, s60
	s_mul_hi_u32 s62, s31, s0
	s_mul_i32 s61, s39, s0
	s_add_i32 s1, s62, s1
	s_add_i32 s1, s1, s61
	s_mul_i32 s63, s31, s0
	s_mul_i32 s62, s0, s1
	s_mul_hi_u32 s64, s0, s63
	s_mul_hi_u32 s61, s0, s1
	s_add_u32 s62, s64, s62
	s_addc_u32 s61, 0, s61
	s_mul_hi_u32 s65, s60, s63
	s_mul_i32 s63, s60, s63
	s_add_u32 s62, s62, s63
	s_mul_hi_u32 s64, s60, s1
	s_addc_u32 s61, s61, s65
	s_addc_u32 s62, s64, 0
	s_mul_i32 s1, s60, s1
	s_add_u32 s1, s61, s1
	s_addc_u32 s61, 0, s62
	s_add_u32 s62, s0, s1
	s_cselect_b64 s[0:1], -1, 0
	s_cmp_lg_u64 s[0:1], 0
	s_addc_u32 s60, s60, s61
	s_mul_i32 s0, s31, s60
	s_mul_hi_u32 s1, s31, s62
	s_add_i32 s0, s1, s0
	s_mul_i32 s39, s39, s62
	s_add_i32 s0, s0, s39
	s_mul_i32 s31, s31, s62
	s_mul_hi_u32 s39, s60, s31
	s_mul_i32 s61, s60, s31
	s_mul_i32 s64, s62, s0
	s_mul_hi_u32 s31, s62, s31
	s_mul_hi_u32 s63, s62, s0
	s_add_u32 s31, s31, s64
	s_addc_u32 s63, 0, s63
	s_add_u32 s31, s31, s61
	s_mul_hi_u32 s1, s60, s0
	s_addc_u32 s31, s63, s39
	s_addc_u32 s1, s1, 0
	s_mul_i32 s0, s60, s0
	s_add_u32 s0, s31, s0
	s_addc_u32 s31, 0, s1
	s_add_u32 s39, s62, s0
	s_cselect_b64 s[0:1], -1, 0
	v_ashrrev_i32_e32 v3, 31, v19
	s_cmp_lg_u64 s[0:1], 0
	v_add_co_u32_e32 v5, vcc, v18, v3
	s_addc_u32 s31, s60, s31
	v_xor_b32_e32 v5, v5, v3
	v_addc_co_u32_e32 v7, vcc, v19, v3, vcc
	v_mad_u64_u32 v[19:20], s[0:1], v5, s31, 0
	v_mul_hi_u32 v9, v5, s39
	v_xor_b32_e32 v7, v7, v3
	v_mad_u64_u32 v[21:22], s[0:1], v7, s31, 0
	v_add_co_u32_e32 v9, vcc, v9, v19
	v_addc_co_u32_e32 v11, vcc, 0, v20, vcc
	v_mad_u64_u32 v[19:20], s[0:1], v7, s39, 0
	v_xor_b32_e32 v3, s38, v3
	v_add_co_u32_e32 v9, vcc, v9, v19
	v_addc_co_u32_e32 v9, vcc, v11, v20, vcc
	v_addc_co_u32_e32 v11, vcc, 0, v22, vcc
	v_add_co_u32_e32 v9, vcc, v9, v21
	v_addc_co_u32_e32 v11, vcc, 0, v11, vcc
	v_mul_lo_u32 v13, s41, v9
	v_mul_lo_u32 v15, s40, v11
	v_mad_u64_u32 v[19:20], s[0:1], s40, v9, 0
	v_add3_u32 v13, v20, v15, v13
	v_sub_u32_e32 v15, v7, v13
	v_sub_co_u32_e32 v5, vcc, v5, v19
	v_subb_co_u32_e64 v15, s[0:1], v15, v17, vcc
	v_subrev_co_u32_e64 v17, s[0:1], s40, v5
	v_subbrev_co_u32_e64 v15, s[0:1], 0, v15, s[0:1]
	v_cmp_le_u32_e64 s[0:1], s41, v15
	v_cndmask_b32_e64 v19, 0, -1, s[0:1]
	v_cmp_le_u32_e64 s[0:1], s40, v17
	v_cndmask_b32_e64 v17, 0, -1, s[0:1]
	v_cmp_eq_u32_e64 s[0:1], s41, v15
	v_cndmask_b32_e64 v15, v19, v17, s[0:1]
	v_add_co_u32_e64 v17, s[0:1], 2, v9
	v_subb_co_u32_e32 v7, vcc, v7, v13, vcc
	v_addc_co_u32_e64 v19, s[0:1], 0, v11, s[0:1]
	v_cmp_le_u32_e32 vcc, s41, v7
	v_add_co_u32_e64 v20, s[0:1], 1, v9
	v_cndmask_b32_e64 v13, 0, -1, vcc
	v_cmp_le_u32_e32 vcc, s40, v5
	v_addc_co_u32_e64 v21, s[0:1], 0, v11, s[0:1]
	v_cndmask_b32_e64 v5, 0, -1, vcc
	v_cmp_eq_u32_e32 vcc, s41, v7
	v_cmp_ne_u32_e64 s[0:1], 0, v15
	v_cndmask_b32_e32 v5, v13, v5, vcc
	v_cmp_ne_u32_e32 vcc, 0, v5
	v_cndmask_b32_e64 v7, v20, v17, s[0:1]
	v_cndmask_b32_e64 v15, v21, v19, s[0:1]
	v_cndmask_b32_e32 v7, v9, v7, vcc
	v_cndmask_b32_e32 v5, v11, v15, vcc
	v_xor_b32_e32 v7, v7, v3
	v_xor_b32_e32 v5, v5, v3
	v_sub_co_u32_e32 v20, vcc, v7, v3
	v_subb_co_u32_e32 v21, vcc, v5, v3, vcc
.LBB56_49:                              ;   in Loop: Header=BB56_23 Depth=2
	s_andn2_saveexec_b64 s[0:1], s[36:37]
	s_cbranch_execz .LBB56_51
; %bb.50:                               ;   in Loop: Header=BB56_23 Depth=2
	v_cvt_f32_u32_e32 v3, s59
	s_sub_i32 s31, 0, s59
	v_mov_b32_e32 v21, v2
	v_rcp_iflag_f32_e32 v3, v3
	v_mul_f32_e32 v3, 0x4f7ffffe, v3
	v_cvt_u32_f32_e32 v3, v3
	v_mul_lo_u32 v5, s31, v3
	v_mul_hi_u32 v5, v3, v5
	v_add_u32_e32 v3, v3, v5
	v_mul_hi_u32 v3, v18, v3
	v_mul_lo_u32 v5, v3, s59
	v_add_u32_e32 v7, 1, v3
	v_sub_u32_e32 v5, v18, v5
	v_subrev_u32_e32 v9, s59, v5
	v_cmp_le_u32_e32 vcc, s59, v5
	v_cndmask_b32_e32 v5, v5, v9, vcc
	v_cndmask_b32_e32 v3, v3, v7, vcc
	v_add_u32_e32 v7, 1, v3
	v_cmp_le_u32_e32 vcc, s59, v5
	v_cndmask_b32_e32 v20, v3, v7, vcc
.LBB56_51:                              ;   in Loop: Header=BB56_23 Depth=2
	s_or_b64 exec, exec, s[0:1]
	s_add_u32 s0, s4, s34
	s_mov_b32 s31, s17
	s_addc_u32 s1, s5, s35
	s_lshl_b64 s[34:35], s[30:31], 2
	s_add_u32 s36, s42, s34
	s_addc_u32 s37, s43, s35
	s_load_dword s60, s[36:37], 0x8
	s_load_dword s31, s[0:1], 0x6c
                                        ; implicit-def: $vgpr22_vgpr23
	s_waitcnt lgkmcnt(0)
	s_ashr_i32 s0, s60, 31
	v_or_b32_e32 v3, s0, v21
	v_cmp_ne_u64_e32 vcc, 0, v[2:3]
	s_and_saveexec_b64 s[36:37], vcc
	s_xor_b64 s[36:37], exec, s[36:37]
	s_cbranch_execz .LBB56_53
; %bb.52:                               ;   in Loop: Header=BB56_23 Depth=2
	s_ashr_i32 s38, s0, 31
	s_add_u32 s40, s60, s38
	s_mov_b32 s39, s38
	s_addc_u32 s41, s0, s38
	s_xor_b64 s[40:41], s[40:41], s[38:39]
	v_cvt_f32_u32_e32 v3, s40
	v_cvt_f32_u32_e32 v5, s41
	s_sub_u32 s39, 0, s40
	s_subb_u32 s61, 0, s41
	v_mov_b32_e32 v17, s41
	v_mac_f32_e32 v3, 0x4f800000, v5
	v_rcp_f32_e32 v3, v3
	v_mul_f32_e32 v3, 0x5f7ffffc, v3
	v_mul_f32_e32 v5, 0x2f800000, v3
	v_trunc_f32_e32 v5, v5
	v_mac_f32_e32 v3, 0xcf800000, v5
	v_cvt_u32_f32_e32 v5, v5
	v_cvt_u32_f32_e32 v3, v3
	v_readfirstlane_b32 s62, v5
	v_readfirstlane_b32 s0, v3
	s_mul_i32 s1, s39, s62
	s_mul_hi_u32 s64, s39, s0
	s_mul_i32 s63, s61, s0
	s_add_i32 s1, s64, s1
	s_add_i32 s1, s1, s63
	s_mul_i32 s65, s39, s0
	s_mul_i32 s64, s0, s1
	s_mul_hi_u32 s66, s0, s65
	s_mul_hi_u32 s63, s0, s1
	s_add_u32 s64, s66, s64
	s_addc_u32 s63, 0, s63
	s_mul_hi_u32 s67, s62, s65
	s_mul_i32 s65, s62, s65
	s_add_u32 s64, s64, s65
	s_mul_hi_u32 s66, s62, s1
	s_addc_u32 s63, s63, s67
	s_addc_u32 s64, s66, 0
	s_mul_i32 s1, s62, s1
	s_add_u32 s1, s63, s1
	s_addc_u32 s63, 0, s64
	s_add_u32 s64, s0, s1
	s_cselect_b64 s[0:1], -1, 0
	s_cmp_lg_u64 s[0:1], 0
	s_addc_u32 s62, s62, s63
	s_mul_i32 s0, s39, s62
	s_mul_hi_u32 s1, s39, s64
	s_add_i32 s0, s1, s0
	s_mul_i32 s61, s61, s64
	s_add_i32 s0, s0, s61
	s_mul_i32 s39, s39, s64
	s_mul_hi_u32 s61, s62, s39
	s_mul_i32 s63, s62, s39
	s_mul_i32 s66, s64, s0
	s_mul_hi_u32 s39, s64, s39
	s_mul_hi_u32 s65, s64, s0
	s_add_u32 s39, s39, s66
	s_addc_u32 s65, 0, s65
	s_add_u32 s39, s39, s63
	s_mul_hi_u32 s1, s62, s0
	s_addc_u32 s39, s65, s61
	s_addc_u32 s1, s1, 0
	s_mul_i32 s0, s62, s0
	s_add_u32 s0, s39, s0
	s_addc_u32 s39, 0, s1
	s_add_u32 s61, s64, s0
	s_cselect_b64 s[0:1], -1, 0
	v_ashrrev_i32_e32 v3, 31, v21
	s_cmp_lg_u64 s[0:1], 0
	v_add_co_u32_e32 v5, vcc, v20, v3
	s_addc_u32 s39, s62, s39
	v_xor_b32_e32 v5, v5, v3
	v_addc_co_u32_e32 v7, vcc, v21, v3, vcc
	v_mad_u64_u32 v[21:22], s[0:1], v5, s39, 0
	v_mul_hi_u32 v9, v5, s61
	v_xor_b32_e32 v7, v7, v3
	v_mad_u64_u32 v[26:27], s[0:1], v7, s39, 0
	v_add_co_u32_e32 v9, vcc, v9, v21
	v_addc_co_u32_e32 v11, vcc, 0, v22, vcc
	v_mad_u64_u32 v[21:22], s[0:1], v7, s61, 0
	v_xor_b32_e32 v3, s38, v3
	v_add_co_u32_e32 v9, vcc, v9, v21
	v_addc_co_u32_e32 v9, vcc, v11, v22, vcc
	v_addc_co_u32_e32 v11, vcc, 0, v27, vcc
	v_add_co_u32_e32 v9, vcc, v9, v26
	v_addc_co_u32_e32 v11, vcc, 0, v11, vcc
	v_mul_lo_u32 v13, s41, v9
	v_mul_lo_u32 v15, s40, v11
	v_mad_u64_u32 v[21:22], s[0:1], s40, v9, 0
	v_add3_u32 v13, v22, v15, v13
	v_sub_u32_e32 v15, v7, v13
	v_sub_co_u32_e32 v5, vcc, v5, v21
	v_subb_co_u32_e64 v15, s[0:1], v15, v17, vcc
	v_subrev_co_u32_e64 v17, s[0:1], s40, v5
	v_subbrev_co_u32_e64 v15, s[0:1], 0, v15, s[0:1]
	v_cmp_le_u32_e64 s[0:1], s41, v15
	v_cndmask_b32_e64 v19, 0, -1, s[0:1]
	v_cmp_le_u32_e64 s[0:1], s40, v17
	v_cndmask_b32_e64 v17, 0, -1, s[0:1]
	v_cmp_eq_u32_e64 s[0:1], s41, v15
	v_cndmask_b32_e64 v15, v19, v17, s[0:1]
	v_add_co_u32_e64 v17, s[0:1], 2, v9
	v_subb_co_u32_e32 v7, vcc, v7, v13, vcc
	v_addc_co_u32_e64 v19, s[0:1], 0, v11, s[0:1]
	v_cmp_le_u32_e32 vcc, s41, v7
	v_add_co_u32_e64 v21, s[0:1], 1, v9
	v_cndmask_b32_e64 v13, 0, -1, vcc
	v_cmp_le_u32_e32 vcc, s40, v5
	v_addc_co_u32_e64 v22, s[0:1], 0, v11, s[0:1]
	v_cndmask_b32_e64 v5, 0, -1, vcc
	v_cmp_eq_u32_e32 vcc, s41, v7
	v_cmp_ne_u32_e64 s[0:1], 0, v15
	v_cndmask_b32_e32 v5, v13, v5, vcc
	v_cmp_ne_u32_e32 vcc, 0, v5
	v_cndmask_b32_e64 v7, v21, v17, s[0:1]
	v_cndmask_b32_e64 v15, v22, v19, s[0:1]
	v_cndmask_b32_e32 v7, v9, v7, vcc
	v_cndmask_b32_e32 v5, v11, v15, vcc
	v_xor_b32_e32 v7, v7, v3
	v_xor_b32_e32 v5, v5, v3
	v_sub_co_u32_e32 v22, vcc, v7, v3
	v_subb_co_u32_e32 v23, vcc, v5, v3, vcc
.LBB56_53:                              ;   in Loop: Header=BB56_23 Depth=2
	s_andn2_saveexec_b64 s[0:1], s[36:37]
	s_cbranch_execz .LBB56_55
; %bb.54:                               ;   in Loop: Header=BB56_23 Depth=2
	v_cvt_f32_u32_e32 v3, s60
	s_sub_i32 s36, 0, s60
	v_mov_b32_e32 v23, v2
	v_rcp_iflag_f32_e32 v3, v3
	v_mul_f32_e32 v3, 0x4f7ffffe, v3
	v_cvt_u32_f32_e32 v3, v3
	v_mul_lo_u32 v5, s36, v3
	v_mul_hi_u32 v5, v3, v5
	v_add_u32_e32 v3, v3, v5
	v_mul_hi_u32 v3, v20, v3
	v_mul_lo_u32 v5, v3, s60
	v_add_u32_e32 v7, 1, v3
	v_sub_u32_e32 v5, v20, v5
	v_subrev_u32_e32 v9, s60, v5
	v_cmp_le_u32_e32 vcc, s60, v5
	v_cndmask_b32_e32 v5, v5, v9, vcc
	v_cndmask_b32_e32 v3, v3, v7, vcc
	v_add_u32_e32 v7, 1, v3
	v_cmp_le_u32_e32 vcc, s60, v5
	v_cndmask_b32_e32 v22, v3, v7, vcc
.LBB56_55:                              ;   in Loop: Header=BB56_23 Depth=2
	s_or_b64 exec, exec, s[0:1]
	v_mul_lo_u32 v3, v8, s25
	v_mul_lo_u32 v5, v10, s50
	;; [unrolled: 1-line block ×3, first 2 shown]
	s_add_u32 s0, s4, s34
	v_sub_u32_e32 v3, v6, v3
	v_mul_lo_u32 v6, v14, s54
	v_sub_u32_e32 v5, v8, v5
	v_mul_lo_u32 v3, s28, v3
	v_mul_lo_u32 v5, s51, v5
	v_sub_u32_e32 v7, v10, v7
	v_sub_u32_e32 v6, v12, v6
	v_mul_lo_u32 v7, s53, v7
	v_mul_lo_u32 v6, s56, v6
	v_mul_lo_u32 v8, v16, s55
	v_add3_u32 v3, v3, v4, v5
	v_mul_lo_u32 v4, v18, s58
	s_addc_u32 s1, s5, s35
	v_add3_u32 v3, v7, v3, v6
	v_mul_lo_u32 v6, v20, s59
	v_mul_lo_u32 v7, v22, s60
	s_load_dword s0, s[0:1], 0x6c
	v_sub_u32_e32 v5, v14, v8
	v_sub_u32_e32 v4, v16, v4
	v_mul_lo_u32 v5, s57, v5
	v_mul_lo_u32 v4, s16, v4
	v_sub_u32_e32 v6, v18, v6
	v_sub_u32_e32 v7, v20, v7
	v_mul_lo_u32 v6, s31, v6
	s_waitcnt lgkmcnt(0)
	v_mul_lo_u32 v7, s0, v7
	v_add3_u32 v3, v5, v3, v4
	s_add_i32 s30, s30, -8
	s_cmp_eq_u32 s30, -8
	v_add3_u32 v4, v6, v3, v7
	s_cbranch_scc1 .LBB56_57
; %bb.56:                               ;   in Loop: Header=BB56_23 Depth=2
	v_mov_b32_e32 v6, v22
	v_mov_b32_e32 v7, v23
	s_branch .LBB56_23
.LBB56_57:                              ;   in Loop: Header=BB56_3 Depth=1
	s_load_dword s16, s[2:3], 0x4
	s_waitcnt lgkmcnt(0)
	v_cmp_gt_i32_e32 vcc, s16, v25
	s_and_b64 exec, exec, vcc
	s_cbranch_execz .LBB56_2
; %bb.58:                               ;   in Loop: Header=BB56_3 Depth=1
	v_ashrrev_i32_e32 v3, 31, v4
	v_mov_b32_e32 v6, s13
	v_add_co_u32_e32 v5, vcc, s12, v4
	v_addc_co_u32_e32 v6, vcc, v6, v3, vcc
	v_add_u32_e32 v3, 1, v25
	v_cmp_gt_i32_e32 vcc, s16, v3
	global_store_byte v[5:6], v2, off
	s_and_b64 exec, exec, vcc
	s_cbranch_execz .LBB56_2
; %bb.59:                               ;   in Loop: Header=BB56_3 Depth=1
	v_sub_u32_e32 v5, v3, v24
	v_ashrrev_i32_e32 v6, 31, v5
	v_cmp_gt_i64_e32 vcc, s[8:9], v[5:6]
	s_and_saveexec_b64 s[0:1], vcc
	s_cbranch_execz .LBB56_61
; %bb.60:                               ;   in Loop: Header=BB56_3 Depth=1
	v_add_u32_e32 v3, s29, v4
	v_ashrrev_i32_e32 v6, 31, v3
	v_mov_b32_e32 v7, s13
	v_add_co_u32_e32 v5, vcc, s12, v3
	v_addc_co_u32_e32 v6, vcc, v7, v6, vcc
	global_store_byte v[5:6], v2, off
.LBB56_61:                              ;   in Loop: Header=BB56_3 Depth=1
	s_or_b64 exec, exec, s[0:1]
	v_add_u32_e32 v3, 2, v25
	v_cmp_gt_i32_e32 vcc, s16, v3
	s_and_b64 exec, exec, vcc
	s_cbranch_execz .LBB56_2
; %bb.62:                               ;   in Loop: Header=BB56_3 Depth=1
	v_sub_u32_e32 v5, v3, v24
	v_ashrrev_i32_e32 v6, 31, v5
	v_cmp_gt_i64_e32 vcc, s[8:9], v[5:6]
	s_and_saveexec_b64 s[0:1], vcc
	s_cbranch_execz .LBB56_64
; %bb.63:                               ;   in Loop: Header=BB56_3 Depth=1
	v_lshl_add_u32 v3, s29, 1, v4
	v_ashrrev_i32_e32 v6, 31, v3
	v_mov_b32_e32 v7, s13
	v_add_co_u32_e32 v5, vcc, s12, v3
	v_addc_co_u32_e32 v6, vcc, v7, v6, vcc
	global_store_byte v[5:6], v2, off
.LBB56_64:                              ;   in Loop: Header=BB56_3 Depth=1
	s_or_b64 exec, exec, s[0:1]
	v_add_u32_e32 v3, 3, v25
	v_cmp_gt_i32_e32 vcc, s16, v3
	s_and_b64 exec, exec, vcc
	s_cbranch_execz .LBB56_2
; %bb.65:                               ;   in Loop: Header=BB56_3 Depth=1
	v_sub_u32_e32 v5, v3, v24
	v_ashrrev_i32_e32 v6, 31, v5
	v_cmp_gt_i64_e32 vcc, s[8:9], v[5:6]
	s_and_b64 exec, exec, vcc
	s_cbranch_execz .LBB56_2
; %bb.66:                               ;   in Loop: Header=BB56_3 Depth=1
	v_mad_u64_u32 v[3:4], s[0:1], s29, 3, v[4:5]
	v_mov_b32_e32 v4, s13
	v_ashrrev_i32_e32 v5, 31, v3
	v_add_co_u32_e32 v3, vcc, s12, v3
	v_addc_co_u32_e32 v4, vcc, v4, v5, vcc
	global_store_byte v[3:4], v2, off
	s_branch .LBB56_2
.LBB56_67:
	s_endpgm
	.section	.rodata,"a",@progbits
	.p2align	6, 0x0
	.amdhsa_kernel _ZN2at6native16triu_tril_kernelIaiLb1ELi4ELb1EEEvNS_4cuda6detail10TensorInfoIT_T0_EENS4_IKS5_S6_EEllS6_
		.amdhsa_group_segment_fixed_size 0
		.amdhsa_private_segment_fixed_size 0
		.amdhsa_kernarg_size 712
		.amdhsa_user_sgpr_count 6
		.amdhsa_user_sgpr_private_segment_buffer 1
		.amdhsa_user_sgpr_dispatch_ptr 0
		.amdhsa_user_sgpr_queue_ptr 0
		.amdhsa_user_sgpr_kernarg_segment_ptr 1
		.amdhsa_user_sgpr_dispatch_id 0
		.amdhsa_user_sgpr_flat_scratch_init 0
		.amdhsa_user_sgpr_private_segment_size 0
		.amdhsa_uses_dynamic_stack 0
		.amdhsa_system_sgpr_private_segment_wavefront_offset 0
		.amdhsa_system_sgpr_workgroup_id_x 1
		.amdhsa_system_sgpr_workgroup_id_y 0
		.amdhsa_system_sgpr_workgroup_id_z 0
		.amdhsa_system_sgpr_workgroup_info 0
		.amdhsa_system_vgpr_workitem_id 0
		.amdhsa_next_free_vgpr 28
		.amdhsa_next_free_sgpr 68
		.amdhsa_reserve_vcc 1
		.amdhsa_reserve_flat_scratch 0
		.amdhsa_float_round_mode_32 0
		.amdhsa_float_round_mode_16_64 0
		.amdhsa_float_denorm_mode_32 3
		.amdhsa_float_denorm_mode_16_64 3
		.amdhsa_dx10_clamp 1
		.amdhsa_ieee_mode 1
		.amdhsa_fp16_overflow 0
		.amdhsa_exception_fp_ieee_invalid_op 0
		.amdhsa_exception_fp_denorm_src 0
		.amdhsa_exception_fp_ieee_div_zero 0
		.amdhsa_exception_fp_ieee_overflow 0
		.amdhsa_exception_fp_ieee_underflow 0
		.amdhsa_exception_fp_ieee_inexact 0
		.amdhsa_exception_int_div_zero 0
	.end_amdhsa_kernel
	.section	.text._ZN2at6native16triu_tril_kernelIaiLb1ELi4ELb1EEEvNS_4cuda6detail10TensorInfoIT_T0_EENS4_IKS5_S6_EEllS6_,"axG",@progbits,_ZN2at6native16triu_tril_kernelIaiLb1ELi4ELb1EEEvNS_4cuda6detail10TensorInfoIT_T0_EENS4_IKS5_S6_EEllS6_,comdat
.Lfunc_end56:
	.size	_ZN2at6native16triu_tril_kernelIaiLb1ELi4ELb1EEEvNS_4cuda6detail10TensorInfoIT_T0_EENS4_IKS5_S6_EEllS6_, .Lfunc_end56-_ZN2at6native16triu_tril_kernelIaiLb1ELi4ELb1EEEvNS_4cuda6detail10TensorInfoIT_T0_EENS4_IKS5_S6_EEllS6_
                                        ; -- End function
	.set _ZN2at6native16triu_tril_kernelIaiLb1ELi4ELb1EEEvNS_4cuda6detail10TensorInfoIT_T0_EENS4_IKS5_S6_EEllS6_.num_vgpr, 28
	.set _ZN2at6native16triu_tril_kernelIaiLb1ELi4ELb1EEEvNS_4cuda6detail10TensorInfoIT_T0_EENS4_IKS5_S6_EEllS6_.num_agpr, 0
	.set _ZN2at6native16triu_tril_kernelIaiLb1ELi4ELb1EEEvNS_4cuda6detail10TensorInfoIT_T0_EENS4_IKS5_S6_EEllS6_.numbered_sgpr, 68
	.set _ZN2at6native16triu_tril_kernelIaiLb1ELi4ELb1EEEvNS_4cuda6detail10TensorInfoIT_T0_EENS4_IKS5_S6_EEllS6_.num_named_barrier, 0
	.set _ZN2at6native16triu_tril_kernelIaiLb1ELi4ELb1EEEvNS_4cuda6detail10TensorInfoIT_T0_EENS4_IKS5_S6_EEllS6_.private_seg_size, 0
	.set _ZN2at6native16triu_tril_kernelIaiLb1ELi4ELb1EEEvNS_4cuda6detail10TensorInfoIT_T0_EENS4_IKS5_S6_EEllS6_.uses_vcc, 1
	.set _ZN2at6native16triu_tril_kernelIaiLb1ELi4ELb1EEEvNS_4cuda6detail10TensorInfoIT_T0_EENS4_IKS5_S6_EEllS6_.uses_flat_scratch, 0
	.set _ZN2at6native16triu_tril_kernelIaiLb1ELi4ELb1EEEvNS_4cuda6detail10TensorInfoIT_T0_EENS4_IKS5_S6_EEllS6_.has_dyn_sized_stack, 0
	.set _ZN2at6native16triu_tril_kernelIaiLb1ELi4ELb1EEEvNS_4cuda6detail10TensorInfoIT_T0_EENS4_IKS5_S6_EEllS6_.has_recursion, 0
	.set _ZN2at6native16triu_tril_kernelIaiLb1ELi4ELb1EEEvNS_4cuda6detail10TensorInfoIT_T0_EENS4_IKS5_S6_EEllS6_.has_indirect_call, 0
	.section	.AMDGPU.csdata,"",@progbits
; Kernel info:
; codeLenInByte = 9444
; TotalNumSgprs: 72
; NumVgprs: 28
; ScratchSize: 0
; MemoryBound: 0
; FloatMode: 240
; IeeeMode: 1
; LDSByteSize: 0 bytes/workgroup (compile time only)
; SGPRBlocks: 8
; VGPRBlocks: 6
; NumSGPRsForWavesPerEU: 72
; NumVGPRsForWavesPerEU: 28
; Occupancy: 9
; WaveLimiterHint : 0
; COMPUTE_PGM_RSRC2:SCRATCH_EN: 0
; COMPUTE_PGM_RSRC2:USER_SGPR: 6
; COMPUTE_PGM_RSRC2:TRAP_HANDLER: 0
; COMPUTE_PGM_RSRC2:TGID_X_EN: 1
; COMPUTE_PGM_RSRC2:TGID_Y_EN: 0
; COMPUTE_PGM_RSRC2:TGID_Z_EN: 0
; COMPUTE_PGM_RSRC2:TIDIG_COMP_CNT: 0
	.section	.text._ZN2at6native16triu_tril_kernelIaiLb1ELi4ELb0EEEvNS_4cuda6detail10TensorInfoIT_T0_EENS4_IKS5_S6_EEllS6_,"axG",@progbits,_ZN2at6native16triu_tril_kernelIaiLb1ELi4ELb0EEEvNS_4cuda6detail10TensorInfoIT_T0_EENS4_IKS5_S6_EEllS6_,comdat
	.protected	_ZN2at6native16triu_tril_kernelIaiLb1ELi4ELb0EEEvNS_4cuda6detail10TensorInfoIT_T0_EENS4_IKS5_S6_EEllS6_ ; -- Begin function _ZN2at6native16triu_tril_kernelIaiLb1ELi4ELb0EEEvNS_4cuda6detail10TensorInfoIT_T0_EENS4_IKS5_S6_EEllS6_
	.globl	_ZN2at6native16triu_tril_kernelIaiLb1ELi4ELb0EEEvNS_4cuda6detail10TensorInfoIT_T0_EENS4_IKS5_S6_EEllS6_
	.p2align	8
	.type	_ZN2at6native16triu_tril_kernelIaiLb1ELi4ELb0EEEvNS_4cuda6detail10TensorInfoIT_T0_EENS4_IKS5_S6_EEllS6_,@function
_ZN2at6native16triu_tril_kernelIaiLb1ELi4ELb0EEEvNS_4cuda6detail10TensorInfoIT_T0_EENS4_IKS5_S6_EEllS6_: ; @_ZN2at6native16triu_tril_kernelIaiLb1ELi4ELb0EEEvNS_4cuda6detail10TensorInfoIT_T0_EENS4_IKS5_S6_EEllS6_
; %bb.0:
	s_load_dword s2, s[4:5], 0x1d4
	s_load_dwordx4 s[8:11], s[4:5], 0x1b0
	s_add_u32 s0, s4, 0x1c8
	v_mov_b32_e32 v2, 0
	s_addc_u32 s1, s5, 0
	s_waitcnt lgkmcnt(0)
	s_and_b32 s12, s2, 0xffff
	v_mov_b32_e32 v1, v2
	v_mov_b32_e32 v3, s6
	v_mad_u64_u32 v[0:1], s[2:3], s12, v3, v[0:1]
	v_lshlrev_b64 v[0:1], 2, v[0:1]
	v_cmp_gt_i64_e32 vcc, s[10:11], v[0:1]
	s_and_saveexec_b64 s[2:3], vcc
	s_cbranch_execz .LBB57_54
; %bb.1:
	s_load_dword s33, s[4:5], 0x1c0
	s_load_dwordx2 s[2:3], s[4:5], 0xd8
	s_load_dwordx2 s[18:19], s[4:5], 0x0
	s_load_dword s20, s[4:5], 0x1a8
	s_load_dword s13, s[0:1], 0x0
	s_add_u32 s48, s4, 0xd8
	s_addc_u32 s49, s5, 0
	s_waitcnt lgkmcnt(0)
	s_ashr_i32 s50, s33, 31
	s_ashr_i32 s21, s20, 31
	s_lshl_b64 s[0:1], s[20:21], 2
	s_add_u32 s16, s48, s0
	s_addc_u32 s17, s49, s1
	s_load_dwordx2 s[6:7], s[16:17], 0x0
	s_load_dwordx2 s[14:15], s[16:17], 0x64
	s_mul_i32 s22, s13, s12
	v_cmp_gt_i64_e64 s[12:13], s[20:21], 2
	s_mov_b32 s21, 0
	s_waitcnt lgkmcnt(0)
	s_ashr_i32 s51, s6, 31
	s_add_u32 s0, s4, s0
	s_addc_u32 s1, s5, s1
	s_load_dwordx2 s[16:17], s[0:1], 0x64
	s_add_i32 s52, s20, -3
	s_lshl_b32 s53, s22, 2
	s_and_b32 s54, s20, 3
	s_cmp_lg_u32 s54, 2
	s_cselect_b64 s[30:31], -1, 0
	s_cmp_gt_u32 s52, 2
	s_mov_b32 s22, s8
	s_mov_b32 s23, s9
	;; [unrolled: 1-line block ×8, first 2 shown]
	s_cselect_b64 s[34:35], -1, 0
	s_ashr_i32 s55, s15, 31
	s_mov_b32 s56, s15
	s_add_i32 s15, s15, s15
	s_waitcnt lgkmcnt(0)
	s_ashr_i32 s57, s17, 31
	s_mov_b32 s58, s17
	s_add_i32 s17, s17, s17
	s_mov_b64 s[36:37], 0
	s_branch .LBB57_3
.LBB57_2:                               ;   in Loop: Header=BB57_3 Depth=1
	s_or_b64 exec, exec, s[0:1]
	v_add_co_u32_e32 v0, vcc, s53, v0
	v_addc_co_u32_e32 v1, vcc, 0, v1, vcc
	v_cmp_le_i64_e32 vcc, s[10:11], v[0:1]
	s_or_b64 s[36:37], vcc, s[36:37]
	s_andn2_b64 exec, exec, s[36:37]
	s_cbranch_execz .LBB57_54
.LBB57_3:                               ; =>This Loop Header: Depth=1
                                        ;     Child Loop BB57_13 Depth 2
                                        ;     Child Loop BB57_21 Depth 2
	v_or_b32_e32 v3, s50, v1
	v_cmp_ne_u64_e32 vcc, 0, v[2:3]
                                        ; implicit-def: $vgpr4_vgpr5
	s_and_saveexec_b64 s[0:1], vcc
	s_xor_b64 s[38:39], exec, s[0:1]
	s_cbranch_execz .LBB57_5
; %bb.4:                                ;   in Loop: Header=BB57_3 Depth=1
	s_ashr_i32 s40, s50, 31
	s_add_u32 s0, s33, s40
	s_mov_b32 s41, s40
	s_addc_u32 s1, s50, s40
	s_xor_b64 s[42:43], s[0:1], s[40:41]
	v_cvt_f32_u32_e32 v3, s42
	v_cvt_f32_u32_e32 v4, s43
	s_sub_u32 s20, 0, s42
	s_subb_u32 s41, 0, s43
	v_ashrrev_i32_e32 v7, 31, v1
	v_mac_f32_e32 v3, 0x4f800000, v4
	v_rcp_f32_e32 v3, v3
	v_mul_f32_e32 v3, 0x5f7ffffc, v3
	v_mul_f32_e32 v4, 0x2f800000, v3
	v_trunc_f32_e32 v4, v4
	v_mac_f32_e32 v3, 0xcf800000, v4
	v_cvt_u32_f32_e32 v4, v4
	v_cvt_u32_f32_e32 v3, v3
	v_readfirstlane_b32 s44, v4
	v_readfirstlane_b32 s0, v3
	s_mul_i32 s1, s20, s44
	s_mul_hi_u32 s46, s20, s0
	s_mul_i32 s45, s41, s0
	s_add_i32 s1, s46, s1
	s_add_i32 s1, s1, s45
	s_mul_i32 s47, s20, s0
	s_mul_i32 s46, s0, s1
	s_mul_hi_u32 s59, s0, s47
	s_mul_hi_u32 s45, s0, s1
	s_add_u32 s46, s59, s46
	s_addc_u32 s45, 0, s45
	s_mul_hi_u32 s60, s44, s47
	s_mul_i32 s47, s44, s47
	s_add_u32 s46, s46, s47
	s_mul_hi_u32 s59, s44, s1
	s_addc_u32 s45, s45, s60
	s_addc_u32 s46, s59, 0
	s_mul_i32 s1, s44, s1
	s_add_u32 s1, s45, s1
	s_addc_u32 s45, 0, s46
	s_add_u32 s46, s0, s1
	s_cselect_b64 s[0:1], -1, 0
	s_cmp_lg_u64 s[0:1], 0
	s_addc_u32 s44, s44, s45
	s_mul_i32 s0, s20, s44
	s_mul_hi_u32 s1, s20, s46
	s_add_i32 s0, s1, s0
	s_mul_i32 s41, s41, s46
	s_add_i32 s0, s0, s41
	s_mul_i32 s20, s20, s46
	s_mul_hi_u32 s41, s44, s20
	s_mul_i32 s45, s44, s20
	s_mul_i32 s59, s46, s0
	s_mul_hi_u32 s20, s46, s20
	s_mul_hi_u32 s47, s46, s0
	s_add_u32 s20, s20, s59
	s_addc_u32 s47, 0, s47
	s_add_u32 s20, s20, s45
	s_mul_hi_u32 s1, s44, s0
	s_addc_u32 s20, s47, s41
	s_addc_u32 s1, s1, 0
	s_mul_i32 s0, s44, s0
	s_add_u32 s0, s20, s0
	s_addc_u32 s20, 0, s1
	s_add_u32 s41, s46, s0
	s_cselect_b64 s[0:1], -1, 0
	s_cmp_lg_u64 s[0:1], 0
	v_add_co_u32_e32 v3, vcc, v0, v7
	s_addc_u32 s20, s44, s20
	v_xor_b32_e32 v8, v3, v7
	v_mad_u64_u32 v[3:4], s[0:1], v8, s20, 0
	v_mul_hi_u32 v6, v8, s41
	v_addc_co_u32_e32 v5, vcc, v1, v7, vcc
	v_xor_b32_e32 v9, v5, v7
	v_add_co_u32_e32 v10, vcc, v6, v3
	v_addc_co_u32_e32 v11, vcc, 0, v4, vcc
	v_mad_u64_u32 v[3:4], s[0:1], v9, s41, 0
	v_mad_u64_u32 v[5:6], s[0:1], v9, s20, 0
	v_add_co_u32_e32 v3, vcc, v10, v3
	v_addc_co_u32_e32 v3, vcc, v11, v4, vcc
	v_addc_co_u32_e32 v4, vcc, 0, v6, vcc
	v_add_co_u32_e32 v5, vcc, v3, v5
	v_addc_co_u32_e32 v6, vcc, 0, v4, vcc
	v_mul_lo_u32 v10, s43, v5
	v_mul_lo_u32 v11, s42, v6
	v_mad_u64_u32 v[3:4], s[0:1], s42, v5, 0
	v_add3_u32 v4, v4, v11, v10
	v_sub_u32_e32 v10, v9, v4
	v_mov_b32_e32 v11, s43
	v_sub_co_u32_e32 v3, vcc, v8, v3
	v_subb_co_u32_e64 v8, s[0:1], v10, v11, vcc
	v_subrev_co_u32_e64 v10, s[0:1], s42, v3
	v_subbrev_co_u32_e64 v8, s[0:1], 0, v8, s[0:1]
	v_cmp_le_u32_e64 s[0:1], s43, v8
	v_cndmask_b32_e64 v11, 0, -1, s[0:1]
	v_cmp_le_u32_e64 s[0:1], s42, v10
	v_cndmask_b32_e64 v10, 0, -1, s[0:1]
	v_cmp_eq_u32_e64 s[0:1], s43, v8
	v_cndmask_b32_e64 v8, v11, v10, s[0:1]
	v_add_co_u32_e64 v10, s[0:1], 2, v5
	v_subb_co_u32_e32 v4, vcc, v9, v4, vcc
	v_addc_co_u32_e64 v11, s[0:1], 0, v6, s[0:1]
	v_cmp_le_u32_e32 vcc, s43, v4
	v_add_co_u32_e64 v12, s[0:1], 1, v5
	v_cndmask_b32_e64 v9, 0, -1, vcc
	v_cmp_le_u32_e32 vcc, s42, v3
	v_addc_co_u32_e64 v13, s[0:1], 0, v6, s[0:1]
	v_cndmask_b32_e64 v3, 0, -1, vcc
	v_cmp_eq_u32_e32 vcc, s43, v4
	v_cmp_ne_u32_e64 s[0:1], 0, v8
	v_cndmask_b32_e32 v3, v9, v3, vcc
	v_cmp_ne_u32_e32 vcc, 0, v3
	v_cndmask_b32_e64 v4, v12, v10, s[0:1]
	v_cndmask_b32_e64 v8, v13, v11, s[0:1]
	v_cndmask_b32_e32 v4, v5, v4, vcc
	v_xor_b32_e32 v5, s40, v7
	v_cndmask_b32_e32 v3, v6, v8, vcc
	v_xor_b32_e32 v4, v4, v5
	v_xor_b32_e32 v3, v3, v5
	v_sub_co_u32_e32 v4, vcc, v4, v5
	v_subb_co_u32_e32 v5, vcc, v3, v5, vcc
.LBB57_5:                               ;   in Loop: Header=BB57_3 Depth=1
	s_andn2_saveexec_b64 s[0:1], s[38:39]
	s_cbranch_execz .LBB57_7
; %bb.6:                                ;   in Loop: Header=BB57_3 Depth=1
	v_cvt_f32_u32_e32 v3, s33
	s_sub_i32 s20, 0, s33
	v_rcp_iflag_f32_e32 v3, v3
	v_mul_f32_e32 v3, 0x4f7ffffe, v3
	v_cvt_u32_f32_e32 v3, v3
	v_mul_lo_u32 v4, s20, v3
	v_mul_hi_u32 v4, v3, v4
	v_add_u32_e32 v3, v3, v4
	v_mul_hi_u32 v3, v0, v3
	v_mul_lo_u32 v4, v3, s33
	v_add_u32_e32 v5, 1, v3
	v_sub_u32_e32 v4, v0, v4
	v_subrev_u32_e32 v6, s33, v4
	v_cmp_le_u32_e32 vcc, s33, v4
	v_cndmask_b32_e32 v4, v4, v6, vcc
	v_cndmask_b32_e32 v3, v3, v5, vcc
	v_add_u32_e32 v5, 1, v3
	v_cmp_le_u32_e32 vcc, s33, v4
	v_cndmask_b32_e32 v4, v3, v5, vcc
	v_mov_b32_e32 v5, v2
.LBB57_7:                               ;   in Loop: Header=BB57_3 Depth=1
	s_or_b64 exec, exec, s[0:1]
	v_or_b32_e32 v3, s51, v5
	v_cmp_ne_u64_e32 vcc, 0, v[2:3]
                                        ; implicit-def: $vgpr8_vgpr9
	s_and_saveexec_b64 s[0:1], vcc
	s_xor_b64 s[38:39], exec, s[0:1]
	s_cbranch_execz .LBB57_9
; %bb.8:                                ;   in Loop: Header=BB57_3 Depth=1
	s_ashr_i32 s40, s51, 31
	s_add_u32 s0, s6, s40
	s_mov_b32 s41, s40
	s_addc_u32 s1, s51, s40
	s_xor_b64 s[42:43], s[0:1], s[40:41]
	v_cvt_f32_u32_e32 v3, s42
	v_cvt_f32_u32_e32 v6, s43
	s_sub_u32 s20, 0, s42
	s_subb_u32 s41, 0, s43
	v_mac_f32_e32 v3, 0x4f800000, v6
	v_rcp_f32_e32 v3, v3
	v_mul_f32_e32 v3, 0x5f7ffffc, v3
	v_mul_f32_e32 v6, 0x2f800000, v3
	v_trunc_f32_e32 v6, v6
	v_mac_f32_e32 v3, 0xcf800000, v6
	v_cvt_u32_f32_e32 v6, v6
	v_cvt_u32_f32_e32 v3, v3
	v_readfirstlane_b32 s44, v6
	v_readfirstlane_b32 s0, v3
	s_mul_i32 s1, s20, s44
	s_mul_hi_u32 s46, s20, s0
	s_mul_i32 s45, s41, s0
	s_add_i32 s1, s46, s1
	s_add_i32 s1, s1, s45
	s_mul_i32 s47, s20, s0
	s_mul_i32 s46, s0, s1
	s_mul_hi_u32 s59, s0, s47
	s_mul_hi_u32 s45, s0, s1
	s_add_u32 s46, s59, s46
	s_addc_u32 s45, 0, s45
	s_mul_hi_u32 s60, s44, s47
	s_mul_i32 s47, s44, s47
	s_add_u32 s46, s46, s47
	s_mul_hi_u32 s59, s44, s1
	s_addc_u32 s45, s45, s60
	s_addc_u32 s46, s59, 0
	s_mul_i32 s1, s44, s1
	s_add_u32 s1, s45, s1
	s_addc_u32 s45, 0, s46
	s_add_u32 s46, s0, s1
	s_cselect_b64 s[0:1], -1, 0
	s_cmp_lg_u64 s[0:1], 0
	s_addc_u32 s44, s44, s45
	s_mul_i32 s0, s20, s44
	s_mul_hi_u32 s1, s20, s46
	s_add_i32 s0, s1, s0
	s_mul_i32 s41, s41, s46
	s_add_i32 s0, s0, s41
	s_mul_i32 s20, s20, s46
	s_mul_hi_u32 s41, s44, s20
	s_mul_i32 s45, s44, s20
	s_mul_i32 s59, s46, s0
	s_mul_hi_u32 s20, s46, s20
	s_mul_hi_u32 s47, s46, s0
	s_add_u32 s20, s20, s59
	s_addc_u32 s47, 0, s47
	s_add_u32 s20, s20, s45
	s_mul_hi_u32 s1, s44, s0
	s_addc_u32 s20, s47, s41
	s_addc_u32 s1, s1, 0
	s_mul_i32 s0, s44, s0
	s_add_u32 s0, s20, s0
	s_addc_u32 s20, 0, s1
	s_add_u32 s41, s46, s0
	s_cselect_b64 s[0:1], -1, 0
	v_ashrrev_i32_e32 v3, 31, v5
	s_cmp_lg_u64 s[0:1], 0
	v_add_co_u32_e32 v6, vcc, v4, v3
	s_addc_u32 s20, s44, s20
	v_xor_b32_e32 v9, v6, v3
	v_addc_co_u32_e32 v7, vcc, v5, v3, vcc
	v_mad_u64_u32 v[5:6], s[0:1], v9, s20, 0
	v_mul_hi_u32 v8, v9, s41
	v_xor_b32_e32 v10, v7, v3
	v_xor_b32_e32 v3, s40, v3
	v_add_co_u32_e32 v11, vcc, v8, v5
	v_addc_co_u32_e32 v12, vcc, 0, v6, vcc
	v_mad_u64_u32 v[5:6], s[0:1], v10, s41, 0
	v_mad_u64_u32 v[7:8], s[0:1], v10, s20, 0
	v_add_co_u32_e32 v5, vcc, v11, v5
	v_addc_co_u32_e32 v5, vcc, v12, v6, vcc
	v_addc_co_u32_e32 v6, vcc, 0, v8, vcc
	v_add_co_u32_e32 v7, vcc, v5, v7
	v_addc_co_u32_e32 v8, vcc, 0, v6, vcc
	v_mul_lo_u32 v11, s43, v7
	v_mul_lo_u32 v12, s42, v8
	v_mad_u64_u32 v[5:6], s[0:1], s42, v7, 0
	v_add3_u32 v6, v6, v12, v11
	v_sub_u32_e32 v11, v10, v6
	v_mov_b32_e32 v12, s43
	v_sub_co_u32_e32 v5, vcc, v9, v5
	v_subb_co_u32_e64 v9, s[0:1], v11, v12, vcc
	v_subrev_co_u32_e64 v11, s[0:1], s42, v5
	v_subbrev_co_u32_e64 v9, s[0:1], 0, v9, s[0:1]
	v_cmp_le_u32_e64 s[0:1], s43, v9
	v_cndmask_b32_e64 v12, 0, -1, s[0:1]
	v_cmp_le_u32_e64 s[0:1], s42, v11
	v_cndmask_b32_e64 v11, 0, -1, s[0:1]
	v_cmp_eq_u32_e64 s[0:1], s43, v9
	v_cndmask_b32_e64 v9, v12, v11, s[0:1]
	v_add_co_u32_e64 v11, s[0:1], 2, v7
	v_subb_co_u32_e32 v6, vcc, v10, v6, vcc
	v_addc_co_u32_e64 v12, s[0:1], 0, v8, s[0:1]
	v_cmp_le_u32_e32 vcc, s43, v6
	v_add_co_u32_e64 v13, s[0:1], 1, v7
	v_cndmask_b32_e64 v10, 0, -1, vcc
	v_cmp_le_u32_e32 vcc, s42, v5
	v_addc_co_u32_e64 v14, s[0:1], 0, v8, s[0:1]
	v_cndmask_b32_e64 v5, 0, -1, vcc
	v_cmp_eq_u32_e32 vcc, s43, v6
	v_cmp_ne_u32_e64 s[0:1], 0, v9
	v_cndmask_b32_e32 v5, v10, v5, vcc
	v_cmp_ne_u32_e32 vcc, 0, v5
	v_cndmask_b32_e64 v6, v13, v11, s[0:1]
	v_cndmask_b32_e64 v9, v14, v12, s[0:1]
	v_cndmask_b32_e32 v6, v7, v6, vcc
	v_cndmask_b32_e32 v5, v8, v9, vcc
	v_xor_b32_e32 v6, v6, v3
	v_xor_b32_e32 v5, v5, v3
	v_sub_co_u32_e32 v8, vcc, v6, v3
	v_subb_co_u32_e32 v9, vcc, v5, v3, vcc
.LBB57_9:                               ;   in Loop: Header=BB57_3 Depth=1
	s_andn2_saveexec_b64 s[0:1], s[38:39]
	s_cbranch_execz .LBB57_11
; %bb.10:                               ;   in Loop: Header=BB57_3 Depth=1
	v_cvt_f32_u32_e32 v3, s6
	s_sub_i32 s20, 0, s6
	v_mov_b32_e32 v9, v2
	v_rcp_iflag_f32_e32 v3, v3
	v_mul_f32_e32 v3, 0x4f7ffffe, v3
	v_cvt_u32_f32_e32 v3, v3
	v_mul_lo_u32 v5, s20, v3
	v_mul_hi_u32 v5, v3, v5
	v_add_u32_e32 v3, v3, v5
	v_mul_hi_u32 v3, v4, v3
	v_mul_lo_u32 v5, v3, s6
	v_add_u32_e32 v6, 1, v3
	v_sub_u32_e32 v5, v4, v5
	v_subrev_u32_e32 v7, s6, v5
	v_cmp_le_u32_e32 vcc, s6, v5
	v_cndmask_b32_e32 v5, v5, v7, vcc
	v_cndmask_b32_e32 v3, v3, v6, vcc
	v_add_u32_e32 v6, 1, v3
	v_cmp_le_u32_e32 vcc, s6, v5
	v_cndmask_b32_e32 v8, v3, v6, vcc
.LBB57_11:                              ;   in Loop: Header=BB57_3 Depth=1
	s_or_b64 exec, exec, s[0:1]
	v_mad_u64_u32 v[5:6], s[0:1], v4, s33, 0
	v_mad_u64_u32 v[6:7], s[0:1], v8, s6, 0
	v_sub_co_u32_e32 v18, vcc, v0, v5
	v_mul_lo_u32 v3, s56, v18
	v_sub_co_u32_e32 v19, vcc, v4, v6
	v_mul_lo_u32 v4, s58, v18
	s_andn2_b64 vcc, exec, s[12:13]
	v_mad_u64_u32 v[6:7], s[0:1], s14, v19, v[3:4]
	v_mad_u64_u32 v[4:5], s[0:1], s16, v19, v[4:5]
	s_cbranch_vccnz .LBB57_39
; %bb.12:                               ;   in Loop: Header=BB57_3 Depth=1
	s_mov_b32 s59, 1
	s_andn2_b64 vcc, exec, s[30:31]
	s_mov_b32 s20, s52
	s_mov_b32 s0, s52
	s_cbranch_vccnz .LBB57_20
.LBB57_13:                              ;   Parent Loop BB57_3 Depth=1
                                        ; =>  This Inner Loop Header: Depth=2
	s_lshl_b64 s[38:39], s[20:21], 2
	s_add_u32 s40, s48, s38
	s_addc_u32 s41, s49, s39
	s_load_dword s60, s[40:41], 0x8
                                        ; implicit-def: $vgpr10_vgpr11
	s_waitcnt lgkmcnt(0)
	s_ashr_i32 s0, s60, 31
	v_or_b32_e32 v3, s0, v9
	v_cmp_ne_u64_e32 vcc, 0, v[2:3]
	s_and_saveexec_b64 s[42:43], vcc
	s_xor_b64 s[42:43], exec, s[42:43]
	s_cbranch_execz .LBB57_15
; %bb.14:                               ;   in Loop: Header=BB57_13 Depth=2
	s_ashr_i32 s44, s0, 31
	s_add_u32 s46, s60, s44
	s_mov_b32 s45, s44
	s_addc_u32 s47, s0, s44
	s_xor_b64 s[46:47], s[46:47], s[44:45]
	v_cvt_f32_u32_e32 v3, s46
	v_cvt_f32_u32_e32 v5, s47
	s_sub_u32 s45, 0, s46
	s_subb_u32 s61, 0, s47
	v_mac_f32_e32 v3, 0x4f800000, v5
	v_rcp_f32_e32 v3, v3
	v_mul_f32_e32 v3, 0x5f7ffffc, v3
	v_mul_f32_e32 v5, 0x2f800000, v3
	v_trunc_f32_e32 v5, v5
	v_mac_f32_e32 v3, 0xcf800000, v5
	v_cvt_u32_f32_e32 v5, v5
	v_cvt_u32_f32_e32 v3, v3
	v_readfirstlane_b32 s62, v5
	v_readfirstlane_b32 s0, v3
	s_mul_i32 s1, s45, s62
	s_mul_hi_u32 s64, s45, s0
	s_mul_i32 s63, s61, s0
	s_add_i32 s1, s64, s1
	s_add_i32 s1, s1, s63
	s_mul_i32 s65, s45, s0
	s_mul_i32 s64, s0, s1
	s_mul_hi_u32 s66, s0, s65
	s_mul_hi_u32 s63, s0, s1
	s_add_u32 s64, s66, s64
	s_addc_u32 s63, 0, s63
	s_mul_hi_u32 s67, s62, s65
	s_mul_i32 s65, s62, s65
	s_add_u32 s64, s64, s65
	s_mul_hi_u32 s66, s62, s1
	s_addc_u32 s63, s63, s67
	s_addc_u32 s64, s66, 0
	s_mul_i32 s1, s62, s1
	s_add_u32 s1, s63, s1
	s_addc_u32 s63, 0, s64
	s_add_u32 s64, s0, s1
	s_cselect_b64 s[0:1], -1, 0
	s_cmp_lg_u64 s[0:1], 0
	s_addc_u32 s62, s62, s63
	s_mul_i32 s0, s45, s62
	s_mul_hi_u32 s1, s45, s64
	s_add_i32 s0, s1, s0
	s_mul_i32 s61, s61, s64
	s_add_i32 s0, s0, s61
	s_mul_i32 s45, s45, s64
	s_mul_hi_u32 s61, s62, s45
	s_mul_i32 s63, s62, s45
	s_mul_i32 s66, s64, s0
	s_mul_hi_u32 s45, s64, s45
	s_mul_hi_u32 s65, s64, s0
	s_add_u32 s45, s45, s66
	s_addc_u32 s65, 0, s65
	s_add_u32 s45, s45, s63
	s_mul_hi_u32 s1, s62, s0
	s_addc_u32 s45, s65, s61
	s_addc_u32 s1, s1, 0
	s_mul_i32 s0, s62, s0
	s_add_u32 s0, s45, s0
	s_addc_u32 s45, 0, s1
	s_add_u32 s61, s64, s0
	s_cselect_b64 s[0:1], -1, 0
	v_ashrrev_i32_e32 v3, 31, v9
	s_cmp_lg_u64 s[0:1], 0
	v_add_co_u32_e32 v5, vcc, v8, v3
	s_addc_u32 s45, s62, s45
	v_xor_b32_e32 v5, v5, v3
	v_addc_co_u32_e32 v7, vcc, v9, v3, vcc
	v_mad_u64_u32 v[9:10], s[0:1], v5, s45, 0
	v_mul_hi_u32 v11, v5, s61
	v_xor_b32_e32 v7, v7, v3
	v_xor_b32_e32 v3, s44, v3
	v_add_co_u32_e32 v13, vcc, v11, v9
	v_addc_co_u32_e32 v14, vcc, 0, v10, vcc
	v_mad_u64_u32 v[9:10], s[0:1], v7, s61, 0
	v_mad_u64_u32 v[11:12], s[0:1], v7, s45, 0
	v_add_co_u32_e32 v9, vcc, v13, v9
	v_addc_co_u32_e32 v9, vcc, v14, v10, vcc
	v_addc_co_u32_e32 v10, vcc, 0, v12, vcc
	v_add_co_u32_e32 v11, vcc, v9, v11
	v_addc_co_u32_e32 v12, vcc, 0, v10, vcc
	v_mul_lo_u32 v13, s47, v11
	v_mul_lo_u32 v14, s46, v12
	v_mad_u64_u32 v[9:10], s[0:1], s46, v11, 0
	v_add3_u32 v10, v10, v14, v13
	v_sub_u32_e32 v13, v7, v10
	v_mov_b32_e32 v14, s47
	v_sub_co_u32_e32 v5, vcc, v5, v9
	v_subb_co_u32_e64 v9, s[0:1], v13, v14, vcc
	v_subrev_co_u32_e64 v13, s[0:1], s46, v5
	v_subbrev_co_u32_e64 v9, s[0:1], 0, v9, s[0:1]
	v_cmp_le_u32_e64 s[0:1], s47, v9
	v_cndmask_b32_e64 v14, 0, -1, s[0:1]
	v_cmp_le_u32_e64 s[0:1], s46, v13
	v_cndmask_b32_e64 v13, 0, -1, s[0:1]
	v_cmp_eq_u32_e64 s[0:1], s47, v9
	v_cndmask_b32_e64 v9, v14, v13, s[0:1]
	v_add_co_u32_e64 v13, s[0:1], 2, v11
	v_subb_co_u32_e32 v7, vcc, v7, v10, vcc
	v_addc_co_u32_e64 v14, s[0:1], 0, v12, s[0:1]
	v_cmp_le_u32_e32 vcc, s47, v7
	v_add_co_u32_e64 v15, s[0:1], 1, v11
	v_cndmask_b32_e64 v10, 0, -1, vcc
	v_cmp_le_u32_e32 vcc, s46, v5
	v_addc_co_u32_e64 v16, s[0:1], 0, v12, s[0:1]
	v_cndmask_b32_e64 v5, 0, -1, vcc
	v_cmp_eq_u32_e32 vcc, s47, v7
	v_cmp_ne_u32_e64 s[0:1], 0, v9
	v_cndmask_b32_e32 v5, v10, v5, vcc
	v_cmp_ne_u32_e32 vcc, 0, v5
	v_cndmask_b32_e64 v7, v15, v13, s[0:1]
	v_cndmask_b32_e64 v9, v16, v14, s[0:1]
	v_cndmask_b32_e32 v7, v11, v7, vcc
	v_cndmask_b32_e32 v5, v12, v9, vcc
	v_xor_b32_e32 v7, v7, v3
	v_xor_b32_e32 v5, v5, v3
	v_sub_co_u32_e32 v10, vcc, v7, v3
	v_subb_co_u32_e32 v11, vcc, v5, v3, vcc
.LBB57_15:                              ;   in Loop: Header=BB57_13 Depth=2
	s_andn2_saveexec_b64 s[0:1], s[42:43]
	s_cbranch_execz .LBB57_17
; %bb.16:                               ;   in Loop: Header=BB57_13 Depth=2
	v_cvt_f32_u32_e32 v3, s60
	s_sub_i32 s42, 0, s60
	v_mov_b32_e32 v11, v2
	v_rcp_iflag_f32_e32 v3, v3
	v_mul_f32_e32 v3, 0x4f7ffffe, v3
	v_cvt_u32_f32_e32 v3, v3
	v_mul_lo_u32 v5, s42, v3
	v_mul_hi_u32 v5, v3, v5
	v_add_u32_e32 v3, v3, v5
	v_mul_hi_u32 v3, v8, v3
	v_mul_lo_u32 v5, v3, s60
	v_add_u32_e32 v7, 1, v3
	v_sub_u32_e32 v5, v8, v5
	v_subrev_u32_e32 v9, s60, v5
	v_cmp_le_u32_e32 vcc, s60, v5
	v_cndmask_b32_e32 v5, v5, v9, vcc
	v_cndmask_b32_e32 v3, v3, v7, vcc
	v_add_u32_e32 v7, 1, v3
	v_cmp_le_u32_e32 vcc, s60, v5
	v_cndmask_b32_e32 v10, v3, v7, vcc
.LBB57_17:                              ;   in Loop: Header=BB57_13 Depth=2
	s_or_b64 exec, exec, s[0:1]
	s_add_u32 s0, s4, s38
	s_addc_u32 s1, s5, s39
	v_mul_lo_u32 v3, v10, s60
	s_load_dword s40, s[40:41], 0x6c
	s_add_i32 s20, s20, -1
	s_load_dword s38, s[0:1], 0x6c
	v_sub_u32_e32 v3, v8, v3
	s_waitcnt lgkmcnt(0)
	v_mad_u64_u32 v[6:7], s[0:1], s40, v3, v[6:7]
	v_mad_u64_u32 v[4:5], s[0:1], s38, v3, v[4:5]
	s_xor_b32 s0, s54, s59
	s_add_i32 s59, s59, 1
	s_cmp_lg_u32 s0, 2
	s_cbranch_scc0 .LBB57_19
; %bb.18:                               ;   in Loop: Header=BB57_13 Depth=2
	v_mov_b32_e32 v8, v10
	v_mov_b32_e32 v9, v11
	s_branch .LBB57_13
.LBB57_19:                              ;   in Loop: Header=BB57_3 Depth=1
	v_mov_b32_e32 v8, v10
	s_mov_b32 s0, s20
	v_mov_b32_e32 v9, v11
.LBB57_20:                              ;   in Loop: Header=BB57_3 Depth=1
	s_and_b64 vcc, exec, s[34:35]
	s_mov_b32 s20, s0
	s_cbranch_vccz .LBB57_39
.LBB57_21:                              ;   Parent Loop BB57_3 Depth=1
                                        ; =>  This Inner Loop Header: Depth=2
	s_lshl_b64 s[38:39], s[20:21], 2
	s_add_u32 s40, s48, s38
	s_addc_u32 s41, s49, s39
	s_load_dword s59, s[40:41], 0x8
                                        ; implicit-def: $vgpr10_vgpr11
	s_waitcnt lgkmcnt(0)
	s_ashr_i32 s0, s59, 31
	v_or_b32_e32 v3, s0, v9
	v_cmp_ne_u64_e32 vcc, 0, v[2:3]
	s_and_saveexec_b64 s[42:43], vcc
	s_xor_b64 s[42:43], exec, s[42:43]
	s_cbranch_execz .LBB57_23
; %bb.22:                               ;   in Loop: Header=BB57_21 Depth=2
	s_ashr_i32 s44, s0, 31
	s_add_u32 s46, s59, s44
	s_mov_b32 s45, s44
	s_addc_u32 s47, s0, s44
	s_xor_b64 s[46:47], s[46:47], s[44:45]
	v_cvt_f32_u32_e32 v3, s46
	v_cvt_f32_u32_e32 v5, s47
	s_sub_u32 s45, 0, s46
	s_subb_u32 s60, 0, s47
	v_mac_f32_e32 v3, 0x4f800000, v5
	v_rcp_f32_e32 v3, v3
	v_mul_f32_e32 v3, 0x5f7ffffc, v3
	v_mul_f32_e32 v5, 0x2f800000, v3
	v_trunc_f32_e32 v5, v5
	v_mac_f32_e32 v3, 0xcf800000, v5
	v_cvt_u32_f32_e32 v5, v5
	v_cvt_u32_f32_e32 v3, v3
	v_readfirstlane_b32 s61, v5
	v_readfirstlane_b32 s0, v3
	s_mul_i32 s1, s45, s61
	s_mul_hi_u32 s63, s45, s0
	s_mul_i32 s62, s60, s0
	s_add_i32 s1, s63, s1
	s_add_i32 s1, s1, s62
	s_mul_i32 s64, s45, s0
	s_mul_i32 s63, s0, s1
	s_mul_hi_u32 s65, s0, s64
	s_mul_hi_u32 s62, s0, s1
	s_add_u32 s63, s65, s63
	s_addc_u32 s62, 0, s62
	s_mul_hi_u32 s66, s61, s64
	s_mul_i32 s64, s61, s64
	s_add_u32 s63, s63, s64
	s_mul_hi_u32 s65, s61, s1
	s_addc_u32 s62, s62, s66
	s_addc_u32 s63, s65, 0
	s_mul_i32 s1, s61, s1
	s_add_u32 s1, s62, s1
	s_addc_u32 s62, 0, s63
	s_add_u32 s63, s0, s1
	s_cselect_b64 s[0:1], -1, 0
	s_cmp_lg_u64 s[0:1], 0
	s_addc_u32 s61, s61, s62
	s_mul_i32 s0, s45, s61
	s_mul_hi_u32 s1, s45, s63
	s_add_i32 s0, s1, s0
	s_mul_i32 s60, s60, s63
	s_add_i32 s0, s0, s60
	s_mul_i32 s45, s45, s63
	s_mul_hi_u32 s60, s61, s45
	s_mul_i32 s62, s61, s45
	s_mul_i32 s65, s63, s0
	s_mul_hi_u32 s45, s63, s45
	s_mul_hi_u32 s64, s63, s0
	s_add_u32 s45, s45, s65
	s_addc_u32 s64, 0, s64
	s_add_u32 s45, s45, s62
	s_mul_hi_u32 s1, s61, s0
	s_addc_u32 s45, s64, s60
	s_addc_u32 s1, s1, 0
	s_mul_i32 s0, s61, s0
	s_add_u32 s0, s45, s0
	s_addc_u32 s45, 0, s1
	s_add_u32 s60, s63, s0
	s_cselect_b64 s[0:1], -1, 0
	v_ashrrev_i32_e32 v3, 31, v9
	s_cmp_lg_u64 s[0:1], 0
	v_add_co_u32_e32 v5, vcc, v8, v3
	s_addc_u32 s45, s61, s45
	v_xor_b32_e32 v5, v5, v3
	v_addc_co_u32_e32 v7, vcc, v9, v3, vcc
	v_mad_u64_u32 v[9:10], s[0:1], v5, s45, 0
	v_mul_hi_u32 v11, v5, s60
	v_xor_b32_e32 v7, v7, v3
	v_xor_b32_e32 v3, s44, v3
	v_add_co_u32_e32 v13, vcc, v11, v9
	v_addc_co_u32_e32 v14, vcc, 0, v10, vcc
	v_mad_u64_u32 v[9:10], s[0:1], v7, s60, 0
	v_mad_u64_u32 v[11:12], s[0:1], v7, s45, 0
	v_add_co_u32_e32 v9, vcc, v13, v9
	v_addc_co_u32_e32 v9, vcc, v14, v10, vcc
	v_addc_co_u32_e32 v10, vcc, 0, v12, vcc
	v_add_co_u32_e32 v11, vcc, v9, v11
	v_addc_co_u32_e32 v12, vcc, 0, v10, vcc
	v_mul_lo_u32 v13, s47, v11
	v_mul_lo_u32 v14, s46, v12
	v_mad_u64_u32 v[9:10], s[0:1], s46, v11, 0
	v_add3_u32 v10, v10, v14, v13
	v_sub_u32_e32 v13, v7, v10
	v_mov_b32_e32 v14, s47
	v_sub_co_u32_e32 v5, vcc, v5, v9
	v_subb_co_u32_e64 v9, s[0:1], v13, v14, vcc
	v_subrev_co_u32_e64 v13, s[0:1], s46, v5
	v_subbrev_co_u32_e64 v9, s[0:1], 0, v9, s[0:1]
	v_cmp_le_u32_e64 s[0:1], s47, v9
	v_cndmask_b32_e64 v14, 0, -1, s[0:1]
	v_cmp_le_u32_e64 s[0:1], s46, v13
	v_cndmask_b32_e64 v13, 0, -1, s[0:1]
	v_cmp_eq_u32_e64 s[0:1], s47, v9
	v_cndmask_b32_e64 v9, v14, v13, s[0:1]
	v_add_co_u32_e64 v13, s[0:1], 2, v11
	v_subb_co_u32_e32 v7, vcc, v7, v10, vcc
	v_addc_co_u32_e64 v14, s[0:1], 0, v12, s[0:1]
	v_cmp_le_u32_e32 vcc, s47, v7
	v_add_co_u32_e64 v15, s[0:1], 1, v11
	v_cndmask_b32_e64 v10, 0, -1, vcc
	v_cmp_le_u32_e32 vcc, s46, v5
	v_addc_co_u32_e64 v16, s[0:1], 0, v12, s[0:1]
	v_cndmask_b32_e64 v5, 0, -1, vcc
	v_cmp_eq_u32_e32 vcc, s47, v7
	v_cmp_ne_u32_e64 s[0:1], 0, v9
	v_cndmask_b32_e32 v5, v10, v5, vcc
	v_cmp_ne_u32_e32 vcc, 0, v5
	v_cndmask_b32_e64 v7, v15, v13, s[0:1]
	v_cndmask_b32_e64 v9, v16, v14, s[0:1]
	v_cndmask_b32_e32 v7, v11, v7, vcc
	v_cndmask_b32_e32 v5, v12, v9, vcc
	v_xor_b32_e32 v7, v7, v3
	v_xor_b32_e32 v5, v5, v3
	v_sub_co_u32_e32 v10, vcc, v7, v3
	v_subb_co_u32_e32 v11, vcc, v5, v3, vcc
.LBB57_23:                              ;   in Loop: Header=BB57_21 Depth=2
	s_andn2_saveexec_b64 s[0:1], s[42:43]
	s_cbranch_execz .LBB57_25
; %bb.24:                               ;   in Loop: Header=BB57_21 Depth=2
	v_cvt_f32_u32_e32 v3, s59
	s_sub_i32 s42, 0, s59
	v_mov_b32_e32 v11, v2
	v_rcp_iflag_f32_e32 v3, v3
	v_mul_f32_e32 v3, 0x4f7ffffe, v3
	v_cvt_u32_f32_e32 v3, v3
	v_mul_lo_u32 v5, s42, v3
	v_mul_hi_u32 v5, v3, v5
	v_add_u32_e32 v3, v3, v5
	v_mul_hi_u32 v3, v8, v3
	v_mul_lo_u32 v5, v3, s59
	v_add_u32_e32 v7, 1, v3
	v_sub_u32_e32 v5, v8, v5
	v_subrev_u32_e32 v9, s59, v5
	v_cmp_le_u32_e32 vcc, s59, v5
	v_cndmask_b32_e32 v5, v5, v9, vcc
	v_cndmask_b32_e32 v3, v3, v7, vcc
	v_add_u32_e32 v7, 1, v3
	v_cmp_le_u32_e32 vcc, s59, v5
	v_cndmask_b32_e32 v10, v3, v7, vcc
.LBB57_25:                              ;   in Loop: Header=BB57_21 Depth=2
	s_or_b64 exec, exec, s[0:1]
	s_add_u32 s0, s4, s38
	s_addc_u32 s1, s5, s39
	s_add_i32 s38, s20, -1
	s_mov_b32 s39, s21
	s_lshl_b64 s[42:43], s[38:39], 2
	s_add_u32 s38, s48, s42
	s_addc_u32 s39, s49, s43
	s_load_dword s62, s[38:39], 0x8
	s_load_dword s61, s[40:41], 0x6c
	;; [unrolled: 1-line block ×3, first 2 shown]
                                        ; implicit-def: $vgpr12_vgpr13
	s_waitcnt lgkmcnt(0)
	s_ashr_i32 s0, s62, 31
	v_or_b32_e32 v3, s0, v11
	v_cmp_ne_u64_e32 vcc, 0, v[2:3]
	s_and_saveexec_b64 s[40:41], vcc
	s_xor_b64 s[40:41], exec, s[40:41]
	s_cbranch_execz .LBB57_27
; %bb.26:                               ;   in Loop: Header=BB57_21 Depth=2
	s_ashr_i32 s44, s0, 31
	s_add_u32 s46, s62, s44
	s_mov_b32 s45, s44
	s_addc_u32 s47, s0, s44
	s_xor_b64 s[46:47], s[46:47], s[44:45]
	v_cvt_f32_u32_e32 v3, s46
	v_cvt_f32_u32_e32 v5, s47
	s_sub_u32 s45, 0, s46
	s_subb_u32 s63, 0, s47
	v_mac_f32_e32 v3, 0x4f800000, v5
	v_rcp_f32_e32 v3, v3
	v_mul_f32_e32 v3, 0x5f7ffffc, v3
	v_mul_f32_e32 v5, 0x2f800000, v3
	v_trunc_f32_e32 v5, v5
	v_mac_f32_e32 v3, 0xcf800000, v5
	v_cvt_u32_f32_e32 v5, v5
	v_cvt_u32_f32_e32 v3, v3
	v_readfirstlane_b32 s64, v5
	v_readfirstlane_b32 s0, v3
	s_mul_i32 s1, s45, s64
	s_mul_hi_u32 s66, s45, s0
	s_mul_i32 s65, s63, s0
	s_add_i32 s1, s66, s1
	s_add_i32 s1, s1, s65
	s_mul_i32 s67, s45, s0
	s_mul_i32 s66, s0, s1
	s_mul_hi_u32 s68, s0, s67
	s_mul_hi_u32 s65, s0, s1
	s_add_u32 s66, s68, s66
	s_addc_u32 s65, 0, s65
	s_mul_hi_u32 s69, s64, s67
	s_mul_i32 s67, s64, s67
	s_add_u32 s66, s66, s67
	s_mul_hi_u32 s68, s64, s1
	s_addc_u32 s65, s65, s69
	s_addc_u32 s66, s68, 0
	s_mul_i32 s1, s64, s1
	s_add_u32 s1, s65, s1
	s_addc_u32 s65, 0, s66
	s_add_u32 s66, s0, s1
	s_cselect_b64 s[0:1], -1, 0
	s_cmp_lg_u64 s[0:1], 0
	s_addc_u32 s64, s64, s65
	s_mul_i32 s0, s45, s64
	s_mul_hi_u32 s1, s45, s66
	s_add_i32 s0, s1, s0
	s_mul_i32 s63, s63, s66
	s_add_i32 s0, s0, s63
	s_mul_i32 s45, s45, s66
	s_mul_hi_u32 s63, s64, s45
	s_mul_i32 s65, s64, s45
	s_mul_i32 s68, s66, s0
	s_mul_hi_u32 s45, s66, s45
	s_mul_hi_u32 s67, s66, s0
	s_add_u32 s45, s45, s68
	s_addc_u32 s67, 0, s67
	s_add_u32 s45, s45, s65
	s_mul_hi_u32 s1, s64, s0
	s_addc_u32 s45, s67, s63
	s_addc_u32 s1, s1, 0
	s_mul_i32 s0, s64, s0
	s_add_u32 s0, s45, s0
	s_addc_u32 s45, 0, s1
	s_add_u32 s63, s66, s0
	s_cselect_b64 s[0:1], -1, 0
	v_ashrrev_i32_e32 v3, 31, v11
	s_cmp_lg_u64 s[0:1], 0
	v_add_co_u32_e32 v5, vcc, v10, v3
	s_addc_u32 s45, s64, s45
	v_xor_b32_e32 v5, v5, v3
	v_addc_co_u32_e32 v7, vcc, v11, v3, vcc
	v_mad_u64_u32 v[11:12], s[0:1], v5, s45, 0
	v_mul_hi_u32 v9, v5, s63
	v_xor_b32_e32 v7, v7, v3
	v_mad_u64_u32 v[13:14], s[0:1], v7, s45, 0
	v_add_co_u32_e32 v9, vcc, v9, v11
	v_addc_co_u32_e32 v15, vcc, 0, v12, vcc
	v_mad_u64_u32 v[11:12], s[0:1], v7, s63, 0
	v_xor_b32_e32 v3, s44, v3
	v_add_co_u32_e32 v9, vcc, v9, v11
	v_addc_co_u32_e32 v9, vcc, v15, v12, vcc
	v_addc_co_u32_e32 v11, vcc, 0, v14, vcc
	v_add_co_u32_e32 v9, vcc, v9, v13
	v_addc_co_u32_e32 v13, vcc, 0, v11, vcc
	v_mul_lo_u32 v14, s47, v9
	v_mul_lo_u32 v15, s46, v13
	v_mad_u64_u32 v[11:12], s[0:1], s46, v9, 0
	v_add3_u32 v12, v12, v15, v14
	v_sub_u32_e32 v14, v7, v12
	v_mov_b32_e32 v15, s47
	v_sub_co_u32_e32 v5, vcc, v5, v11
	v_subb_co_u32_e64 v11, s[0:1], v14, v15, vcc
	v_subrev_co_u32_e64 v14, s[0:1], s46, v5
	v_subbrev_co_u32_e64 v11, s[0:1], 0, v11, s[0:1]
	v_cmp_le_u32_e64 s[0:1], s47, v11
	v_cndmask_b32_e64 v15, 0, -1, s[0:1]
	v_cmp_le_u32_e64 s[0:1], s46, v14
	v_cndmask_b32_e64 v14, 0, -1, s[0:1]
	v_cmp_eq_u32_e64 s[0:1], s47, v11
	v_cndmask_b32_e64 v11, v15, v14, s[0:1]
	v_add_co_u32_e64 v14, s[0:1], 2, v9
	v_subb_co_u32_e32 v7, vcc, v7, v12, vcc
	v_addc_co_u32_e64 v15, s[0:1], 0, v13, s[0:1]
	v_cmp_le_u32_e32 vcc, s47, v7
	v_add_co_u32_e64 v16, s[0:1], 1, v9
	v_cndmask_b32_e64 v12, 0, -1, vcc
	v_cmp_le_u32_e32 vcc, s46, v5
	v_addc_co_u32_e64 v17, s[0:1], 0, v13, s[0:1]
	v_cndmask_b32_e64 v5, 0, -1, vcc
	v_cmp_eq_u32_e32 vcc, s47, v7
	v_cmp_ne_u32_e64 s[0:1], 0, v11
	v_cndmask_b32_e32 v5, v12, v5, vcc
	v_cmp_ne_u32_e32 vcc, 0, v5
	v_cndmask_b32_e64 v7, v16, v14, s[0:1]
	v_cndmask_b32_e64 v11, v17, v15, s[0:1]
	v_cndmask_b32_e32 v7, v9, v7, vcc
	v_cndmask_b32_e32 v5, v13, v11, vcc
	v_xor_b32_e32 v7, v7, v3
	v_xor_b32_e32 v5, v5, v3
	v_sub_co_u32_e32 v12, vcc, v7, v3
	v_subb_co_u32_e32 v13, vcc, v5, v3, vcc
.LBB57_27:                              ;   in Loop: Header=BB57_21 Depth=2
	s_andn2_saveexec_b64 s[0:1], s[40:41]
	s_cbranch_execz .LBB57_29
; %bb.28:                               ;   in Loop: Header=BB57_21 Depth=2
	v_cvt_f32_u32_e32 v3, s62
	s_sub_i32 s40, 0, s62
	v_mov_b32_e32 v13, v2
	v_rcp_iflag_f32_e32 v3, v3
	v_mul_f32_e32 v3, 0x4f7ffffe, v3
	v_cvt_u32_f32_e32 v3, v3
	v_mul_lo_u32 v5, s40, v3
	v_mul_hi_u32 v5, v3, v5
	v_add_u32_e32 v3, v3, v5
	v_mul_hi_u32 v3, v10, v3
	v_mul_lo_u32 v5, v3, s62
	v_add_u32_e32 v7, 1, v3
	v_sub_u32_e32 v5, v10, v5
	v_subrev_u32_e32 v9, s62, v5
	v_cmp_le_u32_e32 vcc, s62, v5
	v_cndmask_b32_e32 v5, v5, v9, vcc
	v_cndmask_b32_e32 v3, v3, v7, vcc
	v_add_u32_e32 v7, 1, v3
	v_cmp_le_u32_e32 vcc, s62, v5
	v_cndmask_b32_e32 v12, v3, v7, vcc
.LBB57_29:                              ;   in Loop: Header=BB57_21 Depth=2
	s_or_b64 exec, exec, s[0:1]
	s_add_u32 s0, s4, s42
	s_addc_u32 s1, s5, s43
	s_add_i32 s40, s20, -2
	s_mov_b32 s41, s21
	s_lshl_b64 s[40:41], s[40:41], 2
	s_add_u32 s42, s48, s40
	s_addc_u32 s43, s49, s41
	s_load_dword s64, s[42:43], 0x8
	s_load_dword s65, s[38:39], 0x6c
	;; [unrolled: 1-line block ×3, first 2 shown]
                                        ; implicit-def: $vgpr14_vgpr15
	s_waitcnt lgkmcnt(0)
	s_ashr_i32 s0, s64, 31
	v_or_b32_e32 v3, s0, v13
	v_cmp_ne_u64_e32 vcc, 0, v[2:3]
	s_and_saveexec_b64 s[38:39], vcc
	s_xor_b64 s[38:39], exec, s[38:39]
	s_cbranch_execz .LBB57_31
; %bb.30:                               ;   in Loop: Header=BB57_21 Depth=2
	s_ashr_i32 s44, s0, 31
	s_add_u32 s46, s64, s44
	s_mov_b32 s45, s44
	s_addc_u32 s47, s0, s44
	s_xor_b64 s[46:47], s[46:47], s[44:45]
	v_cvt_f32_u32_e32 v3, s46
	v_cvt_f32_u32_e32 v5, s47
	s_sub_u32 s45, 0, s46
	s_subb_u32 s66, 0, s47
	v_mac_f32_e32 v3, 0x4f800000, v5
	v_rcp_f32_e32 v3, v3
	v_mul_f32_e32 v3, 0x5f7ffffc, v3
	v_mul_f32_e32 v5, 0x2f800000, v3
	v_trunc_f32_e32 v5, v5
	v_mac_f32_e32 v3, 0xcf800000, v5
	v_cvt_u32_f32_e32 v5, v5
	v_cvt_u32_f32_e32 v3, v3
	v_readfirstlane_b32 s67, v5
	v_readfirstlane_b32 s0, v3
	s_mul_i32 s1, s45, s67
	s_mul_hi_u32 s69, s45, s0
	s_mul_i32 s68, s66, s0
	s_add_i32 s1, s69, s1
	s_add_i32 s1, s1, s68
	s_mul_i32 s70, s45, s0
	s_mul_i32 s69, s0, s1
	s_mul_hi_u32 s71, s0, s70
	s_mul_hi_u32 s68, s0, s1
	s_add_u32 s69, s71, s69
	s_addc_u32 s68, 0, s68
	s_mul_hi_u32 s72, s67, s70
	s_mul_i32 s70, s67, s70
	s_add_u32 s69, s69, s70
	s_mul_hi_u32 s71, s67, s1
	s_addc_u32 s68, s68, s72
	s_addc_u32 s69, s71, 0
	s_mul_i32 s1, s67, s1
	s_add_u32 s1, s68, s1
	s_addc_u32 s68, 0, s69
	s_add_u32 s69, s0, s1
	s_cselect_b64 s[0:1], -1, 0
	s_cmp_lg_u64 s[0:1], 0
	s_addc_u32 s67, s67, s68
	s_mul_i32 s0, s45, s67
	s_mul_hi_u32 s1, s45, s69
	s_add_i32 s0, s1, s0
	s_mul_i32 s66, s66, s69
	s_add_i32 s0, s0, s66
	s_mul_i32 s45, s45, s69
	s_mul_hi_u32 s66, s67, s45
	s_mul_i32 s68, s67, s45
	s_mul_i32 s71, s69, s0
	s_mul_hi_u32 s45, s69, s45
	s_mul_hi_u32 s70, s69, s0
	s_add_u32 s45, s45, s71
	s_addc_u32 s70, 0, s70
	s_add_u32 s45, s45, s68
	s_mul_hi_u32 s1, s67, s0
	s_addc_u32 s45, s70, s66
	s_addc_u32 s1, s1, 0
	s_mul_i32 s0, s67, s0
	s_add_u32 s0, s45, s0
	s_addc_u32 s45, 0, s1
	s_add_u32 s66, s69, s0
	s_cselect_b64 s[0:1], -1, 0
	v_ashrrev_i32_e32 v3, 31, v13
	s_cmp_lg_u64 s[0:1], 0
	v_add_co_u32_e32 v5, vcc, v12, v3
	s_addc_u32 s45, s67, s45
	v_xor_b32_e32 v5, v5, v3
	v_addc_co_u32_e32 v7, vcc, v13, v3, vcc
	v_mad_u64_u32 v[13:14], s[0:1], v5, s45, 0
	v_mul_hi_u32 v9, v5, s66
	v_xor_b32_e32 v7, v7, v3
	v_mad_u64_u32 v[15:16], s[0:1], v7, s45, 0
	v_add_co_u32_e32 v9, vcc, v9, v13
	v_addc_co_u32_e32 v11, vcc, 0, v14, vcc
	v_mad_u64_u32 v[13:14], s[0:1], v7, s66, 0
	v_xor_b32_e32 v3, s44, v3
	v_add_co_u32_e32 v9, vcc, v9, v13
	v_addc_co_u32_e32 v9, vcc, v11, v14, vcc
	v_addc_co_u32_e32 v11, vcc, 0, v16, vcc
	v_add_co_u32_e32 v9, vcc, v9, v15
	v_addc_co_u32_e32 v11, vcc, 0, v11, vcc
	v_mul_lo_u32 v15, s47, v9
	v_mul_lo_u32 v16, s46, v11
	v_mad_u64_u32 v[13:14], s[0:1], s46, v9, 0
	v_add3_u32 v14, v14, v16, v15
	v_sub_u32_e32 v15, v7, v14
	v_mov_b32_e32 v16, s47
	v_sub_co_u32_e32 v5, vcc, v5, v13
	v_subb_co_u32_e64 v13, s[0:1], v15, v16, vcc
	v_subrev_co_u32_e64 v15, s[0:1], s46, v5
	v_subbrev_co_u32_e64 v13, s[0:1], 0, v13, s[0:1]
	v_cmp_le_u32_e64 s[0:1], s47, v13
	v_cndmask_b32_e64 v16, 0, -1, s[0:1]
	v_cmp_le_u32_e64 s[0:1], s46, v15
	v_cndmask_b32_e64 v15, 0, -1, s[0:1]
	v_cmp_eq_u32_e64 s[0:1], s47, v13
	v_cndmask_b32_e64 v13, v16, v15, s[0:1]
	v_add_co_u32_e64 v15, s[0:1], 2, v9
	v_subb_co_u32_e32 v7, vcc, v7, v14, vcc
	v_addc_co_u32_e64 v16, s[0:1], 0, v11, s[0:1]
	v_cmp_le_u32_e32 vcc, s47, v7
	v_add_co_u32_e64 v17, s[0:1], 1, v9
	v_cndmask_b32_e64 v14, 0, -1, vcc
	v_cmp_le_u32_e32 vcc, s46, v5
	v_addc_co_u32_e64 v20, s[0:1], 0, v11, s[0:1]
	v_cndmask_b32_e64 v5, 0, -1, vcc
	v_cmp_eq_u32_e32 vcc, s47, v7
	v_cmp_ne_u32_e64 s[0:1], 0, v13
	v_cndmask_b32_e32 v5, v14, v5, vcc
	v_cmp_ne_u32_e32 vcc, 0, v5
	v_cndmask_b32_e64 v7, v17, v15, s[0:1]
	v_cndmask_b32_e64 v13, v20, v16, s[0:1]
	v_cndmask_b32_e32 v7, v9, v7, vcc
	v_cndmask_b32_e32 v5, v11, v13, vcc
	v_xor_b32_e32 v7, v7, v3
	v_xor_b32_e32 v5, v5, v3
	v_sub_co_u32_e32 v14, vcc, v7, v3
	v_subb_co_u32_e32 v15, vcc, v5, v3, vcc
.LBB57_31:                              ;   in Loop: Header=BB57_21 Depth=2
	s_andn2_saveexec_b64 s[0:1], s[38:39]
	s_cbranch_execz .LBB57_33
; %bb.32:                               ;   in Loop: Header=BB57_21 Depth=2
	v_cvt_f32_u32_e32 v3, s64
	s_sub_i32 s38, 0, s64
	v_mov_b32_e32 v15, v2
	v_rcp_iflag_f32_e32 v3, v3
	v_mul_f32_e32 v3, 0x4f7ffffe, v3
	v_cvt_u32_f32_e32 v3, v3
	v_mul_lo_u32 v5, s38, v3
	v_mul_hi_u32 v5, v3, v5
	v_add_u32_e32 v3, v3, v5
	v_mul_hi_u32 v3, v12, v3
	v_mul_lo_u32 v5, v3, s64
	v_add_u32_e32 v7, 1, v3
	v_sub_u32_e32 v5, v12, v5
	v_subrev_u32_e32 v9, s64, v5
	v_cmp_le_u32_e32 vcc, s64, v5
	v_cndmask_b32_e32 v5, v5, v9, vcc
	v_cndmask_b32_e32 v3, v3, v7, vcc
	v_add_u32_e32 v7, 1, v3
	v_cmp_le_u32_e32 vcc, s64, v5
	v_cndmask_b32_e32 v14, v3, v7, vcc
.LBB57_33:                              ;   in Loop: Header=BB57_21 Depth=2
	s_or_b64 exec, exec, s[0:1]
	s_add_u32 s0, s4, s40
	s_addc_u32 s1, s5, s41
	s_add_i32 s38, s20, -3
	s_mov_b32 s39, s21
	s_lshl_b64 s[38:39], s[38:39], 2
	s_add_u32 s40, s48, s38
	s_addc_u32 s41, s49, s39
	s_load_dword s67, s[40:41], 0x8
	s_load_dword s68, s[42:43], 0x6c
	s_load_dword s66, s[0:1], 0x6c
                                        ; implicit-def: $vgpr16_vgpr17
	s_waitcnt lgkmcnt(0)
	s_ashr_i32 s0, s67, 31
	v_or_b32_e32 v3, s0, v15
	v_cmp_ne_u64_e32 vcc, 0, v[2:3]
	s_and_saveexec_b64 s[42:43], vcc
	s_xor_b64 s[42:43], exec, s[42:43]
	s_cbranch_execz .LBB57_35
; %bb.34:                               ;   in Loop: Header=BB57_21 Depth=2
	s_ashr_i32 s44, s0, 31
	s_add_u32 s46, s67, s44
	s_mov_b32 s45, s44
	s_addc_u32 s47, s0, s44
	s_xor_b64 s[46:47], s[46:47], s[44:45]
	v_cvt_f32_u32_e32 v3, s46
	v_cvt_f32_u32_e32 v5, s47
	s_sub_u32 s45, 0, s46
	s_subb_u32 s69, 0, s47
	v_mac_f32_e32 v3, 0x4f800000, v5
	v_rcp_f32_e32 v3, v3
	v_mul_f32_e32 v3, 0x5f7ffffc, v3
	v_mul_f32_e32 v5, 0x2f800000, v3
	v_trunc_f32_e32 v5, v5
	v_mac_f32_e32 v3, 0xcf800000, v5
	v_cvt_u32_f32_e32 v5, v5
	v_cvt_u32_f32_e32 v3, v3
	v_readfirstlane_b32 s70, v5
	v_readfirstlane_b32 s0, v3
	s_mul_i32 s1, s45, s70
	s_mul_hi_u32 s72, s45, s0
	s_mul_i32 s71, s69, s0
	s_add_i32 s1, s72, s1
	s_add_i32 s1, s1, s71
	s_mul_i32 s73, s45, s0
	s_mul_i32 s72, s0, s1
	s_mul_hi_u32 s74, s0, s73
	s_mul_hi_u32 s71, s0, s1
	s_add_u32 s72, s74, s72
	s_addc_u32 s71, 0, s71
	s_mul_hi_u32 s75, s70, s73
	s_mul_i32 s73, s70, s73
	s_add_u32 s72, s72, s73
	s_mul_hi_u32 s74, s70, s1
	s_addc_u32 s71, s71, s75
	s_addc_u32 s72, s74, 0
	s_mul_i32 s1, s70, s1
	s_add_u32 s1, s71, s1
	s_addc_u32 s71, 0, s72
	s_add_u32 s72, s0, s1
	s_cselect_b64 s[0:1], -1, 0
	s_cmp_lg_u64 s[0:1], 0
	s_addc_u32 s70, s70, s71
	s_mul_i32 s0, s45, s70
	s_mul_hi_u32 s1, s45, s72
	s_add_i32 s0, s1, s0
	s_mul_i32 s69, s69, s72
	s_add_i32 s0, s0, s69
	s_mul_i32 s45, s45, s72
	s_mul_hi_u32 s69, s70, s45
	s_mul_i32 s71, s70, s45
	s_mul_i32 s74, s72, s0
	s_mul_hi_u32 s45, s72, s45
	s_mul_hi_u32 s73, s72, s0
	s_add_u32 s45, s45, s74
	s_addc_u32 s73, 0, s73
	s_add_u32 s45, s45, s71
	s_mul_hi_u32 s1, s70, s0
	s_addc_u32 s45, s73, s69
	s_addc_u32 s1, s1, 0
	s_mul_i32 s0, s70, s0
	s_add_u32 s0, s45, s0
	s_addc_u32 s45, 0, s1
	s_add_u32 s69, s72, s0
	s_cselect_b64 s[0:1], -1, 0
	v_ashrrev_i32_e32 v3, 31, v15
	s_cmp_lg_u64 s[0:1], 0
	v_add_co_u32_e32 v5, vcc, v14, v3
	s_addc_u32 s45, s70, s45
	v_xor_b32_e32 v5, v5, v3
	v_addc_co_u32_e32 v7, vcc, v15, v3, vcc
	v_mad_u64_u32 v[15:16], s[0:1], v5, s45, 0
	v_mul_hi_u32 v9, v5, s69
	v_xor_b32_e32 v7, v7, v3
	v_mad_u64_u32 v[20:21], s[0:1], v7, s45, 0
	v_add_co_u32_e32 v9, vcc, v9, v15
	v_addc_co_u32_e32 v11, vcc, 0, v16, vcc
	v_mad_u64_u32 v[15:16], s[0:1], v7, s69, 0
	v_xor_b32_e32 v3, s44, v3
	v_add_co_u32_e32 v9, vcc, v9, v15
	v_addc_co_u32_e32 v9, vcc, v11, v16, vcc
	v_addc_co_u32_e32 v11, vcc, 0, v21, vcc
	v_add_co_u32_e32 v9, vcc, v9, v20
	v_addc_co_u32_e32 v11, vcc, 0, v11, vcc
	v_mul_lo_u32 v13, s47, v9
	v_mul_lo_u32 v17, s46, v11
	v_mad_u64_u32 v[15:16], s[0:1], s46, v9, 0
	v_add3_u32 v13, v16, v17, v13
	v_sub_u32_e32 v16, v7, v13
	v_mov_b32_e32 v17, s47
	v_sub_co_u32_e32 v5, vcc, v5, v15
	v_subb_co_u32_e64 v15, s[0:1], v16, v17, vcc
	v_subrev_co_u32_e64 v16, s[0:1], s46, v5
	v_subbrev_co_u32_e64 v15, s[0:1], 0, v15, s[0:1]
	v_cmp_le_u32_e64 s[0:1], s47, v15
	v_cndmask_b32_e64 v17, 0, -1, s[0:1]
	v_cmp_le_u32_e64 s[0:1], s46, v16
	v_cndmask_b32_e64 v16, 0, -1, s[0:1]
	v_cmp_eq_u32_e64 s[0:1], s47, v15
	v_cndmask_b32_e64 v15, v17, v16, s[0:1]
	v_add_co_u32_e64 v16, s[0:1], 2, v9
	v_subb_co_u32_e32 v7, vcc, v7, v13, vcc
	v_addc_co_u32_e64 v17, s[0:1], 0, v11, s[0:1]
	v_cmp_le_u32_e32 vcc, s47, v7
	v_add_co_u32_e64 v20, s[0:1], 1, v9
	v_cndmask_b32_e64 v13, 0, -1, vcc
	v_cmp_le_u32_e32 vcc, s46, v5
	v_addc_co_u32_e64 v21, s[0:1], 0, v11, s[0:1]
	v_cndmask_b32_e64 v5, 0, -1, vcc
	v_cmp_eq_u32_e32 vcc, s47, v7
	v_cmp_ne_u32_e64 s[0:1], 0, v15
	v_cndmask_b32_e32 v5, v13, v5, vcc
	v_cmp_ne_u32_e32 vcc, 0, v5
	v_cndmask_b32_e64 v7, v20, v16, s[0:1]
	v_cndmask_b32_e64 v15, v21, v17, s[0:1]
	v_cndmask_b32_e32 v7, v9, v7, vcc
	v_cndmask_b32_e32 v5, v11, v15, vcc
	v_xor_b32_e32 v7, v7, v3
	v_xor_b32_e32 v5, v5, v3
	v_sub_co_u32_e32 v16, vcc, v7, v3
	v_subb_co_u32_e32 v17, vcc, v5, v3, vcc
.LBB57_35:                              ;   in Loop: Header=BB57_21 Depth=2
	s_andn2_saveexec_b64 s[0:1], s[42:43]
	s_cbranch_execz .LBB57_37
; %bb.36:                               ;   in Loop: Header=BB57_21 Depth=2
	v_cvt_f32_u32_e32 v3, s67
	s_sub_i32 s42, 0, s67
	v_mov_b32_e32 v17, v2
	v_rcp_iflag_f32_e32 v3, v3
	v_mul_f32_e32 v3, 0x4f7ffffe, v3
	v_cvt_u32_f32_e32 v3, v3
	v_mul_lo_u32 v5, s42, v3
	v_mul_hi_u32 v5, v3, v5
	v_add_u32_e32 v3, v3, v5
	v_mul_hi_u32 v3, v14, v3
	v_mul_lo_u32 v5, v3, s67
	v_add_u32_e32 v7, 1, v3
	v_sub_u32_e32 v5, v14, v5
	v_subrev_u32_e32 v9, s67, v5
	v_cmp_le_u32_e32 vcc, s67, v5
	v_cndmask_b32_e32 v5, v5, v9, vcc
	v_cndmask_b32_e32 v3, v3, v7, vcc
	v_add_u32_e32 v7, 1, v3
	v_cmp_le_u32_e32 vcc, s67, v5
	v_cndmask_b32_e32 v16, v3, v7, vcc
.LBB57_37:                              ;   in Loop: Header=BB57_21 Depth=2
	s_or_b64 exec, exec, s[0:1]
	v_mul_lo_u32 v3, v10, s59
	v_mul_lo_u32 v5, v12, s62
	v_mul_lo_u32 v9, v14, s64
	s_add_u32 s0, s4, s38
	v_sub_u32_e32 v3, v8, v3
	v_sub_u32_e32 v5, v10, v5
	v_mul_lo_u32 v7, s61, v3
	v_mul_lo_u32 v8, s65, v5
	s_addc_u32 s1, s5, s39
	s_load_dword s40, s[40:41], 0x6c
	v_mul_lo_u32 v3, s60, v3
	v_add3_u32 v6, v7, v6, v8
	v_sub_u32_e32 v7, v12, v9
	v_mul_lo_u32 v9, v16, s67
	s_load_dword s0, s[0:1], 0x6c
	v_mul_lo_u32 v5, s63, v5
	v_mul_lo_u32 v8, s68, v7
	v_sub_u32_e32 v9, v14, v9
	s_waitcnt lgkmcnt(0)
	v_mul_lo_u32 v10, s40, v9
	v_add3_u32 v3, v3, v4, v5
	v_mul_lo_u32 v4, s66, v7
	v_mul_lo_u32 v5, s0, v9
	s_add_i32 s20, s20, -4
	v_add3_u32 v6, v8, v6, v10
	s_cmp_eq_u32 s20, -1
	v_add3_u32 v4, v4, v3, v5
	s_cbranch_scc1 .LBB57_39
; %bb.38:                               ;   in Loop: Header=BB57_21 Depth=2
	v_mov_b32_e32 v8, v16
	v_mov_b32_e32 v9, v17
	s_branch .LBB57_21
.LBB57_39:                              ;   in Loop: Header=BB57_3 Depth=1
	v_sub_u32_e32 v5, v18, v19
	v_add_u32_e32 v7, 4, v5
	v_ashrrev_i32_e32 v8, 31, v7
	v_cmp_le_i64_e32 vcc, s[8:9], v[7:8]
	v_mov_b32_e32 v3, 0
	s_and_saveexec_b64 s[38:39], vcc
	s_cbranch_execz .LBB57_49
; %bb.40:                               ;   in Loop: Header=BB57_3 Depth=1
	v_cmp_gt_i32_e32 vcc, s7, v18
	v_mov_b32_e32 v3, 0
	v_mov_b32_e32 v9, 0
	;; [unrolled: 1-line block ×4, first 2 shown]
	s_and_saveexec_b64 s[0:1], vcc
	s_cbranch_execz .LBB57_48
; %bb.41:                               ;   in Loop: Header=BB57_3 Depth=1
	v_ashrrev_i32_e32 v3, 31, v6
	v_mov_b32_e32 v8, s3
	v_add_co_u32_e32 v7, vcc, s2, v6
	v_addc_co_u32_e32 v8, vcc, v8, v3, vcc
	global_load_ubyte v3, v[7:8], off
	v_add_u32_e32 v10, 1, v18
	v_mov_b32_e32 v9, 0
	v_cmp_gt_i32_e32 vcc, s7, v10
	v_mov_b32_e32 v10, 0
	v_mov_b32_e32 v11, 0
	s_and_saveexec_b64 s[40:41], vcc
	s_xor_b64 s[40:41], exec, s[40:41]
	s_cbranch_execz .LBB57_47
; %bb.42:                               ;   in Loop: Header=BB57_3 Depth=1
	v_mov_b32_e32 v9, s55
	v_add_co_u32_e32 v7, vcc, s56, v7
	v_addc_co_u32_e32 v8, vcc, v8, v9, vcc
	global_load_ubyte v9, v[7:8], off
	v_add_u32_e32 v7, 2, v18
	v_mov_b32_e32 v10, 0
	v_cmp_gt_i32_e32 vcc, s7, v7
	v_mov_b32_e32 v11, 0
	s_and_saveexec_b64 s[42:43], vcc
	s_xor_b64 s[42:43], exec, s[42:43]
	s_cbranch_execz .LBB57_46
; %bb.43:                               ;   in Loop: Header=BB57_3 Depth=1
	v_add_u32_e32 v6, s15, v6
	v_ashrrev_i32_e32 v8, 31, v6
	v_mov_b32_e32 v10, s3
	v_add_co_u32_e32 v7, vcc, s2, v6
	v_addc_co_u32_e32 v8, vcc, v10, v8, vcc
	global_load_ubyte v10, v[7:8], off
	v_add_u32_e32 v7, 3, v18
	v_mov_b32_e32 v11, 0
	v_cmp_gt_i32_e32 vcc, s7, v7
	s_and_saveexec_b64 s[44:45], vcc
	s_xor_b64 s[44:45], exec, s[44:45]
	s_cbranch_execz .LBB57_45
; %bb.44:                               ;   in Loop: Header=BB57_3 Depth=1
	v_add_u32_e32 v6, s56, v6
	v_ashrrev_i32_e32 v7, 31, v6
	v_mov_b32_e32 v8, s3
	v_add_co_u32_e32 v6, vcc, s2, v6
	v_addc_co_u32_e32 v7, vcc, v8, v7, vcc
	global_load_ubyte v11, v[6:7], off
.LBB57_45:                              ;   in Loop: Header=BB57_3 Depth=1
	s_or_b64 exec, exec, s[44:45]
.LBB57_46:                              ;   in Loop: Header=BB57_3 Depth=1
	s_or_b64 exec, exec, s[42:43]
.LBB57_47:                              ;   in Loop: Header=BB57_3 Depth=1
	s_or_b64 exec, exec, s[40:41]
.LBB57_48:                              ;   in Loop: Header=BB57_3 Depth=1
	s_or_b64 exec, exec, s[0:1]
	v_add_u32_e32 v7, 1, v5
	v_ashrrev_i32_e32 v8, 31, v7
	v_add_u32_e32 v12, 3, v5
	v_ashrrev_i32_e32 v6, 31, v5
	v_cmp_le_i64_e32 vcc, s[24:25], v[7:8]
	v_ashrrev_i32_e32 v13, 31, v12
	v_cmp_le_i64_e64 s[0:1], s[22:23], v[5:6]
	v_add_u32_e32 v14, 2, v5
	s_waitcnt vmcnt(0)
	v_cndmask_b32_sdwa v5, v2, v9, vcc dst_sel:BYTE_1 dst_unused:UNUSED_PAD src0_sel:DWORD src1_sel:DWORD
	v_cmp_le_i64_e32 vcc, s[28:29], v[12:13]
	v_ashrrev_i32_e32 v15, 31, v14
	v_cndmask_b32_e64 v3, 0, v3, s[0:1]
	v_or_b32_sdwa v3, v3, v5 dst_sel:DWORD dst_unused:UNUSED_PAD src0_sel:BYTE_0 src1_sel:DWORD
	v_cndmask_b32_sdwa v5, v2, v11, vcc dst_sel:BYTE_1 dst_unused:UNUSED_PAD src0_sel:DWORD src1_sel:DWORD
	v_cmp_le_i64_e32 vcc, s[26:27], v[14:15]
	v_cndmask_b32_e32 v6, 0, v10, vcc
	v_or_b32_sdwa v5, v6, v5 dst_sel:WORD_1 dst_unused:UNUSED_PAD src0_sel:BYTE_0 src1_sel:DWORD
	v_or_b32_sdwa v3, v3, v5 dst_sel:DWORD dst_unused:UNUSED_PAD src0_sel:WORD_0 src1_sel:DWORD
.LBB57_49:                              ;   in Loop: Header=BB57_3 Depth=1
	s_or_b64 exec, exec, s[38:39]
	v_cmp_gt_i32_e32 vcc, s7, v18
	s_and_saveexec_b64 s[0:1], vcc
	s_cbranch_execz .LBB57_2
; %bb.50:                               ;   in Loop: Header=BB57_3 Depth=1
	v_ashrrev_i32_e32 v6, 31, v4
	v_mov_b32_e32 v7, s19
	v_add_co_u32_e32 v5, vcc, s18, v4
	v_addc_co_u32_e32 v6, vcc, v7, v6, vcc
	v_add_u32_e32 v7, 1, v18
	v_cmp_gt_i32_e32 vcc, s7, v7
	global_store_byte v[5:6], v3, off
	s_and_saveexec_b64 s[38:39], vcc
	s_xor_b64 s[38:39], exec, s[38:39]
	s_cbranch_execz .LBB57_2
; %bb.51:                               ;   in Loop: Header=BB57_3 Depth=1
	v_mov_b32_e32 v8, s57
	v_add_co_u32_e32 v5, vcc, s58, v5
	v_lshrrev_b32_e32 v7, 8, v3
	v_addc_co_u32_e32 v6, vcc, v6, v8, vcc
	global_store_byte v[5:6], v7, off
	v_add_u32_e32 v5, 2, v18
	v_cmp_gt_i32_e32 vcc, s7, v5
	s_and_saveexec_b64 s[38:39], vcc
	s_xor_b64 s[38:39], exec, s[38:39]
	s_cbranch_execz .LBB57_2
; %bb.52:                               ;   in Loop: Header=BB57_3 Depth=1
	v_add_u32_e32 v4, s17, v4
	v_ashrrev_i32_e32 v6, 31, v4
	v_mov_b32_e32 v7, s19
	v_add_co_u32_e32 v5, vcc, s18, v4
	v_addc_co_u32_e32 v6, vcc, v7, v6, vcc
	global_store_byte_d16_hi v[5:6], v3, off
	v_add_u32_e32 v5, 3, v18
	v_cmp_gt_i32_e32 vcc, s7, v5
	s_and_saveexec_b64 s[38:39], vcc
	s_xor_b64 s[38:39], exec, s[38:39]
	s_cbranch_execz .LBB57_2
; %bb.53:                               ;   in Loop: Header=BB57_3 Depth=1
	v_lshrrev_b32_e32 v5, 24, v3
	v_add_u32_e32 v3, s58, v4
	v_ashrrev_i32_e32 v4, 31, v3
	v_mov_b32_e32 v6, s19
	v_add_co_u32_e32 v3, vcc, s18, v3
	v_addc_co_u32_e32 v4, vcc, v6, v4, vcc
	global_store_byte v[3:4], v5, off
	s_branch .LBB57_2
.LBB57_54:
	s_endpgm
	.section	.rodata,"a",@progbits
	.p2align	6, 0x0
	.amdhsa_kernel _ZN2at6native16triu_tril_kernelIaiLb1ELi4ELb0EEEvNS_4cuda6detail10TensorInfoIT_T0_EENS4_IKS5_S6_EEllS6_
		.amdhsa_group_segment_fixed_size 0
		.amdhsa_private_segment_fixed_size 0
		.amdhsa_kernarg_size 712
		.amdhsa_user_sgpr_count 6
		.amdhsa_user_sgpr_private_segment_buffer 1
		.amdhsa_user_sgpr_dispatch_ptr 0
		.amdhsa_user_sgpr_queue_ptr 0
		.amdhsa_user_sgpr_kernarg_segment_ptr 1
		.amdhsa_user_sgpr_dispatch_id 0
		.amdhsa_user_sgpr_flat_scratch_init 0
		.amdhsa_user_sgpr_private_segment_size 0
		.amdhsa_uses_dynamic_stack 0
		.amdhsa_system_sgpr_private_segment_wavefront_offset 0
		.amdhsa_system_sgpr_workgroup_id_x 1
		.amdhsa_system_sgpr_workgroup_id_y 0
		.amdhsa_system_sgpr_workgroup_id_z 0
		.amdhsa_system_sgpr_workgroup_info 0
		.amdhsa_system_vgpr_workitem_id 0
		.amdhsa_next_free_vgpr 22
		.amdhsa_next_free_sgpr 76
		.amdhsa_reserve_vcc 1
		.amdhsa_reserve_flat_scratch 0
		.amdhsa_float_round_mode_32 0
		.amdhsa_float_round_mode_16_64 0
		.amdhsa_float_denorm_mode_32 3
		.amdhsa_float_denorm_mode_16_64 3
		.amdhsa_dx10_clamp 1
		.amdhsa_ieee_mode 1
		.amdhsa_fp16_overflow 0
		.amdhsa_exception_fp_ieee_invalid_op 0
		.amdhsa_exception_fp_denorm_src 0
		.amdhsa_exception_fp_ieee_div_zero 0
		.amdhsa_exception_fp_ieee_overflow 0
		.amdhsa_exception_fp_ieee_underflow 0
		.amdhsa_exception_fp_ieee_inexact 0
		.amdhsa_exception_int_div_zero 0
	.end_amdhsa_kernel
	.section	.text._ZN2at6native16triu_tril_kernelIaiLb1ELi4ELb0EEEvNS_4cuda6detail10TensorInfoIT_T0_EENS4_IKS5_S6_EEllS6_,"axG",@progbits,_ZN2at6native16triu_tril_kernelIaiLb1ELi4ELb0EEEvNS_4cuda6detail10TensorInfoIT_T0_EENS4_IKS5_S6_EEllS6_,comdat
.Lfunc_end57:
	.size	_ZN2at6native16triu_tril_kernelIaiLb1ELi4ELb0EEEvNS_4cuda6detail10TensorInfoIT_T0_EENS4_IKS5_S6_EEllS6_, .Lfunc_end57-_ZN2at6native16triu_tril_kernelIaiLb1ELi4ELb0EEEvNS_4cuda6detail10TensorInfoIT_T0_EENS4_IKS5_S6_EEllS6_
                                        ; -- End function
	.set _ZN2at6native16triu_tril_kernelIaiLb1ELi4ELb0EEEvNS_4cuda6detail10TensorInfoIT_T0_EENS4_IKS5_S6_EEllS6_.num_vgpr, 22
	.set _ZN2at6native16triu_tril_kernelIaiLb1ELi4ELb0EEEvNS_4cuda6detail10TensorInfoIT_T0_EENS4_IKS5_S6_EEllS6_.num_agpr, 0
	.set _ZN2at6native16triu_tril_kernelIaiLb1ELi4ELb0EEEvNS_4cuda6detail10TensorInfoIT_T0_EENS4_IKS5_S6_EEllS6_.numbered_sgpr, 76
	.set _ZN2at6native16triu_tril_kernelIaiLb1ELi4ELb0EEEvNS_4cuda6detail10TensorInfoIT_T0_EENS4_IKS5_S6_EEllS6_.num_named_barrier, 0
	.set _ZN2at6native16triu_tril_kernelIaiLb1ELi4ELb0EEEvNS_4cuda6detail10TensorInfoIT_T0_EENS4_IKS5_S6_EEllS6_.private_seg_size, 0
	.set _ZN2at6native16triu_tril_kernelIaiLb1ELi4ELb0EEEvNS_4cuda6detail10TensorInfoIT_T0_EENS4_IKS5_S6_EEllS6_.uses_vcc, 1
	.set _ZN2at6native16triu_tril_kernelIaiLb1ELi4ELb0EEEvNS_4cuda6detail10TensorInfoIT_T0_EENS4_IKS5_S6_EEllS6_.uses_flat_scratch, 0
	.set _ZN2at6native16triu_tril_kernelIaiLb1ELi4ELb0EEEvNS_4cuda6detail10TensorInfoIT_T0_EENS4_IKS5_S6_EEllS6_.has_dyn_sized_stack, 0
	.set _ZN2at6native16triu_tril_kernelIaiLb1ELi4ELb0EEEvNS_4cuda6detail10TensorInfoIT_T0_EENS4_IKS5_S6_EEllS6_.has_recursion, 0
	.set _ZN2at6native16triu_tril_kernelIaiLb1ELi4ELb0EEEvNS_4cuda6detail10TensorInfoIT_T0_EENS4_IKS5_S6_EEllS6_.has_indirect_call, 0
	.section	.AMDGPU.csdata,"",@progbits
; Kernel info:
; codeLenInByte = 6668
; TotalNumSgprs: 80
; NumVgprs: 22
; ScratchSize: 0
; MemoryBound: 0
; FloatMode: 240
; IeeeMode: 1
; LDSByteSize: 0 bytes/workgroup (compile time only)
; SGPRBlocks: 9
; VGPRBlocks: 5
; NumSGPRsForWavesPerEU: 80
; NumVGPRsForWavesPerEU: 22
; Occupancy: 10
; WaveLimiterHint : 1
; COMPUTE_PGM_RSRC2:SCRATCH_EN: 0
; COMPUTE_PGM_RSRC2:USER_SGPR: 6
; COMPUTE_PGM_RSRC2:TRAP_HANDLER: 0
; COMPUTE_PGM_RSRC2:TGID_X_EN: 1
; COMPUTE_PGM_RSRC2:TGID_Y_EN: 0
; COMPUTE_PGM_RSRC2:TGID_Z_EN: 0
; COMPUTE_PGM_RSRC2:TIDIG_COMP_CNT: 0
	.section	.text._ZN2at6native16triu_tril_kernelIalLb1ELi4ELb1EEEvNS_4cuda6detail10TensorInfoIT_T0_EENS4_IKS5_S6_EEllS6_,"axG",@progbits,_ZN2at6native16triu_tril_kernelIalLb1ELi4ELb1EEEvNS_4cuda6detail10TensorInfoIT_T0_EENS4_IKS5_S6_EEllS6_,comdat
	.protected	_ZN2at6native16triu_tril_kernelIalLb1ELi4ELb1EEEvNS_4cuda6detail10TensorInfoIT_T0_EENS4_IKS5_S6_EEllS6_ ; -- Begin function _ZN2at6native16triu_tril_kernelIalLb1ELi4ELb1EEEvNS_4cuda6detail10TensorInfoIT_T0_EENS4_IKS5_S6_EEllS6_
	.globl	_ZN2at6native16triu_tril_kernelIalLb1ELi4ELb1EEEvNS_4cuda6detail10TensorInfoIT_T0_EENS4_IKS5_S6_EEllS6_
	.p2align	8
	.type	_ZN2at6native16triu_tril_kernelIalLb1ELi4ELb1EEEvNS_4cuda6detail10TensorInfoIT_T0_EENS4_IKS5_S6_EEllS6_,@function
_ZN2at6native16triu_tril_kernelIalLb1ELi4ELb1EEEvNS_4cuda6detail10TensorInfoIT_T0_EENS4_IKS5_S6_EEllS6_: ; @_ZN2at6native16triu_tril_kernelIalLb1ELi4ELb1EEEvNS_4cuda6detail10TensorInfoIT_T0_EENS4_IKS5_S6_EEllS6_
; %bb.0:
	s_load_dword s2, s[4:5], 0x364
	s_load_dwordx4 s[8:11], s[4:5], 0x340
	s_add_u32 s0, s4, 0x358
	v_mov_b32_e32 v2, 0
	s_addc_u32 s1, s5, 0
	s_waitcnt lgkmcnt(0)
	s_and_b32 s2, s2, 0xffff
	v_mov_b32_e32 v1, v2
	v_mov_b32_e32 v3, s6
	v_mad_u64_u32 v[0:1], s[6:7], s2, v3, v[0:1]
	v_lshlrev_b64 v[0:1], 2, v[0:1]
	v_cmp_gt_i64_e32 vcc, s[10:11], v[0:1]
	s_and_saveexec_b64 s[6:7], vcc
	s_cbranch_execz .LBB58_47
; %bb.1:
	s_load_dword s1, s[0:1], 0x0
	s_add_u32 s34, s4, 0x1a0
	s_load_dword s0, s[4:5], 0x338
	s_addc_u32 s35, s5, 0
	s_load_dwordx2 s[6:7], s[4:5], 0x350
	s_load_dwordx2 s[12:13], s[4:5], 0x0
	s_waitcnt lgkmcnt(0)
	s_mul_i32 s24, s1, s2
	s_mov_b32 s25, 0
	s_add_i32 s2, s0, -2
	s_ashr_i32 s3, s2, 31
	s_ashr_i32 s1, s0, 31
	s_lshl_b64 s[16:17], s[2:3], 3
	s_add_u32 s16, s34, s16
	s_addc_u32 s17, s35, s17
	s_lshl_b64 s[22:23], s[0:1], 3
	s_add_u32 s18, s4, s22
	s_addc_u32 s19, s5, s23
	s_add_i32 s20, s0, -3
	s_ashr_i32 s21, s20, 31
	s_add_u32 s22, s34, s22
	v_cmp_gt_i64_e64 s[14:15], s[0:1], 2
	s_addc_u32 s23, s35, s23
	s_lshl_b32 s33, s24, 2
	s_and_b32 s24, s2, 3
	s_and_b32 s0, s20, 3
	s_cmp_lg_u32 s0, 3
	s_cselect_b64 s[26:27], -1, 0
	s_cmp_gt_u32 s20, 2
	s_cselect_b64 s[28:29], -1, 0
	s_lshl_b64 s[0:1], s[20:21], 3
	s_add_u32 s2, s4, s0
	s_addc_u32 s3, s5, s1
	s_add_u32 s30, s2, 0xd0
	s_addc_u32 s31, s3, 0
	;; [unrolled: 2-line block ×3, first 2 shown]
	s_add_u32 s34, s0, 8
	s_load_dwordx2 s[16:17], s[16:17], 0x8
	s_addc_u32 s35, s1, 0
	s_add_u32 s64, s4, 0xb8
	s_addc_u32 s65, s5, 0
	s_add_u32 s66, s4, 0x190
	s_addc_u32 s67, s5, 0
	s_mov_b64 s[4:5], 0
	s_branch .LBB58_3
.LBB58_2:                               ;   in Loop: Header=BB58_3 Depth=1
	s_or_b64 exec, exec, s[36:37]
	v_add_co_u32_e32 v0, vcc, s33, v0
	v_addc_co_u32_e32 v1, vcc, 0, v1, vcc
	v_cmp_le_i64_e32 vcc, s[10:11], v[0:1]
	s_or_b64 s[4:5], vcc, s[4:5]
	s_andn2_b64 exec, exec, s[4:5]
	s_cbranch_execz .LBB58_47
.LBB58_3:                               ; =>This Loop Header: Depth=1
                                        ;     Child Loop BB58_17 Depth 2
                                        ;     Child Loop BB58_22 Depth 2
	v_or_b32_e32 v3, s7, v1
	v_cmp_ne_u64_e32 vcc, 0, v[2:3]
                                        ; implicit-def: $vgpr6_vgpr7
	s_and_saveexec_b64 s[0:1], vcc
	s_xor_b64 s[2:3], exec, s[0:1]
	s_cbranch_execz .LBB58_5
; %bb.4:                                ;   in Loop: Header=BB58_3 Depth=1
	s_ashr_i32 s36, s7, 31
	s_add_u32 s0, s6, s36
	s_mov_b32 s37, s36
	s_addc_u32 s1, s7, s36
	s_xor_b64 s[38:39], s[0:1], s[36:37]
	v_cvt_f32_u32_e32 v3, s38
	v_cvt_f32_u32_e32 v4, s39
	s_sub_u32 s37, 0, s38
	s_subb_u32 s40, 0, s39
	v_ashrrev_i32_e32 v7, 31, v1
	v_mac_f32_e32 v3, 0x4f800000, v4
	v_rcp_f32_e32 v3, v3
	v_mul_f32_e32 v3, 0x5f7ffffc, v3
	v_mul_f32_e32 v4, 0x2f800000, v3
	v_trunc_f32_e32 v4, v4
	v_mac_f32_e32 v3, 0xcf800000, v4
	v_cvt_u32_f32_e32 v4, v4
	v_cvt_u32_f32_e32 v3, v3
	v_readfirstlane_b32 s41, v4
	v_readfirstlane_b32 s0, v3
	s_mul_i32 s1, s37, s41
	s_mul_hi_u32 s43, s37, s0
	s_mul_i32 s42, s40, s0
	s_add_i32 s1, s43, s1
	s_add_i32 s1, s1, s42
	s_mul_i32 s44, s37, s0
	s_mul_i32 s43, s0, s1
	s_mul_hi_u32 s45, s0, s44
	s_mul_hi_u32 s42, s0, s1
	s_add_u32 s43, s45, s43
	s_addc_u32 s42, 0, s42
	s_mul_hi_u32 s46, s41, s44
	s_mul_i32 s44, s41, s44
	s_add_u32 s43, s43, s44
	s_mul_hi_u32 s45, s41, s1
	s_addc_u32 s42, s42, s46
	s_addc_u32 s43, s45, 0
	s_mul_i32 s1, s41, s1
	s_add_u32 s1, s42, s1
	s_addc_u32 s42, 0, s43
	s_add_u32 s43, s0, s1
	s_cselect_b64 s[0:1], -1, 0
	s_cmp_lg_u64 s[0:1], 0
	s_addc_u32 s41, s41, s42
	s_mul_i32 s0, s37, s41
	s_mul_hi_u32 s1, s37, s43
	s_add_i32 s0, s1, s0
	s_mul_i32 s40, s40, s43
	s_add_i32 s0, s0, s40
	s_mul_i32 s37, s37, s43
	s_mul_hi_u32 s40, s41, s37
	s_mul_i32 s42, s41, s37
	s_mul_i32 s45, s43, s0
	s_mul_hi_u32 s37, s43, s37
	s_mul_hi_u32 s44, s43, s0
	s_add_u32 s37, s37, s45
	s_addc_u32 s44, 0, s44
	s_add_u32 s37, s37, s42
	s_mul_hi_u32 s1, s41, s0
	s_addc_u32 s37, s44, s40
	s_addc_u32 s1, s1, 0
	s_mul_i32 s0, s41, s0
	s_add_u32 s0, s37, s0
	s_addc_u32 s37, 0, s1
	s_add_u32 s40, s43, s0
	s_cselect_b64 s[0:1], -1, 0
	s_cmp_lg_u64 s[0:1], 0
	v_add_co_u32_e32 v3, vcc, v0, v7
	s_addc_u32 s37, s41, s37
	v_xor_b32_e32 v8, v3, v7
	v_mad_u64_u32 v[3:4], s[0:1], v8, s37, 0
	v_mul_hi_u32 v6, v8, s40
	v_addc_co_u32_e32 v5, vcc, v1, v7, vcc
	v_xor_b32_e32 v9, v5, v7
	v_add_co_u32_e32 v10, vcc, v6, v3
	v_addc_co_u32_e32 v11, vcc, 0, v4, vcc
	v_mad_u64_u32 v[3:4], s[0:1], v9, s40, 0
	v_mad_u64_u32 v[5:6], s[0:1], v9, s37, 0
	v_add_co_u32_e32 v3, vcc, v10, v3
	v_addc_co_u32_e32 v3, vcc, v11, v4, vcc
	v_addc_co_u32_e32 v4, vcc, 0, v6, vcc
	v_add_co_u32_e32 v5, vcc, v3, v5
	v_addc_co_u32_e32 v6, vcc, 0, v4, vcc
	v_mul_lo_u32 v10, s39, v5
	v_mul_lo_u32 v11, s38, v6
	v_mad_u64_u32 v[3:4], s[0:1], s38, v5, 0
	v_add3_u32 v4, v4, v11, v10
	v_sub_u32_e32 v10, v9, v4
	v_mov_b32_e32 v11, s39
	v_sub_co_u32_e32 v3, vcc, v8, v3
	v_subb_co_u32_e64 v8, s[0:1], v10, v11, vcc
	v_subrev_co_u32_e64 v10, s[0:1], s38, v3
	v_subbrev_co_u32_e64 v8, s[0:1], 0, v8, s[0:1]
	v_cmp_le_u32_e64 s[0:1], s39, v8
	v_cndmask_b32_e64 v11, 0, -1, s[0:1]
	v_cmp_le_u32_e64 s[0:1], s38, v10
	v_cndmask_b32_e64 v10, 0, -1, s[0:1]
	v_cmp_eq_u32_e64 s[0:1], s39, v8
	v_cndmask_b32_e64 v8, v11, v10, s[0:1]
	v_add_co_u32_e64 v10, s[0:1], 2, v5
	v_subb_co_u32_e32 v4, vcc, v9, v4, vcc
	v_addc_co_u32_e64 v11, s[0:1], 0, v6, s[0:1]
	v_cmp_le_u32_e32 vcc, s39, v4
	v_add_co_u32_e64 v12, s[0:1], 1, v5
	v_cndmask_b32_e64 v9, 0, -1, vcc
	v_cmp_le_u32_e32 vcc, s38, v3
	v_addc_co_u32_e64 v13, s[0:1], 0, v6, s[0:1]
	v_cndmask_b32_e64 v3, 0, -1, vcc
	v_cmp_eq_u32_e32 vcc, s39, v4
	v_cmp_ne_u32_e64 s[0:1], 0, v8
	v_cndmask_b32_e32 v3, v9, v3, vcc
	v_cmp_ne_u32_e32 vcc, 0, v3
	v_cndmask_b32_e64 v4, v12, v10, s[0:1]
	v_cndmask_b32_e64 v8, v13, v11, s[0:1]
	v_cndmask_b32_e32 v4, v5, v4, vcc
	v_xor_b32_e32 v5, s36, v7
	v_cndmask_b32_e32 v3, v6, v8, vcc
	v_xor_b32_e32 v4, v4, v5
	v_xor_b32_e32 v3, v3, v5
	v_sub_co_u32_e32 v6, vcc, v4, v5
	v_subb_co_u32_e32 v7, vcc, v3, v5, vcc
.LBB58_5:                               ;   in Loop: Header=BB58_3 Depth=1
	s_andn2_saveexec_b64 s[0:1], s[2:3]
	s_cbranch_execz .LBB58_7
; %bb.6:                                ;   in Loop: Header=BB58_3 Depth=1
	v_cvt_f32_u32_e32 v3, s6
	s_sub_i32 s2, 0, s6
	v_mov_b32_e32 v7, v2
	v_rcp_iflag_f32_e32 v3, v3
	v_mul_f32_e32 v3, 0x4f7ffffe, v3
	v_cvt_u32_f32_e32 v3, v3
	v_mul_lo_u32 v4, s2, v3
	v_mul_hi_u32 v4, v3, v4
	v_add_u32_e32 v3, v3, v4
	v_mul_hi_u32 v3, v0, v3
	v_mul_lo_u32 v4, v3, s6
	v_add_u32_e32 v5, 1, v3
	v_sub_u32_e32 v4, v0, v4
	v_subrev_u32_e32 v6, s6, v4
	v_cmp_le_u32_e32 vcc, s6, v4
	v_cndmask_b32_e32 v4, v4, v6, vcc
	v_cndmask_b32_e32 v3, v3, v5, vcc
	v_add_u32_e32 v5, 1, v3
	v_cmp_le_u32_e32 vcc, s6, v4
	v_cndmask_b32_e32 v6, v3, v5, vcc
.LBB58_7:                               ;   in Loop: Header=BB58_3 Depth=1
	s_or_b64 exec, exec, s[0:1]
	s_waitcnt lgkmcnt(0)
	v_or_b32_e32 v3, s17, v7
	v_cmp_ne_u64_e32 vcc, 0, v[2:3]
                                        ; implicit-def: $vgpr8_vgpr9
	s_and_saveexec_b64 s[0:1], vcc
	s_xor_b64 s[2:3], exec, s[0:1]
	s_cbranch_execz .LBB58_9
; %bb.8:                                ;   in Loop: Header=BB58_3 Depth=1
	s_ashr_i32 s36, s17, 31
	s_add_u32 s0, s16, s36
	s_mov_b32 s37, s36
	s_addc_u32 s1, s17, s36
	s_xor_b64 s[38:39], s[0:1], s[36:37]
	v_cvt_f32_u32_e32 v3, s38
	v_cvt_f32_u32_e32 v4, s39
	s_sub_u32 s37, 0, s38
	s_subb_u32 s40, 0, s39
	v_ashrrev_i32_e32 v5, 31, v7
	v_mac_f32_e32 v3, 0x4f800000, v4
	v_rcp_f32_e32 v3, v3
	v_mul_f32_e32 v3, 0x5f7ffffc, v3
	v_mul_f32_e32 v4, 0x2f800000, v3
	v_trunc_f32_e32 v4, v4
	v_mac_f32_e32 v3, 0xcf800000, v4
	v_cvt_u32_f32_e32 v4, v4
	v_cvt_u32_f32_e32 v3, v3
	v_readfirstlane_b32 s41, v4
	v_readfirstlane_b32 s0, v3
	s_mul_i32 s1, s37, s41
	s_mul_hi_u32 s43, s37, s0
	s_mul_i32 s42, s40, s0
	s_add_i32 s1, s43, s1
	s_add_i32 s1, s1, s42
	s_mul_i32 s44, s37, s0
	s_mul_i32 s43, s0, s1
	s_mul_hi_u32 s45, s0, s44
	s_mul_hi_u32 s42, s0, s1
	s_add_u32 s43, s45, s43
	s_addc_u32 s42, 0, s42
	s_mul_hi_u32 s46, s41, s44
	s_mul_i32 s44, s41, s44
	s_add_u32 s43, s43, s44
	s_mul_hi_u32 s45, s41, s1
	s_addc_u32 s42, s42, s46
	s_addc_u32 s43, s45, 0
	s_mul_i32 s1, s41, s1
	s_add_u32 s1, s42, s1
	s_addc_u32 s42, 0, s43
	s_add_u32 s43, s0, s1
	s_cselect_b64 s[0:1], -1, 0
	s_cmp_lg_u64 s[0:1], 0
	s_addc_u32 s41, s41, s42
	s_mul_i32 s0, s37, s41
	s_mul_hi_u32 s1, s37, s43
	s_add_i32 s0, s1, s0
	s_mul_i32 s40, s40, s43
	s_add_i32 s0, s0, s40
	s_mul_i32 s37, s37, s43
	s_mul_hi_u32 s40, s41, s37
	s_mul_i32 s42, s41, s37
	s_mul_i32 s45, s43, s0
	s_mul_hi_u32 s37, s43, s37
	s_mul_hi_u32 s44, s43, s0
	s_add_u32 s37, s37, s45
	s_addc_u32 s44, 0, s44
	s_add_u32 s37, s37, s42
	s_mul_hi_u32 s1, s41, s0
	s_addc_u32 s37, s44, s40
	s_addc_u32 s1, s1, 0
	s_mul_i32 s0, s41, s0
	s_add_u32 s0, s37, s0
	s_addc_u32 s37, 0, s1
	s_add_u32 s40, s43, s0
	s_cselect_b64 s[0:1], -1, 0
	s_cmp_lg_u64 s[0:1], 0
	v_add_co_u32_e32 v3, vcc, v6, v5
	s_addc_u32 s37, s41, s37
	v_xor_b32_e32 v10, v3, v5
	v_mad_u64_u32 v[3:4], s[0:1], v10, s37, 0
	v_mul_hi_u32 v9, v10, s40
	v_addc_co_u32_e32 v8, vcc, v7, v5, vcc
	v_xor_b32_e32 v11, v8, v5
	v_add_co_u32_e32 v12, vcc, v9, v3
	v_addc_co_u32_e32 v13, vcc, 0, v4, vcc
	v_mad_u64_u32 v[3:4], s[0:1], v11, s40, 0
	v_mad_u64_u32 v[8:9], s[0:1], v11, s37, 0
	v_add_co_u32_e32 v3, vcc, v12, v3
	v_addc_co_u32_e32 v3, vcc, v13, v4, vcc
	v_addc_co_u32_e32 v4, vcc, 0, v9, vcc
	v_add_co_u32_e32 v8, vcc, v3, v8
	v_addc_co_u32_e32 v9, vcc, 0, v4, vcc
	v_mul_lo_u32 v12, s39, v8
	v_mul_lo_u32 v13, s38, v9
	v_mad_u64_u32 v[3:4], s[0:1], s38, v8, 0
	v_xor_b32_e32 v5, s36, v5
	v_add3_u32 v4, v4, v13, v12
	v_sub_u32_e32 v12, v11, v4
	v_mov_b32_e32 v13, s39
	v_sub_co_u32_e32 v3, vcc, v10, v3
	v_subb_co_u32_e64 v10, s[0:1], v12, v13, vcc
	v_subrev_co_u32_e64 v12, s[0:1], s38, v3
	v_subbrev_co_u32_e64 v10, s[0:1], 0, v10, s[0:1]
	v_cmp_le_u32_e64 s[0:1], s39, v10
	v_cndmask_b32_e64 v13, 0, -1, s[0:1]
	v_cmp_le_u32_e64 s[0:1], s38, v12
	v_cndmask_b32_e64 v12, 0, -1, s[0:1]
	v_cmp_eq_u32_e64 s[0:1], s39, v10
	v_cndmask_b32_e64 v10, v13, v12, s[0:1]
	v_add_co_u32_e64 v12, s[0:1], 2, v8
	v_subb_co_u32_e32 v4, vcc, v11, v4, vcc
	v_addc_co_u32_e64 v13, s[0:1], 0, v9, s[0:1]
	v_cmp_le_u32_e32 vcc, s39, v4
	v_add_co_u32_e64 v14, s[0:1], 1, v8
	v_cndmask_b32_e64 v11, 0, -1, vcc
	v_cmp_le_u32_e32 vcc, s38, v3
	v_addc_co_u32_e64 v15, s[0:1], 0, v9, s[0:1]
	v_cndmask_b32_e64 v3, 0, -1, vcc
	v_cmp_eq_u32_e32 vcc, s39, v4
	v_cmp_ne_u32_e64 s[0:1], 0, v10
	v_cndmask_b32_e32 v3, v11, v3, vcc
	v_cmp_ne_u32_e32 vcc, 0, v3
	v_cndmask_b32_e64 v4, v14, v12, s[0:1]
	v_cndmask_b32_e64 v10, v15, v13, s[0:1]
	v_cndmask_b32_e32 v4, v8, v4, vcc
	v_cndmask_b32_e32 v3, v9, v10, vcc
	v_xor_b32_e32 v4, v4, v5
	v_xor_b32_e32 v3, v3, v5
	v_sub_co_u32_e32 v8, vcc, v4, v5
	v_subb_co_u32_e32 v9, vcc, v3, v5, vcc
.LBB58_9:                               ;   in Loop: Header=BB58_3 Depth=1
	s_andn2_saveexec_b64 s[0:1], s[2:3]
	s_cbranch_execz .LBB58_11
; %bb.10:                               ;   in Loop: Header=BB58_3 Depth=1
	v_cvt_f32_u32_e32 v3, s16
	s_sub_i32 s2, 0, s16
	v_mov_b32_e32 v9, v2
	v_rcp_iflag_f32_e32 v3, v3
	v_mul_f32_e32 v3, 0x4f7ffffe, v3
	v_cvt_u32_f32_e32 v3, v3
	v_mul_lo_u32 v4, s2, v3
	v_mul_hi_u32 v4, v3, v4
	v_add_u32_e32 v3, v3, v4
	v_mul_hi_u32 v3, v6, v3
	v_mul_lo_u32 v4, v3, s16
	v_add_u32_e32 v5, 1, v3
	v_sub_u32_e32 v4, v6, v4
	v_subrev_u32_e32 v8, s16, v4
	v_cmp_le_u32_e32 vcc, s16, v4
	v_cndmask_b32_e32 v4, v4, v8, vcc
	v_cndmask_b32_e32 v3, v3, v5, vcc
	v_add_u32_e32 v5, 1, v3
	v_cmp_le_u32_e32 vcc, s16, v4
	v_cndmask_b32_e32 v8, v3, v5, vcc
.LBB58_11:                              ;   in Loop: Header=BB58_3 Depth=1
	s_or_b64 exec, exec, s[0:1]
	v_mul_lo_u32 v5, v7, s6
	v_mul_lo_u32 v10, v6, s7
	v_mad_u64_u32 v[3:4], s[0:1], v6, s6, 0
	v_mul_lo_u32 v12, v9, s16
	v_mul_lo_u32 v13, v8, s17
	v_add3_u32 v5, v4, v10, v5
	v_mad_u64_u32 v[10:11], s[0:1], v8, s16, 0
	v_sub_co_u32_e32 v4, vcc, v0, v3
	v_subb_co_u32_e32 v5, vcc, v1, v5, vcc
	v_add3_u32 v3, v11, v13, v12
	v_sub_co_u32_e32 v18, vcc, v6, v10
	v_subb_co_u32_e32 v19, vcc, v7, v3, vcc
	v_sub_co_u32_e32 v6, vcc, v4, v18
	v_subb_co_u32_e32 v7, vcc, v5, v19, vcc
	v_cmp_gt_i64_e32 vcc, s[8:9], v[6:7]
	s_and_saveexec_b64 s[36:37], vcc
	s_cbranch_execz .LBB58_2
; %bb.12:                               ;   in Loop: Header=BB58_3 Depth=1
	s_load_dwordx4 s[0:3], s[18:19], 0xc0
	s_andn2_b64 vcc, exec, s[14:15]
	s_waitcnt lgkmcnt(0)
	v_mul_lo_u32 v3, s3, v4
	v_mul_lo_u32 v10, s2, v5
	v_mad_u64_u32 v[6:7], s[38:39], s2, v4, 0
	v_mul_lo_u32 v11, s0, v19
	v_add3_u32 v7, v7, v10, v3
	v_mad_u64_u32 v[6:7], s[38:39], s0, v18, v[6:7]
	v_mul_lo_u32 v3, s1, v18
	v_add3_u32 v7, v3, v7, v11
	s_cbranch_vccnz .LBB58_38
; %bb.13:                               ;   in Loop: Header=BB58_3 Depth=1
	s_andn2_b64 vcc, exec, s[26:27]
	s_mov_b64 s[38:39], s[24:25]
	s_mov_b64 s[40:41], s[34:35]
	;; [unrolled: 1-line block ×4, first 2 shown]
	s_cbranch_vccz .LBB58_17
.LBB58_14:                              ;   in Loop: Header=BB58_3 Depth=1
	s_andn2_b64 vcc, exec, s[28:29]
	s_cbranch_vccnz .LBB58_38
; %bb.15:                               ;   in Loop: Header=BB58_3 Depth=1
	s_lshl_b64 s[0:1], s[42:43], 3
	s_add_u32 s38, s64, s0
	s_addc_u32 s39, s65, s1
	s_add_u32 s40, s66, s0
	s_addc_u32 s41, s67, s1
	s_add_u32 s42, s42, 1
	s_addc_u32 s43, s43, 0
	s_branch .LBB58_22
.LBB58_16:                              ;   in Loop: Header=BB58_17 Depth=2
	s_or_b64 exec, exec, s[0:1]
	v_mul_lo_u32 v3, v11, s46
	v_mul_lo_u32 v14, v10, s47
	v_mad_u64_u32 v[12:13], s[0:1], v10, s46, 0
	s_load_dwordx2 s[0:1], s[44:45], 0x0
	s_add_u32 s42, s42, -1
	v_add3_u32 v3, v13, v14, v3
	v_sub_co_u32_e32 v8, vcc, v8, v12
	s_addc_u32 s43, s43, -1
	v_subb_co_u32_e32 v3, vcc, v9, v3, vcc
	s_add_u32 s44, s44, -8
	s_waitcnt lgkmcnt(0)
	v_mul_lo_u32 v3, s0, v3
	v_mul_lo_u32 v9, s1, v8
	v_mad_u64_u32 v[6:7], s[0:1], s0, v8, v[6:7]
	s_addc_u32 s45, s45, -1
	s_add_u32 s40, s40, -8
	s_addc_u32 s41, s41, -1
	s_add_u32 s38, s38, -1
	s_addc_u32 s39, s39, -1
	v_add3_u32 v7, v9, v7, v3
	v_mov_b32_e32 v8, v10
	s_cmp_lg_u64 s[38:39], 0
	v_mov_b32_e32 v9, v11
	s_cbranch_scc0 .LBB58_14
.LBB58_17:                              ;   Parent Loop BB58_3 Depth=1
                                        ; =>  This Inner Loop Header: Depth=2
	s_load_dwordx2 s[46:47], s[40:41], 0x0
                                        ; implicit-def: $vgpr10_vgpr11
	s_waitcnt lgkmcnt(0)
	v_or_b32_e32 v3, s47, v9
	v_cmp_ne_u64_e32 vcc, 0, v[2:3]
	s_and_saveexec_b64 s[0:1], vcc
	s_xor_b64 s[48:49], exec, s[0:1]
	s_cbranch_execz .LBB58_19
; %bb.18:                               ;   in Loop: Header=BB58_17 Depth=2
	s_ashr_i32 s50, s47, 31
	s_add_u32 s0, s46, s50
	s_mov_b32 s51, s50
	s_addc_u32 s1, s47, s50
	s_xor_b64 s[52:53], s[0:1], s[50:51]
	v_cvt_f32_u32_e32 v3, s52
	v_cvt_f32_u32_e32 v10, s53
	s_sub_u32 s51, 0, s52
	s_subb_u32 s54, 0, s53
	v_mac_f32_e32 v3, 0x4f800000, v10
	v_rcp_f32_e32 v3, v3
	v_mul_f32_e32 v3, 0x5f7ffffc, v3
	v_mul_f32_e32 v10, 0x2f800000, v3
	v_trunc_f32_e32 v10, v10
	v_mac_f32_e32 v3, 0xcf800000, v10
	v_cvt_u32_f32_e32 v10, v10
	v_cvt_u32_f32_e32 v3, v3
	v_readfirstlane_b32 s55, v10
	v_readfirstlane_b32 s0, v3
	s_mul_i32 s1, s51, s55
	s_mul_hi_u32 s57, s51, s0
	s_mul_i32 s56, s54, s0
	s_add_i32 s1, s57, s1
	s_add_i32 s1, s1, s56
	s_mul_i32 s58, s51, s0
	s_mul_i32 s57, s0, s1
	s_mul_hi_u32 s59, s0, s58
	s_mul_hi_u32 s56, s0, s1
	s_add_u32 s57, s59, s57
	s_addc_u32 s56, 0, s56
	s_mul_hi_u32 s60, s55, s58
	s_mul_i32 s58, s55, s58
	s_add_u32 s57, s57, s58
	s_mul_hi_u32 s59, s55, s1
	s_addc_u32 s56, s56, s60
	s_addc_u32 s57, s59, 0
	s_mul_i32 s1, s55, s1
	s_add_u32 s1, s56, s1
	s_addc_u32 s56, 0, s57
	s_add_u32 s57, s0, s1
	s_cselect_b64 s[0:1], -1, 0
	s_cmp_lg_u64 s[0:1], 0
	s_addc_u32 s55, s55, s56
	s_mul_i32 s0, s51, s55
	s_mul_hi_u32 s1, s51, s57
	s_add_i32 s0, s1, s0
	s_mul_i32 s54, s54, s57
	s_add_i32 s0, s0, s54
	s_mul_i32 s51, s51, s57
	s_mul_hi_u32 s54, s55, s51
	s_mul_i32 s56, s55, s51
	s_mul_i32 s59, s57, s0
	s_mul_hi_u32 s51, s57, s51
	s_mul_hi_u32 s58, s57, s0
	s_add_u32 s51, s51, s59
	s_addc_u32 s58, 0, s58
	s_add_u32 s51, s51, s56
	s_mul_hi_u32 s1, s55, s0
	s_addc_u32 s51, s58, s54
	s_addc_u32 s1, s1, 0
	s_mul_i32 s0, s55, s0
	s_add_u32 s0, s51, s0
	s_addc_u32 s51, 0, s1
	s_add_u32 s54, s57, s0
	s_cselect_b64 s[0:1], -1, 0
	v_ashrrev_i32_e32 v3, 31, v9
	s_cmp_lg_u64 s[0:1], 0
	v_add_co_u32_e32 v10, vcc, v8, v3
	s_addc_u32 s51, s55, s51
	v_xor_b32_e32 v14, v10, v3
	v_mad_u64_u32 v[10:11], s[0:1], v14, s51, 0
	v_mul_hi_u32 v13, v14, s54
	v_addc_co_u32_e32 v12, vcc, v9, v3, vcc
	v_xor_b32_e32 v15, v12, v3
	v_add_co_u32_e32 v16, vcc, v13, v10
	v_addc_co_u32_e32 v17, vcc, 0, v11, vcc
	v_mad_u64_u32 v[10:11], s[0:1], v15, s54, 0
	v_mad_u64_u32 v[12:13], s[0:1], v15, s51, 0
	v_add_co_u32_e32 v10, vcc, v16, v10
	v_addc_co_u32_e32 v10, vcc, v17, v11, vcc
	v_addc_co_u32_e32 v11, vcc, 0, v13, vcc
	v_add_co_u32_e32 v12, vcc, v10, v12
	v_addc_co_u32_e32 v13, vcc, 0, v11, vcc
	v_mul_lo_u32 v16, s53, v12
	v_mul_lo_u32 v17, s52, v13
	v_mad_u64_u32 v[10:11], s[0:1], s52, v12, 0
	v_xor_b32_e32 v3, s50, v3
	v_add3_u32 v11, v11, v17, v16
	v_sub_u32_e32 v16, v15, v11
	v_mov_b32_e32 v17, s53
	v_sub_co_u32_e32 v10, vcc, v14, v10
	v_subb_co_u32_e64 v14, s[0:1], v16, v17, vcc
	v_subrev_co_u32_e64 v16, s[0:1], s52, v10
	v_subbrev_co_u32_e64 v14, s[0:1], 0, v14, s[0:1]
	v_cmp_le_u32_e64 s[0:1], s53, v14
	v_cndmask_b32_e64 v17, 0, -1, s[0:1]
	v_cmp_le_u32_e64 s[0:1], s52, v16
	v_cndmask_b32_e64 v16, 0, -1, s[0:1]
	v_cmp_eq_u32_e64 s[0:1], s53, v14
	v_cndmask_b32_e64 v14, v17, v16, s[0:1]
	v_add_co_u32_e64 v16, s[0:1], 2, v12
	v_subb_co_u32_e32 v11, vcc, v15, v11, vcc
	v_addc_co_u32_e64 v17, s[0:1], 0, v13, s[0:1]
	v_cmp_le_u32_e32 vcc, s53, v11
	v_add_co_u32_e64 v20, s[0:1], 1, v12
	v_cndmask_b32_e64 v15, 0, -1, vcc
	v_cmp_le_u32_e32 vcc, s52, v10
	v_addc_co_u32_e64 v21, s[0:1], 0, v13, s[0:1]
	v_cndmask_b32_e64 v10, 0, -1, vcc
	v_cmp_eq_u32_e32 vcc, s53, v11
	v_cmp_ne_u32_e64 s[0:1], 0, v14
	v_cndmask_b32_e32 v10, v15, v10, vcc
	v_cndmask_b32_e64 v14, v21, v17, s[0:1]
	v_cmp_ne_u32_e32 vcc, 0, v10
	v_cndmask_b32_e64 v11, v20, v16, s[0:1]
	v_cndmask_b32_e32 v10, v13, v14, vcc
	v_cndmask_b32_e32 v11, v12, v11, vcc
	v_xor_b32_e32 v12, v10, v3
	v_xor_b32_e32 v10, v11, v3
	v_sub_co_u32_e32 v10, vcc, v10, v3
	v_subb_co_u32_e32 v11, vcc, v12, v3, vcc
.LBB58_19:                              ;   in Loop: Header=BB58_17 Depth=2
	s_andn2_saveexec_b64 s[0:1], s[48:49]
	s_cbranch_execz .LBB58_16
; %bb.20:                               ;   in Loop: Header=BB58_17 Depth=2
	v_cvt_f32_u32_e32 v3, s46
	s_sub_i32 s48, 0, s46
	v_rcp_iflag_f32_e32 v3, v3
	v_mul_f32_e32 v3, 0x4f7ffffe, v3
	v_cvt_u32_f32_e32 v3, v3
	v_mul_lo_u32 v10, s48, v3
	v_mul_hi_u32 v10, v3, v10
	v_add_u32_e32 v3, v3, v10
	v_mul_hi_u32 v3, v8, v3
	v_mul_lo_u32 v10, v3, s46
	v_add_u32_e32 v11, 1, v3
	v_sub_u32_e32 v10, v8, v10
	v_subrev_u32_e32 v12, s46, v10
	v_cmp_le_u32_e32 vcc, s46, v10
	v_cndmask_b32_e32 v10, v10, v12, vcc
	v_cndmask_b32_e32 v3, v3, v11, vcc
	v_add_u32_e32 v11, 1, v3
	v_cmp_le_u32_e32 vcc, s46, v10
	v_cndmask_b32_e32 v10, v3, v11, vcc
	v_mov_b32_e32 v11, v2
	s_branch .LBB58_16
.LBB58_21:                              ;   in Loop: Header=BB58_22 Depth=2
	s_or_b64 exec, exec, s[0:1]
	v_mul_lo_u32 v3, v11, s44
	v_mul_lo_u32 v22, v10, s45
	v_mad_u64_u32 v[20:21], s[0:1], v10, s44, 0
	v_add3_u32 v3, v21, v22, v3
	v_sub_co_u32_e32 v8, vcc, v8, v20
	v_subb_co_u32_e32 v3, vcc, v9, v3, vcc
	v_mul_lo_u32 v3, s48, v3
	v_mul_lo_u32 v20, s49, v8
	v_mad_u64_u32 v[6:7], s[0:1], s48, v8, v[6:7]
	v_mul_lo_u32 v21, v13, s46
	v_mul_lo_u32 v22, v12, s47
	v_mad_u64_u32 v[8:9], s[0:1], v12, s46, 0
	v_add3_u32 v7, v20, v7, v3
	v_mul_lo_u32 v20, v14, s51
	v_add3_u32 v3, v9, v22, v21
	v_sub_co_u32_e32 v8, vcc, v10, v8
	v_subb_co_u32_e32 v3, vcc, v11, v3, vcc
	v_mad_u64_u32 v[6:7], s[0:1], s52, v8, v[6:7]
	v_mul_lo_u32 v3, s52, v3
	v_mul_lo_u32 v10, s53, v8
	;; [unrolled: 1-line block ×3, first 2 shown]
	v_mad_u64_u32 v[8:9], s[0:1], v14, s50, 0
	v_add3_u32 v7, v10, v7, v3
	v_add3_u32 v3, v9, v20, v11
	v_sub_co_u32_e32 v8, vcc, v12, v8
	v_subb_co_u32_e32 v3, vcc, v13, v3, vcc
	v_mad_u64_u32 v[6:7], s[0:1], s56, v8, v[6:7]
	v_mul_lo_u32 v3, s56, v3
	v_mul_lo_u32 v10, s57, v8
	;; [unrolled: 1-line block ×4, first 2 shown]
	v_mad_u64_u32 v[8:9], s[0:1], v16, s54, 0
	s_load_dwordx2 s[0:1], s[38:39], 0x0
	v_add3_u32 v7, v10, v7, v3
	v_add3_u32 v3, v9, v12, v11
	v_sub_co_u32_e32 v8, vcc, v14, v8
	v_subb_co_u32_e32 v3, vcc, v15, v3, vcc
	s_add_u32 s38, s38, 0xffffffe0
	s_waitcnt lgkmcnt(0)
	v_mad_u64_u32 v[6:7], s[44:45], s0, v8, v[6:7]
	v_mul_lo_u32 v3, s0, v3
	v_mul_lo_u32 v8, s1, v8
	s_addc_u32 s39, s39, -1
	s_add_u32 s40, s40, 0xffffffe0
	s_addc_u32 s41, s41, -1
	s_add_u32 s42, s42, -4
	v_add3_u32 v7, v8, v7, v3
	s_addc_u32 s43, s43, -1
	v_mov_b32_e32 v8, v16
	s_cmp_eq_u64 s[42:43], 0
	v_mov_b32_e32 v9, v17
	s_cbranch_scc1 .LBB58_38
.LBB58_22:                              ;   Parent Loop BB58_3 Depth=1
                                        ; =>  This Inner Loop Header: Depth=2
	s_load_dwordx2 s[44:45], s[40:41], 0x18
                                        ; implicit-def: $vgpr10_vgpr11
	s_waitcnt lgkmcnt(0)
	v_or_b32_e32 v3, s45, v9
	v_cmp_ne_u64_e32 vcc, 0, v[2:3]
	s_and_saveexec_b64 s[0:1], vcc
	s_xor_b64 s[46:47], exec, s[0:1]
	s_cbranch_execz .LBB58_24
; %bb.23:                               ;   in Loop: Header=BB58_22 Depth=2
	s_ashr_i32 s48, s45, 31
	s_add_u32 s0, s44, s48
	s_mov_b32 s49, s48
	s_addc_u32 s1, s45, s48
	s_xor_b64 s[50:51], s[0:1], s[48:49]
	v_cvt_f32_u32_e32 v3, s50
	v_cvt_f32_u32_e32 v10, s51
	s_sub_u32 s49, 0, s50
	s_subb_u32 s52, 0, s51
	v_mac_f32_e32 v3, 0x4f800000, v10
	v_rcp_f32_e32 v3, v3
	v_mul_f32_e32 v3, 0x5f7ffffc, v3
	v_mul_f32_e32 v10, 0x2f800000, v3
	v_trunc_f32_e32 v10, v10
	v_mac_f32_e32 v3, 0xcf800000, v10
	v_cvt_u32_f32_e32 v10, v10
	v_cvt_u32_f32_e32 v3, v3
	v_readfirstlane_b32 s53, v10
	v_readfirstlane_b32 s0, v3
	s_mul_i32 s1, s49, s53
	s_mul_hi_u32 s55, s49, s0
	s_mul_i32 s54, s52, s0
	s_add_i32 s1, s55, s1
	s_add_i32 s1, s1, s54
	s_mul_i32 s56, s49, s0
	s_mul_i32 s55, s0, s1
	s_mul_hi_u32 s57, s0, s56
	s_mul_hi_u32 s54, s0, s1
	s_add_u32 s55, s57, s55
	s_addc_u32 s54, 0, s54
	s_mul_hi_u32 s58, s53, s56
	s_mul_i32 s56, s53, s56
	s_add_u32 s55, s55, s56
	s_mul_hi_u32 s57, s53, s1
	s_addc_u32 s54, s54, s58
	s_addc_u32 s55, s57, 0
	s_mul_i32 s1, s53, s1
	s_add_u32 s1, s54, s1
	s_addc_u32 s54, 0, s55
	s_add_u32 s55, s0, s1
	s_cselect_b64 s[0:1], -1, 0
	s_cmp_lg_u64 s[0:1], 0
	s_addc_u32 s53, s53, s54
	s_mul_i32 s0, s49, s53
	s_mul_hi_u32 s1, s49, s55
	s_add_i32 s0, s1, s0
	s_mul_i32 s52, s52, s55
	s_add_i32 s0, s0, s52
	s_mul_i32 s49, s49, s55
	s_mul_hi_u32 s52, s53, s49
	s_mul_i32 s54, s53, s49
	s_mul_i32 s57, s55, s0
	s_mul_hi_u32 s49, s55, s49
	s_mul_hi_u32 s56, s55, s0
	s_add_u32 s49, s49, s57
	s_addc_u32 s56, 0, s56
	s_add_u32 s49, s49, s54
	s_mul_hi_u32 s1, s53, s0
	s_addc_u32 s49, s56, s52
	s_addc_u32 s1, s1, 0
	s_mul_i32 s0, s53, s0
	s_add_u32 s0, s49, s0
	s_addc_u32 s49, 0, s1
	s_add_u32 s52, s55, s0
	s_cselect_b64 s[0:1], -1, 0
	v_ashrrev_i32_e32 v3, 31, v9
	s_cmp_lg_u64 s[0:1], 0
	v_add_co_u32_e32 v10, vcc, v8, v3
	s_addc_u32 s49, s53, s49
	v_xor_b32_e32 v14, v10, v3
	v_mad_u64_u32 v[10:11], s[0:1], v14, s49, 0
	v_mul_hi_u32 v13, v14, s52
	v_addc_co_u32_e32 v12, vcc, v9, v3, vcc
	v_xor_b32_e32 v15, v12, v3
	v_add_co_u32_e32 v16, vcc, v13, v10
	v_addc_co_u32_e32 v17, vcc, 0, v11, vcc
	v_mad_u64_u32 v[10:11], s[0:1], v15, s52, 0
	v_mad_u64_u32 v[12:13], s[0:1], v15, s49, 0
	v_add_co_u32_e32 v10, vcc, v16, v10
	v_addc_co_u32_e32 v10, vcc, v17, v11, vcc
	v_addc_co_u32_e32 v11, vcc, 0, v13, vcc
	v_add_co_u32_e32 v12, vcc, v10, v12
	v_addc_co_u32_e32 v13, vcc, 0, v11, vcc
	v_mul_lo_u32 v16, s51, v12
	v_mul_lo_u32 v17, s50, v13
	v_mad_u64_u32 v[10:11], s[0:1], s50, v12, 0
	v_xor_b32_e32 v3, s48, v3
	v_add3_u32 v11, v11, v17, v16
	v_sub_u32_e32 v16, v15, v11
	v_mov_b32_e32 v17, s51
	v_sub_co_u32_e32 v10, vcc, v14, v10
	v_subb_co_u32_e64 v14, s[0:1], v16, v17, vcc
	v_subrev_co_u32_e64 v16, s[0:1], s50, v10
	v_subbrev_co_u32_e64 v14, s[0:1], 0, v14, s[0:1]
	v_cmp_le_u32_e64 s[0:1], s51, v14
	v_cndmask_b32_e64 v17, 0, -1, s[0:1]
	v_cmp_le_u32_e64 s[0:1], s50, v16
	v_cndmask_b32_e64 v16, 0, -1, s[0:1]
	v_cmp_eq_u32_e64 s[0:1], s51, v14
	v_cndmask_b32_e64 v14, v17, v16, s[0:1]
	v_add_co_u32_e64 v16, s[0:1], 2, v12
	v_subb_co_u32_e32 v11, vcc, v15, v11, vcc
	v_addc_co_u32_e64 v17, s[0:1], 0, v13, s[0:1]
	v_cmp_le_u32_e32 vcc, s51, v11
	v_add_co_u32_e64 v20, s[0:1], 1, v12
	v_cndmask_b32_e64 v15, 0, -1, vcc
	v_cmp_le_u32_e32 vcc, s50, v10
	v_addc_co_u32_e64 v21, s[0:1], 0, v13, s[0:1]
	v_cndmask_b32_e64 v10, 0, -1, vcc
	v_cmp_eq_u32_e32 vcc, s51, v11
	v_cmp_ne_u32_e64 s[0:1], 0, v14
	v_cndmask_b32_e32 v10, v15, v10, vcc
	v_cndmask_b32_e64 v14, v21, v17, s[0:1]
	v_cmp_ne_u32_e32 vcc, 0, v10
	v_cndmask_b32_e64 v11, v20, v16, s[0:1]
	v_cndmask_b32_e32 v10, v13, v14, vcc
	v_cndmask_b32_e32 v11, v12, v11, vcc
	v_xor_b32_e32 v12, v10, v3
	v_xor_b32_e32 v10, v11, v3
	v_sub_co_u32_e32 v10, vcc, v10, v3
	v_subb_co_u32_e32 v11, vcc, v12, v3, vcc
.LBB58_24:                              ;   in Loop: Header=BB58_22 Depth=2
	s_andn2_saveexec_b64 s[0:1], s[46:47]
	s_cbranch_execz .LBB58_26
; %bb.25:                               ;   in Loop: Header=BB58_22 Depth=2
	v_cvt_f32_u32_e32 v3, s44
	s_sub_i32 s46, 0, s44
	v_rcp_iflag_f32_e32 v3, v3
	v_mul_f32_e32 v3, 0x4f7ffffe, v3
	v_cvt_u32_f32_e32 v3, v3
	v_mul_lo_u32 v10, s46, v3
	v_mul_hi_u32 v10, v3, v10
	v_add_u32_e32 v3, v3, v10
	v_mul_hi_u32 v3, v8, v3
	v_mul_lo_u32 v10, v3, s44
	v_add_u32_e32 v11, 1, v3
	v_sub_u32_e32 v10, v8, v10
	v_subrev_u32_e32 v12, s44, v10
	v_cmp_le_u32_e32 vcc, s44, v10
	v_cndmask_b32_e32 v10, v10, v12, vcc
	v_cndmask_b32_e32 v3, v3, v11, vcc
	v_add_u32_e32 v11, 1, v3
	v_cmp_le_u32_e32 vcc, s44, v10
	v_cndmask_b32_e32 v10, v3, v11, vcc
	v_mov_b32_e32 v11, v2
.LBB58_26:                              ;   in Loop: Header=BB58_22 Depth=2
	s_or_b64 exec, exec, s[0:1]
	s_load_dwordx2 s[46:47], s[40:41], 0x10
	s_load_dwordx2 s[48:49], s[38:39], 0x18
                                        ; implicit-def: $vgpr12_vgpr13
	s_waitcnt lgkmcnt(0)
	v_or_b32_e32 v3, s47, v11
	v_cmp_ne_u64_e32 vcc, 0, v[2:3]
	s_and_saveexec_b64 s[0:1], vcc
	s_xor_b64 s[50:51], exec, s[0:1]
	s_cbranch_execz .LBB58_28
; %bb.27:                               ;   in Loop: Header=BB58_22 Depth=2
	s_ashr_i32 s52, s47, 31
	s_add_u32 s0, s46, s52
	s_mov_b32 s53, s52
	s_addc_u32 s1, s47, s52
	s_xor_b64 s[54:55], s[0:1], s[52:53]
	v_cvt_f32_u32_e32 v3, s54
	v_cvt_f32_u32_e32 v12, s55
	s_sub_u32 s53, 0, s54
	s_subb_u32 s56, 0, s55
	v_mac_f32_e32 v3, 0x4f800000, v12
	v_rcp_f32_e32 v3, v3
	v_mul_f32_e32 v3, 0x5f7ffffc, v3
	v_mul_f32_e32 v12, 0x2f800000, v3
	v_trunc_f32_e32 v12, v12
	v_mac_f32_e32 v3, 0xcf800000, v12
	v_cvt_u32_f32_e32 v12, v12
	v_cvt_u32_f32_e32 v3, v3
	v_readfirstlane_b32 s57, v12
	v_readfirstlane_b32 s0, v3
	s_mul_i32 s1, s53, s57
	s_mul_hi_u32 s59, s53, s0
	s_mul_i32 s58, s56, s0
	s_add_i32 s1, s59, s1
	s_add_i32 s1, s1, s58
	s_mul_i32 s60, s53, s0
	s_mul_i32 s59, s0, s1
	s_mul_hi_u32 s61, s0, s60
	s_mul_hi_u32 s58, s0, s1
	s_add_u32 s59, s61, s59
	s_addc_u32 s58, 0, s58
	s_mul_hi_u32 s62, s57, s60
	s_mul_i32 s60, s57, s60
	s_add_u32 s59, s59, s60
	s_mul_hi_u32 s61, s57, s1
	s_addc_u32 s58, s58, s62
	s_addc_u32 s59, s61, 0
	s_mul_i32 s1, s57, s1
	s_add_u32 s1, s58, s1
	s_addc_u32 s58, 0, s59
	s_add_u32 s59, s0, s1
	s_cselect_b64 s[0:1], -1, 0
	s_cmp_lg_u64 s[0:1], 0
	s_addc_u32 s57, s57, s58
	s_mul_i32 s0, s53, s57
	s_mul_hi_u32 s1, s53, s59
	s_add_i32 s0, s1, s0
	s_mul_i32 s56, s56, s59
	s_add_i32 s0, s0, s56
	s_mul_i32 s53, s53, s59
	s_mul_hi_u32 s56, s57, s53
	s_mul_i32 s58, s57, s53
	s_mul_i32 s61, s59, s0
	s_mul_hi_u32 s53, s59, s53
	s_mul_hi_u32 s60, s59, s0
	s_add_u32 s53, s53, s61
	s_addc_u32 s60, 0, s60
	s_add_u32 s53, s53, s58
	s_mul_hi_u32 s1, s57, s0
	s_addc_u32 s53, s60, s56
	s_addc_u32 s1, s1, 0
	s_mul_i32 s0, s57, s0
	s_add_u32 s0, s53, s0
	s_addc_u32 s53, 0, s1
	s_add_u32 s56, s59, s0
	s_cselect_b64 s[0:1], -1, 0
	v_ashrrev_i32_e32 v3, 31, v11
	s_cmp_lg_u64 s[0:1], 0
	v_add_co_u32_e32 v12, vcc, v10, v3
	s_addc_u32 s53, s57, s53
	v_xor_b32_e32 v16, v12, v3
	v_mad_u64_u32 v[12:13], s[0:1], v16, s53, 0
	v_mul_hi_u32 v15, v16, s56
	v_addc_co_u32_e32 v14, vcc, v11, v3, vcc
	v_xor_b32_e32 v17, v14, v3
	v_add_co_u32_e32 v20, vcc, v15, v12
	v_addc_co_u32_e32 v21, vcc, 0, v13, vcc
	v_mad_u64_u32 v[12:13], s[0:1], v17, s56, 0
	v_mad_u64_u32 v[14:15], s[0:1], v17, s53, 0
	v_add_co_u32_e32 v12, vcc, v20, v12
	v_addc_co_u32_e32 v12, vcc, v21, v13, vcc
	v_addc_co_u32_e32 v13, vcc, 0, v15, vcc
	v_add_co_u32_e32 v14, vcc, v12, v14
	v_addc_co_u32_e32 v15, vcc, 0, v13, vcc
	v_mul_lo_u32 v20, s55, v14
	v_mul_lo_u32 v21, s54, v15
	v_mad_u64_u32 v[12:13], s[0:1], s54, v14, 0
	v_xor_b32_e32 v3, s52, v3
	v_add3_u32 v13, v13, v21, v20
	v_sub_u32_e32 v20, v17, v13
	v_mov_b32_e32 v21, s55
	v_sub_co_u32_e32 v12, vcc, v16, v12
	v_subb_co_u32_e64 v16, s[0:1], v20, v21, vcc
	v_subrev_co_u32_e64 v20, s[0:1], s54, v12
	v_subbrev_co_u32_e64 v16, s[0:1], 0, v16, s[0:1]
	v_cmp_le_u32_e64 s[0:1], s55, v16
	v_cndmask_b32_e64 v21, 0, -1, s[0:1]
	v_cmp_le_u32_e64 s[0:1], s54, v20
	v_cndmask_b32_e64 v20, 0, -1, s[0:1]
	v_cmp_eq_u32_e64 s[0:1], s55, v16
	v_cndmask_b32_e64 v16, v21, v20, s[0:1]
	v_add_co_u32_e64 v20, s[0:1], 2, v14
	v_subb_co_u32_e32 v13, vcc, v17, v13, vcc
	v_addc_co_u32_e64 v21, s[0:1], 0, v15, s[0:1]
	v_cmp_le_u32_e32 vcc, s55, v13
	v_add_co_u32_e64 v22, s[0:1], 1, v14
	v_cndmask_b32_e64 v17, 0, -1, vcc
	v_cmp_le_u32_e32 vcc, s54, v12
	v_addc_co_u32_e64 v23, s[0:1], 0, v15, s[0:1]
	v_cndmask_b32_e64 v12, 0, -1, vcc
	v_cmp_eq_u32_e32 vcc, s55, v13
	v_cmp_ne_u32_e64 s[0:1], 0, v16
	v_cndmask_b32_e32 v12, v17, v12, vcc
	v_cndmask_b32_e64 v16, v23, v21, s[0:1]
	v_cmp_ne_u32_e32 vcc, 0, v12
	v_cndmask_b32_e64 v13, v22, v20, s[0:1]
	v_cndmask_b32_e32 v12, v15, v16, vcc
	v_cndmask_b32_e32 v13, v14, v13, vcc
	v_xor_b32_e32 v14, v12, v3
	v_xor_b32_e32 v12, v13, v3
	v_sub_co_u32_e32 v12, vcc, v12, v3
	v_subb_co_u32_e32 v13, vcc, v14, v3, vcc
.LBB58_28:                              ;   in Loop: Header=BB58_22 Depth=2
	s_andn2_saveexec_b64 s[0:1], s[50:51]
	s_cbranch_execz .LBB58_30
; %bb.29:                               ;   in Loop: Header=BB58_22 Depth=2
	v_cvt_f32_u32_e32 v3, s46
	s_sub_i32 s50, 0, s46
	v_rcp_iflag_f32_e32 v3, v3
	v_mul_f32_e32 v3, 0x4f7ffffe, v3
	v_cvt_u32_f32_e32 v3, v3
	v_mul_lo_u32 v12, s50, v3
	v_mul_hi_u32 v12, v3, v12
	v_add_u32_e32 v3, v3, v12
	v_mul_hi_u32 v3, v10, v3
	v_mul_lo_u32 v12, v3, s46
	v_add_u32_e32 v13, 1, v3
	v_sub_u32_e32 v12, v10, v12
	v_subrev_u32_e32 v14, s46, v12
	v_cmp_le_u32_e32 vcc, s46, v12
	v_cndmask_b32_e32 v12, v12, v14, vcc
	v_cndmask_b32_e32 v3, v3, v13, vcc
	v_add_u32_e32 v13, 1, v3
	v_cmp_le_u32_e32 vcc, s46, v12
	v_cndmask_b32_e32 v12, v3, v13, vcc
	v_mov_b32_e32 v13, v2
.LBB58_30:                              ;   in Loop: Header=BB58_22 Depth=2
	s_or_b64 exec, exec, s[0:1]
	s_load_dwordx2 s[50:51], s[40:41], 0x8
	s_load_dwordx2 s[52:53], s[38:39], 0x10
                                        ; implicit-def: $vgpr14_vgpr15
	s_waitcnt lgkmcnt(0)
	v_or_b32_e32 v3, s51, v13
	v_cmp_ne_u64_e32 vcc, 0, v[2:3]
	s_and_saveexec_b64 s[0:1], vcc
	s_xor_b64 s[54:55], exec, s[0:1]
	s_cbranch_execz .LBB58_32
; %bb.31:                               ;   in Loop: Header=BB58_22 Depth=2
	s_ashr_i32 s56, s51, 31
	s_add_u32 s0, s50, s56
	s_mov_b32 s57, s56
	s_addc_u32 s1, s51, s56
	s_xor_b64 s[58:59], s[0:1], s[56:57]
	v_cvt_f32_u32_e32 v3, s58
	v_cvt_f32_u32_e32 v14, s59
	s_sub_u32 s57, 0, s58
	s_subb_u32 s60, 0, s59
	v_mac_f32_e32 v3, 0x4f800000, v14
	v_rcp_f32_e32 v3, v3
	v_mul_f32_e32 v3, 0x5f7ffffc, v3
	v_mul_f32_e32 v14, 0x2f800000, v3
	v_trunc_f32_e32 v14, v14
	v_mac_f32_e32 v3, 0xcf800000, v14
	v_cvt_u32_f32_e32 v14, v14
	v_cvt_u32_f32_e32 v3, v3
	v_readfirstlane_b32 s61, v14
	v_readfirstlane_b32 s0, v3
	s_mul_i32 s1, s57, s61
	s_mul_hi_u32 s63, s57, s0
	s_mul_i32 s62, s60, s0
	s_add_i32 s1, s63, s1
	s_add_i32 s1, s1, s62
	s_mul_i32 s68, s57, s0
	s_mul_i32 s63, s0, s1
	s_mul_hi_u32 s69, s0, s68
	s_mul_hi_u32 s62, s0, s1
	s_add_u32 s63, s69, s63
	s_addc_u32 s62, 0, s62
	s_mul_hi_u32 s70, s61, s68
	s_mul_i32 s68, s61, s68
	s_add_u32 s63, s63, s68
	s_mul_hi_u32 s69, s61, s1
	s_addc_u32 s62, s62, s70
	s_addc_u32 s63, s69, 0
	s_mul_i32 s1, s61, s1
	s_add_u32 s1, s62, s1
	s_addc_u32 s62, 0, s63
	s_add_u32 s63, s0, s1
	s_cselect_b64 s[0:1], -1, 0
	s_cmp_lg_u64 s[0:1], 0
	s_addc_u32 s61, s61, s62
	s_mul_i32 s0, s57, s61
	s_mul_hi_u32 s1, s57, s63
	s_add_i32 s0, s1, s0
	s_mul_i32 s60, s60, s63
	s_add_i32 s0, s0, s60
	s_mul_i32 s57, s57, s63
	s_mul_hi_u32 s60, s61, s57
	s_mul_i32 s62, s61, s57
	s_mul_i32 s69, s63, s0
	s_mul_hi_u32 s57, s63, s57
	s_mul_hi_u32 s68, s63, s0
	s_add_u32 s57, s57, s69
	s_addc_u32 s68, 0, s68
	s_add_u32 s57, s57, s62
	s_mul_hi_u32 s1, s61, s0
	s_addc_u32 s57, s68, s60
	s_addc_u32 s1, s1, 0
	s_mul_i32 s0, s61, s0
	s_add_u32 s0, s57, s0
	s_addc_u32 s57, 0, s1
	s_add_u32 s60, s63, s0
	s_cselect_b64 s[0:1], -1, 0
	v_ashrrev_i32_e32 v3, 31, v13
	s_cmp_lg_u64 s[0:1], 0
	v_add_co_u32_e32 v14, vcc, v12, v3
	s_addc_u32 s57, s61, s57
	v_xor_b32_e32 v20, v14, v3
	v_mad_u64_u32 v[14:15], s[0:1], v20, s57, 0
	v_mul_hi_u32 v17, v20, s60
	v_addc_co_u32_e32 v16, vcc, v13, v3, vcc
	v_xor_b32_e32 v21, v16, v3
	v_add_co_u32_e32 v22, vcc, v17, v14
	v_addc_co_u32_e32 v23, vcc, 0, v15, vcc
	v_mad_u64_u32 v[14:15], s[0:1], v21, s60, 0
	v_mad_u64_u32 v[16:17], s[0:1], v21, s57, 0
	v_add_co_u32_e32 v14, vcc, v22, v14
	v_addc_co_u32_e32 v14, vcc, v23, v15, vcc
	v_addc_co_u32_e32 v15, vcc, 0, v17, vcc
	v_add_co_u32_e32 v16, vcc, v14, v16
	v_addc_co_u32_e32 v17, vcc, 0, v15, vcc
	v_mul_lo_u32 v22, s59, v16
	v_mul_lo_u32 v23, s58, v17
	v_mad_u64_u32 v[14:15], s[0:1], s58, v16, 0
	v_xor_b32_e32 v3, s56, v3
	v_add3_u32 v15, v15, v23, v22
	v_sub_u32_e32 v22, v21, v15
	v_mov_b32_e32 v23, s59
	v_sub_co_u32_e32 v14, vcc, v20, v14
	v_subb_co_u32_e64 v20, s[0:1], v22, v23, vcc
	v_subrev_co_u32_e64 v22, s[0:1], s58, v14
	v_subbrev_co_u32_e64 v20, s[0:1], 0, v20, s[0:1]
	v_cmp_le_u32_e64 s[0:1], s59, v20
	v_cndmask_b32_e64 v23, 0, -1, s[0:1]
	v_cmp_le_u32_e64 s[0:1], s58, v22
	v_cndmask_b32_e64 v22, 0, -1, s[0:1]
	v_cmp_eq_u32_e64 s[0:1], s59, v20
	v_cndmask_b32_e64 v20, v23, v22, s[0:1]
	v_add_co_u32_e64 v22, s[0:1], 2, v16
	v_subb_co_u32_e32 v15, vcc, v21, v15, vcc
	v_addc_co_u32_e64 v23, s[0:1], 0, v17, s[0:1]
	v_cmp_le_u32_e32 vcc, s59, v15
	v_add_co_u32_e64 v24, s[0:1], 1, v16
	v_cndmask_b32_e64 v21, 0, -1, vcc
	v_cmp_le_u32_e32 vcc, s58, v14
	v_addc_co_u32_e64 v25, s[0:1], 0, v17, s[0:1]
	v_cndmask_b32_e64 v14, 0, -1, vcc
	v_cmp_eq_u32_e32 vcc, s59, v15
	v_cmp_ne_u32_e64 s[0:1], 0, v20
	v_cndmask_b32_e32 v14, v21, v14, vcc
	v_cndmask_b32_e64 v20, v25, v23, s[0:1]
	v_cmp_ne_u32_e32 vcc, 0, v14
	v_cndmask_b32_e64 v15, v24, v22, s[0:1]
	v_cndmask_b32_e32 v14, v17, v20, vcc
	v_cndmask_b32_e32 v15, v16, v15, vcc
	v_xor_b32_e32 v16, v14, v3
	v_xor_b32_e32 v14, v15, v3
	v_sub_co_u32_e32 v14, vcc, v14, v3
	v_subb_co_u32_e32 v15, vcc, v16, v3, vcc
.LBB58_32:                              ;   in Loop: Header=BB58_22 Depth=2
	s_andn2_saveexec_b64 s[0:1], s[54:55]
	s_cbranch_execz .LBB58_34
; %bb.33:                               ;   in Loop: Header=BB58_22 Depth=2
	v_cvt_f32_u32_e32 v3, s50
	s_sub_i32 s54, 0, s50
	v_rcp_iflag_f32_e32 v3, v3
	v_mul_f32_e32 v3, 0x4f7ffffe, v3
	v_cvt_u32_f32_e32 v3, v3
	v_mul_lo_u32 v14, s54, v3
	v_mul_hi_u32 v14, v3, v14
	v_add_u32_e32 v3, v3, v14
	v_mul_hi_u32 v3, v12, v3
	v_mul_lo_u32 v14, v3, s50
	v_add_u32_e32 v15, 1, v3
	v_sub_u32_e32 v14, v12, v14
	v_subrev_u32_e32 v16, s50, v14
	v_cmp_le_u32_e32 vcc, s50, v14
	v_cndmask_b32_e32 v14, v14, v16, vcc
	v_cndmask_b32_e32 v3, v3, v15, vcc
	v_add_u32_e32 v15, 1, v3
	v_cmp_le_u32_e32 vcc, s50, v14
	v_cndmask_b32_e32 v14, v3, v15, vcc
	v_mov_b32_e32 v15, v2
.LBB58_34:                              ;   in Loop: Header=BB58_22 Depth=2
	s_or_b64 exec, exec, s[0:1]
	s_load_dwordx2 s[54:55], s[40:41], 0x0
	s_load_dwordx2 s[56:57], s[38:39], 0x8
                                        ; implicit-def: $vgpr16_vgpr17
	s_waitcnt lgkmcnt(0)
	v_or_b32_e32 v3, s55, v15
	v_cmp_ne_u64_e32 vcc, 0, v[2:3]
	s_and_saveexec_b64 s[0:1], vcc
	s_xor_b64 s[58:59], exec, s[0:1]
	s_cbranch_execz .LBB58_36
; %bb.35:                               ;   in Loop: Header=BB58_22 Depth=2
	s_ashr_i32 s60, s55, 31
	s_add_u32 s0, s54, s60
	s_mov_b32 s61, s60
	s_addc_u32 s1, s55, s60
	s_xor_b64 s[62:63], s[0:1], s[60:61]
	v_cvt_f32_u32_e32 v3, s62
	v_cvt_f32_u32_e32 v16, s63
	s_sub_u32 s61, 0, s62
	s_subb_u32 s68, 0, s63
	v_mac_f32_e32 v3, 0x4f800000, v16
	v_rcp_f32_e32 v3, v3
	v_mul_f32_e32 v3, 0x5f7ffffc, v3
	v_mul_f32_e32 v16, 0x2f800000, v3
	v_trunc_f32_e32 v16, v16
	v_mac_f32_e32 v3, 0xcf800000, v16
	v_cvt_u32_f32_e32 v16, v16
	v_cvt_u32_f32_e32 v3, v3
	v_readfirstlane_b32 s69, v16
	v_readfirstlane_b32 s0, v3
	s_mul_i32 s1, s61, s69
	s_mul_hi_u32 s71, s61, s0
	s_mul_i32 s70, s68, s0
	s_add_i32 s1, s71, s1
	s_add_i32 s1, s1, s70
	s_mul_i32 s72, s61, s0
	s_mul_i32 s71, s0, s1
	s_mul_hi_u32 s73, s0, s72
	s_mul_hi_u32 s70, s0, s1
	s_add_u32 s71, s73, s71
	s_addc_u32 s70, 0, s70
	s_mul_hi_u32 s74, s69, s72
	s_mul_i32 s72, s69, s72
	s_add_u32 s71, s71, s72
	s_mul_hi_u32 s73, s69, s1
	s_addc_u32 s70, s70, s74
	s_addc_u32 s71, s73, 0
	s_mul_i32 s1, s69, s1
	s_add_u32 s1, s70, s1
	s_addc_u32 s70, 0, s71
	s_add_u32 s71, s0, s1
	s_cselect_b64 s[0:1], -1, 0
	s_cmp_lg_u64 s[0:1], 0
	s_addc_u32 s69, s69, s70
	s_mul_i32 s0, s61, s69
	s_mul_hi_u32 s1, s61, s71
	s_add_i32 s0, s1, s0
	s_mul_i32 s68, s68, s71
	s_add_i32 s0, s0, s68
	s_mul_i32 s61, s61, s71
	s_mul_hi_u32 s68, s69, s61
	s_mul_i32 s70, s69, s61
	s_mul_i32 s73, s71, s0
	s_mul_hi_u32 s61, s71, s61
	s_mul_hi_u32 s72, s71, s0
	s_add_u32 s61, s61, s73
	s_addc_u32 s72, 0, s72
	s_add_u32 s61, s61, s70
	s_mul_hi_u32 s1, s69, s0
	s_addc_u32 s61, s72, s68
	s_addc_u32 s1, s1, 0
	s_mul_i32 s0, s69, s0
	s_add_u32 s0, s61, s0
	s_addc_u32 s61, 0, s1
	s_add_u32 s68, s71, s0
	s_cselect_b64 s[0:1], -1, 0
	v_ashrrev_i32_e32 v3, 31, v15
	s_cmp_lg_u64 s[0:1], 0
	v_add_co_u32_e32 v16, vcc, v14, v3
	s_addc_u32 s61, s69, s61
	v_xor_b32_e32 v22, v16, v3
	v_mad_u64_u32 v[16:17], s[0:1], v22, s61, 0
	v_mul_hi_u32 v21, v22, s68
	v_addc_co_u32_e32 v20, vcc, v15, v3, vcc
	v_xor_b32_e32 v23, v20, v3
	v_add_co_u32_e32 v24, vcc, v21, v16
	v_addc_co_u32_e32 v25, vcc, 0, v17, vcc
	v_mad_u64_u32 v[16:17], s[0:1], v23, s68, 0
	v_mad_u64_u32 v[20:21], s[0:1], v23, s61, 0
	v_add_co_u32_e32 v16, vcc, v24, v16
	v_addc_co_u32_e32 v16, vcc, v25, v17, vcc
	v_addc_co_u32_e32 v17, vcc, 0, v21, vcc
	v_add_co_u32_e32 v20, vcc, v16, v20
	v_addc_co_u32_e32 v21, vcc, 0, v17, vcc
	v_mul_lo_u32 v24, s63, v20
	v_mul_lo_u32 v25, s62, v21
	v_mad_u64_u32 v[16:17], s[0:1], s62, v20, 0
	v_xor_b32_e32 v3, s60, v3
	v_add3_u32 v17, v17, v25, v24
	v_sub_u32_e32 v24, v23, v17
	v_mov_b32_e32 v25, s63
	v_sub_co_u32_e32 v16, vcc, v22, v16
	v_subb_co_u32_e64 v22, s[0:1], v24, v25, vcc
	v_subrev_co_u32_e64 v24, s[0:1], s62, v16
	v_subbrev_co_u32_e64 v22, s[0:1], 0, v22, s[0:1]
	v_cmp_le_u32_e64 s[0:1], s63, v22
	v_cndmask_b32_e64 v25, 0, -1, s[0:1]
	v_cmp_le_u32_e64 s[0:1], s62, v24
	v_cndmask_b32_e64 v24, 0, -1, s[0:1]
	v_cmp_eq_u32_e64 s[0:1], s63, v22
	v_cndmask_b32_e64 v22, v25, v24, s[0:1]
	v_add_co_u32_e64 v24, s[0:1], 2, v20
	v_subb_co_u32_e32 v17, vcc, v23, v17, vcc
	v_addc_co_u32_e64 v25, s[0:1], 0, v21, s[0:1]
	v_cmp_le_u32_e32 vcc, s63, v17
	v_add_co_u32_e64 v26, s[0:1], 1, v20
	v_cndmask_b32_e64 v23, 0, -1, vcc
	v_cmp_le_u32_e32 vcc, s62, v16
	v_addc_co_u32_e64 v27, s[0:1], 0, v21, s[0:1]
	v_cndmask_b32_e64 v16, 0, -1, vcc
	v_cmp_eq_u32_e32 vcc, s63, v17
	v_cmp_ne_u32_e64 s[0:1], 0, v22
	v_cndmask_b32_e32 v16, v23, v16, vcc
	v_cndmask_b32_e64 v22, v27, v25, s[0:1]
	v_cmp_ne_u32_e32 vcc, 0, v16
	v_cndmask_b32_e64 v17, v26, v24, s[0:1]
	v_cndmask_b32_e32 v16, v21, v22, vcc
	v_cndmask_b32_e32 v17, v20, v17, vcc
	v_xor_b32_e32 v20, v16, v3
	v_xor_b32_e32 v16, v17, v3
	v_sub_co_u32_e32 v16, vcc, v16, v3
	v_subb_co_u32_e32 v17, vcc, v20, v3, vcc
.LBB58_36:                              ;   in Loop: Header=BB58_22 Depth=2
	s_andn2_saveexec_b64 s[0:1], s[58:59]
	s_cbranch_execz .LBB58_21
; %bb.37:                               ;   in Loop: Header=BB58_22 Depth=2
	v_cvt_f32_u32_e32 v3, s54
	s_sub_i32 s58, 0, s54
	v_rcp_iflag_f32_e32 v3, v3
	v_mul_f32_e32 v3, 0x4f7ffffe, v3
	v_cvt_u32_f32_e32 v3, v3
	v_mul_lo_u32 v16, s58, v3
	v_mul_hi_u32 v16, v3, v16
	v_add_u32_e32 v3, v3, v16
	v_mul_hi_u32 v3, v14, v3
	v_mul_lo_u32 v16, v3, s54
	v_add_u32_e32 v17, 1, v3
	v_sub_u32_e32 v16, v14, v16
	v_subrev_u32_e32 v20, s54, v16
	v_cmp_le_u32_e32 vcc, s54, v16
	v_cndmask_b32_e32 v16, v16, v20, vcc
	v_cndmask_b32_e32 v3, v3, v17, vcc
	v_add_u32_e32 v17, 1, v3
	v_cmp_le_u32_e32 vcc, s54, v16
	v_cndmask_b32_e32 v16, v3, v17, vcc
	v_mov_b32_e32 v17, v2
	s_branch .LBB58_21
.LBB58_38:                              ;   in Loop: Header=BB58_3 Depth=1
	s_load_dwordx2 s[0:1], s[22:23], 0x0
	s_waitcnt lgkmcnt(0)
	v_cmp_gt_i64_e32 vcc, s[0:1], v[4:5]
	s_and_b64 exec, exec, vcc
	s_cbranch_execz .LBB58_2
; %bb.39:                               ;   in Loop: Header=BB58_3 Depth=1
	v_mov_b32_e32 v3, s13
	v_add_co_u32_e32 v6, vcc, s12, v6
	v_addc_co_u32_e32 v7, vcc, v3, v7, vcc
	v_add_co_u32_e32 v8, vcc, 1, v4
	v_addc_co_u32_e32 v9, vcc, 0, v5, vcc
	v_cmp_gt_i64_e32 vcc, s[0:1], v[8:9]
	global_store_byte v[6:7], v2, off
	s_and_b64 exec, exec, vcc
	s_cbranch_execz .LBB58_2
; %bb.40:                               ;   in Loop: Header=BB58_3 Depth=1
	v_sub_co_u32_e32 v8, vcc, v8, v18
	v_subb_co_u32_e32 v9, vcc, v9, v19, vcc
	v_cmp_gt_i64_e32 vcc, s[8:9], v[8:9]
	s_and_saveexec_b64 s[38:39], vcc
	s_cbranch_execz .LBB58_42
; %bb.41:                               ;   in Loop: Header=BB58_3 Depth=1
	v_mov_b32_e32 v3, s3
	v_add_co_u32_e32 v8, vcc, s2, v6
	v_addc_co_u32_e32 v9, vcc, v7, v3, vcc
	global_store_byte v[8:9], v2, off
.LBB58_42:                              ;   in Loop: Header=BB58_3 Depth=1
	s_or_b64 exec, exec, s[38:39]
	v_add_co_u32_e32 v8, vcc, 2, v4
	v_addc_co_u32_e32 v9, vcc, 0, v5, vcc
	v_cmp_gt_i64_e32 vcc, s[0:1], v[8:9]
	s_and_b64 exec, exec, vcc
	s_cbranch_execz .LBB58_2
; %bb.43:                               ;   in Loop: Header=BB58_3 Depth=1
	v_sub_co_u32_e32 v8, vcc, v8, v18
	v_subb_co_u32_e32 v9, vcc, v9, v19, vcc
	v_cmp_gt_i64_e32 vcc, s[8:9], v[8:9]
	s_and_saveexec_b64 s[38:39], vcc
	s_cbranch_execz .LBB58_45
; %bb.44:                               ;   in Loop: Header=BB58_3 Depth=1
	s_lshl_b64 s[40:41], s[2:3], 1
	v_mov_b32_e32 v3, s41
	v_add_co_u32_e32 v8, vcc, s40, v6
	v_addc_co_u32_e32 v9, vcc, v7, v3, vcc
	global_store_byte v[8:9], v2, off
.LBB58_45:                              ;   in Loop: Header=BB58_3 Depth=1
	s_or_b64 exec, exec, s[38:39]
	v_add_co_u32_e32 v3, vcc, 3, v4
	v_addc_co_u32_e32 v4, vcc, 0, v5, vcc
	v_cmp_gt_i64_e32 vcc, s[0:1], v[3:4]
	v_sub_co_u32_e64 v3, s[0:1], v3, v18
	v_subb_co_u32_e64 v4, s[0:1], v4, v19, s[0:1]
	v_cmp_gt_i64_e64 s[0:1], s[8:9], v[3:4]
	s_and_b64 s[0:1], vcc, s[0:1]
	s_and_b64 exec, exec, s[0:1]
	s_cbranch_execz .LBB58_2
; %bb.46:                               ;   in Loop: Header=BB58_3 Depth=1
	v_mad_u64_u32 v[3:4], s[0:1], s2, 3, v[6:7]
	v_mad_u64_u32 v[4:5], s[0:1], s3, 3, v[4:5]
	global_store_byte v[3:4], v2, off
	s_branch .LBB58_2
.LBB58_47:
	s_endpgm
	.section	.rodata,"a",@progbits
	.p2align	6, 0x0
	.amdhsa_kernel _ZN2at6native16triu_tril_kernelIalLb1ELi4ELb1EEEvNS_4cuda6detail10TensorInfoIT_T0_EENS4_IKS5_S6_EEllS6_
		.amdhsa_group_segment_fixed_size 0
		.amdhsa_private_segment_fixed_size 0
		.amdhsa_kernarg_size 1112
		.amdhsa_user_sgpr_count 6
		.amdhsa_user_sgpr_private_segment_buffer 1
		.amdhsa_user_sgpr_dispatch_ptr 0
		.amdhsa_user_sgpr_queue_ptr 0
		.amdhsa_user_sgpr_kernarg_segment_ptr 1
		.amdhsa_user_sgpr_dispatch_id 0
		.amdhsa_user_sgpr_flat_scratch_init 0
		.amdhsa_user_sgpr_private_segment_size 0
		.amdhsa_uses_dynamic_stack 0
		.amdhsa_system_sgpr_private_segment_wavefront_offset 0
		.amdhsa_system_sgpr_workgroup_id_x 1
		.amdhsa_system_sgpr_workgroup_id_y 0
		.amdhsa_system_sgpr_workgroup_id_z 0
		.amdhsa_system_sgpr_workgroup_info 0
		.amdhsa_system_vgpr_workitem_id 0
		.amdhsa_next_free_vgpr 28
		.amdhsa_next_free_sgpr 75
		.amdhsa_reserve_vcc 1
		.amdhsa_reserve_flat_scratch 0
		.amdhsa_float_round_mode_32 0
		.amdhsa_float_round_mode_16_64 0
		.amdhsa_float_denorm_mode_32 3
		.amdhsa_float_denorm_mode_16_64 3
		.amdhsa_dx10_clamp 1
		.amdhsa_ieee_mode 1
		.amdhsa_fp16_overflow 0
		.amdhsa_exception_fp_ieee_invalid_op 0
		.amdhsa_exception_fp_denorm_src 0
		.amdhsa_exception_fp_ieee_div_zero 0
		.amdhsa_exception_fp_ieee_overflow 0
		.amdhsa_exception_fp_ieee_underflow 0
		.amdhsa_exception_fp_ieee_inexact 0
		.amdhsa_exception_int_div_zero 0
	.end_amdhsa_kernel
	.section	.text._ZN2at6native16triu_tril_kernelIalLb1ELi4ELb1EEEvNS_4cuda6detail10TensorInfoIT_T0_EENS4_IKS5_S6_EEllS6_,"axG",@progbits,_ZN2at6native16triu_tril_kernelIalLb1ELi4ELb1EEEvNS_4cuda6detail10TensorInfoIT_T0_EENS4_IKS5_S6_EEllS6_,comdat
.Lfunc_end58:
	.size	_ZN2at6native16triu_tril_kernelIalLb1ELi4ELb1EEEvNS_4cuda6detail10TensorInfoIT_T0_EENS4_IKS5_S6_EEllS6_, .Lfunc_end58-_ZN2at6native16triu_tril_kernelIalLb1ELi4ELb1EEEvNS_4cuda6detail10TensorInfoIT_T0_EENS4_IKS5_S6_EEllS6_
                                        ; -- End function
	.set _ZN2at6native16triu_tril_kernelIalLb1ELi4ELb1EEEvNS_4cuda6detail10TensorInfoIT_T0_EENS4_IKS5_S6_EEllS6_.num_vgpr, 28
	.set _ZN2at6native16triu_tril_kernelIalLb1ELi4ELb1EEEvNS_4cuda6detail10TensorInfoIT_T0_EENS4_IKS5_S6_EEllS6_.num_agpr, 0
	.set _ZN2at6native16triu_tril_kernelIalLb1ELi4ELb1EEEvNS_4cuda6detail10TensorInfoIT_T0_EENS4_IKS5_S6_EEllS6_.numbered_sgpr, 75
	.set _ZN2at6native16triu_tril_kernelIalLb1ELi4ELb1EEEvNS_4cuda6detail10TensorInfoIT_T0_EENS4_IKS5_S6_EEllS6_.num_named_barrier, 0
	.set _ZN2at6native16triu_tril_kernelIalLb1ELi4ELb1EEEvNS_4cuda6detail10TensorInfoIT_T0_EENS4_IKS5_S6_EEllS6_.private_seg_size, 0
	.set _ZN2at6native16triu_tril_kernelIalLb1ELi4ELb1EEEvNS_4cuda6detail10TensorInfoIT_T0_EENS4_IKS5_S6_EEllS6_.uses_vcc, 1
	.set _ZN2at6native16triu_tril_kernelIalLb1ELi4ELb1EEEvNS_4cuda6detail10TensorInfoIT_T0_EENS4_IKS5_S6_EEllS6_.uses_flat_scratch, 0
	.set _ZN2at6native16triu_tril_kernelIalLb1ELi4ELb1EEEvNS_4cuda6detail10TensorInfoIT_T0_EENS4_IKS5_S6_EEllS6_.has_dyn_sized_stack, 0
	.set _ZN2at6native16triu_tril_kernelIalLb1ELi4ELb1EEEvNS_4cuda6detail10TensorInfoIT_T0_EENS4_IKS5_S6_EEllS6_.has_recursion, 0
	.set _ZN2at6native16triu_tril_kernelIalLb1ELi4ELb1EEEvNS_4cuda6detail10TensorInfoIT_T0_EENS4_IKS5_S6_EEllS6_.has_indirect_call, 0
	.section	.AMDGPU.csdata,"",@progbits
; Kernel info:
; codeLenInByte = 6564
; TotalNumSgprs: 79
; NumVgprs: 28
; ScratchSize: 0
; MemoryBound: 0
; FloatMode: 240
; IeeeMode: 1
; LDSByteSize: 0 bytes/workgroup (compile time only)
; SGPRBlocks: 9
; VGPRBlocks: 6
; NumSGPRsForWavesPerEU: 79
; NumVGPRsForWavesPerEU: 28
; Occupancy: 9
; WaveLimiterHint : 0
; COMPUTE_PGM_RSRC2:SCRATCH_EN: 0
; COMPUTE_PGM_RSRC2:USER_SGPR: 6
; COMPUTE_PGM_RSRC2:TRAP_HANDLER: 0
; COMPUTE_PGM_RSRC2:TGID_X_EN: 1
; COMPUTE_PGM_RSRC2:TGID_Y_EN: 0
; COMPUTE_PGM_RSRC2:TGID_Z_EN: 0
; COMPUTE_PGM_RSRC2:TIDIG_COMP_CNT: 0
	.section	.text._ZN2at6native16triu_tril_kernelIalLb1ELi4ELb0EEEvNS_4cuda6detail10TensorInfoIT_T0_EENS4_IKS5_S6_EEllS6_,"axG",@progbits,_ZN2at6native16triu_tril_kernelIalLb1ELi4ELb0EEEvNS_4cuda6detail10TensorInfoIT_T0_EENS4_IKS5_S6_EEllS6_,comdat
	.protected	_ZN2at6native16triu_tril_kernelIalLb1ELi4ELb0EEEvNS_4cuda6detail10TensorInfoIT_T0_EENS4_IKS5_S6_EEllS6_ ; -- Begin function _ZN2at6native16triu_tril_kernelIalLb1ELi4ELb0EEEvNS_4cuda6detail10TensorInfoIT_T0_EENS4_IKS5_S6_EEllS6_
	.globl	_ZN2at6native16triu_tril_kernelIalLb1ELi4ELb0EEEvNS_4cuda6detail10TensorInfoIT_T0_EENS4_IKS5_S6_EEllS6_
	.p2align	8
	.type	_ZN2at6native16triu_tril_kernelIalLb1ELi4ELb0EEEvNS_4cuda6detail10TensorInfoIT_T0_EENS4_IKS5_S6_EEllS6_,@function
_ZN2at6native16triu_tril_kernelIalLb1ELi4ELb0EEEvNS_4cuda6detail10TensorInfoIT_T0_EENS4_IKS5_S6_EEllS6_: ; @_ZN2at6native16triu_tril_kernelIalLb1ELi4ELb0EEEvNS_4cuda6detail10TensorInfoIT_T0_EENS4_IKS5_S6_EEllS6_
; %bb.0:
	s_load_dword s2, s[4:5], 0x364
	s_load_dwordx4 s[8:11], s[4:5], 0x340
	s_add_u32 s0, s4, 0x358
	v_mov_b32_e32 v2, 0
	s_addc_u32 s1, s5, 0
	s_waitcnt lgkmcnt(0)
	s_and_b32 s7, s2, 0xffff
	v_mov_b32_e32 v1, v2
	v_mov_b32_e32 v3, s6
	v_mad_u64_u32 v[0:1], s[2:3], s7, v3, v[0:1]
	v_lshlrev_b64 v[0:1], 2, v[0:1]
	v_cmp_gt_i64_e32 vcc, s[10:11], v[0:1]
	s_and_saveexec_b64 s[2:3], vcc
	s_cbranch_execz .LBB59_44
; %bb.1:
	s_load_dword s6, s[0:1], 0x0
	s_load_dword s24, s[4:5], 0x338
	s_add_u32 s33, s4, 0x1a0
	s_addc_u32 s70, s5, 0
	s_load_dwordx2 s[2:3], s[4:5], 0x1a0
	s_waitcnt lgkmcnt(0)
	s_mul_i32 s30, s6, s7
	s_ashr_i32 s25, s24, 31
	s_lshl_b64 s[0:1], s[24:25], 3
	s_add_u32 s20, s33, s0
	s_addc_u32 s21, s70, s1
	s_add_u32 s22, s20, -8
	s_addc_u32 s23, s21, -1
	s_add_u32 s0, s4, s0
	v_cmp_gt_i64_e64 s[6:7], s[24:25], 2
	s_addc_u32 s1, s5, s1
	s_add_i32 s24, s24, -3
	s_ashr_i32 s25, s24, 31
	s_lshl_b32 s71, s30, 2
	s_bitcmp0_b32 s24, 0
	s_load_dwordx4 s[12:15], s[22:23], 0x0
	s_load_dwordx4 s[16:19], s[20:21], 0xc0
	s_cselect_b64 s[40:41], -1, 0
	s_load_dwordx4 s[20:23], s[0:1], 0xc0
	s_lshl_b64 s[0:1], s[24:25], 3
	s_add_u32 s42, s33, s0
	s_addc_u32 s43, s70, s1
	s_add_u32 s44, s4, s0
	s_addc_u32 s45, s5, s1
	s_load_dwordx2 s[26:27], s[4:5], 0x350
	s_load_dwordx2 s[28:29], s[4:5], 0x0
	s_add_u32 s46, s24, -1
	s_addc_u32 s47, s25, -1
	s_cmp_lg_u32 s24, 0
	s_cselect_b64 s[48:49], -1, 0
	s_add_u32 s72, s4, 0xc8
	s_mov_b32 s30, s8
	s_mov_b32 s31, s9
	;; [unrolled: 1-line block ×8, first 2 shown]
	s_addc_u32 s73, s5, 0
	s_mov_b64 s[4:5], 0
	s_branch .LBB59_3
.LBB59_2:                               ;   in Loop: Header=BB59_3 Depth=1
	s_or_b64 exec, exec, s[0:1]
	v_add_co_u32_e32 v0, vcc, s71, v0
	v_addc_co_u32_e32 v1, vcc, 0, v1, vcc
	v_cmp_le_i64_e32 vcc, s[10:11], v[0:1]
	s_or_b64 s[4:5], vcc, s[4:5]
	s_andn2_b64 exec, exec, s[4:5]
	s_cbranch_execz .LBB59_44
.LBB59_3:                               ; =>This Loop Header: Depth=1
                                        ;     Child Loop BB59_21 Depth 2
	s_waitcnt lgkmcnt(0)
	v_or_b32_e32 v3, s27, v1
	v_cmp_ne_u64_e32 vcc, 0, v[2:3]
                                        ; implicit-def: $vgpr6_vgpr7
	s_and_saveexec_b64 s[0:1], vcc
	s_xor_b64 s[50:51], exec, s[0:1]
	s_cbranch_execz .LBB59_5
; %bb.4:                                ;   in Loop: Header=BB59_3 Depth=1
	s_ashr_i32 s52, s27, 31
	s_add_u32 s0, s26, s52
	s_mov_b32 s53, s52
	s_addc_u32 s1, s27, s52
	s_xor_b64 s[54:55], s[0:1], s[52:53]
	v_cvt_f32_u32_e32 v3, s54
	v_cvt_f32_u32_e32 v4, s55
	s_sub_u32 s53, 0, s54
	s_subb_u32 s56, 0, s55
	v_ashrrev_i32_e32 v7, 31, v1
	v_mac_f32_e32 v3, 0x4f800000, v4
	v_rcp_f32_e32 v3, v3
	v_mul_f32_e32 v3, 0x5f7ffffc, v3
	v_mul_f32_e32 v4, 0x2f800000, v3
	v_trunc_f32_e32 v4, v4
	v_mac_f32_e32 v3, 0xcf800000, v4
	v_cvt_u32_f32_e32 v4, v4
	v_cvt_u32_f32_e32 v3, v3
	v_readfirstlane_b32 s57, v4
	v_readfirstlane_b32 s0, v3
	s_mul_i32 s1, s53, s57
	s_mul_hi_u32 s59, s53, s0
	s_mul_i32 s58, s56, s0
	s_add_i32 s1, s59, s1
	s_add_i32 s1, s1, s58
	s_mul_i32 s60, s53, s0
	s_mul_i32 s59, s0, s1
	s_mul_hi_u32 s61, s0, s60
	s_mul_hi_u32 s58, s0, s1
	s_add_u32 s59, s61, s59
	s_addc_u32 s58, 0, s58
	s_mul_hi_u32 s62, s57, s60
	s_mul_i32 s60, s57, s60
	s_add_u32 s59, s59, s60
	s_mul_hi_u32 s61, s57, s1
	s_addc_u32 s58, s58, s62
	s_addc_u32 s59, s61, 0
	s_mul_i32 s1, s57, s1
	s_add_u32 s1, s58, s1
	s_addc_u32 s58, 0, s59
	s_add_u32 s59, s0, s1
	s_cselect_b64 s[0:1], -1, 0
	s_cmp_lg_u64 s[0:1], 0
	s_addc_u32 s57, s57, s58
	s_mul_i32 s0, s53, s57
	s_mul_hi_u32 s1, s53, s59
	s_add_i32 s0, s1, s0
	s_mul_i32 s56, s56, s59
	s_add_i32 s0, s0, s56
	s_mul_i32 s53, s53, s59
	s_mul_hi_u32 s56, s57, s53
	s_mul_i32 s58, s57, s53
	s_mul_i32 s61, s59, s0
	s_mul_hi_u32 s53, s59, s53
	s_mul_hi_u32 s60, s59, s0
	s_add_u32 s53, s53, s61
	s_addc_u32 s60, 0, s60
	s_add_u32 s53, s53, s58
	s_mul_hi_u32 s1, s57, s0
	s_addc_u32 s53, s60, s56
	s_addc_u32 s1, s1, 0
	s_mul_i32 s0, s57, s0
	s_add_u32 s0, s53, s0
	s_addc_u32 s53, 0, s1
	s_add_u32 s56, s59, s0
	s_cselect_b64 s[0:1], -1, 0
	s_cmp_lg_u64 s[0:1], 0
	v_add_co_u32_e32 v3, vcc, v0, v7
	s_addc_u32 s53, s57, s53
	v_xor_b32_e32 v8, v3, v7
	v_mad_u64_u32 v[3:4], s[0:1], v8, s53, 0
	v_mul_hi_u32 v6, v8, s56
	v_addc_co_u32_e32 v5, vcc, v1, v7, vcc
	v_xor_b32_e32 v9, v5, v7
	v_add_co_u32_e32 v10, vcc, v6, v3
	v_addc_co_u32_e32 v11, vcc, 0, v4, vcc
	v_mad_u64_u32 v[3:4], s[0:1], v9, s56, 0
	v_mad_u64_u32 v[5:6], s[0:1], v9, s53, 0
	v_add_co_u32_e32 v3, vcc, v10, v3
	v_addc_co_u32_e32 v3, vcc, v11, v4, vcc
	v_addc_co_u32_e32 v4, vcc, 0, v6, vcc
	v_add_co_u32_e32 v5, vcc, v3, v5
	v_addc_co_u32_e32 v6, vcc, 0, v4, vcc
	v_mul_lo_u32 v10, s55, v5
	v_mul_lo_u32 v11, s54, v6
	v_mad_u64_u32 v[3:4], s[0:1], s54, v5, 0
	v_add3_u32 v4, v4, v11, v10
	v_sub_u32_e32 v10, v9, v4
	v_mov_b32_e32 v11, s55
	v_sub_co_u32_e32 v3, vcc, v8, v3
	v_subb_co_u32_e64 v8, s[0:1], v10, v11, vcc
	v_subrev_co_u32_e64 v10, s[0:1], s54, v3
	v_subbrev_co_u32_e64 v8, s[0:1], 0, v8, s[0:1]
	v_cmp_le_u32_e64 s[0:1], s55, v8
	v_cndmask_b32_e64 v11, 0, -1, s[0:1]
	v_cmp_le_u32_e64 s[0:1], s54, v10
	v_cndmask_b32_e64 v10, 0, -1, s[0:1]
	v_cmp_eq_u32_e64 s[0:1], s55, v8
	v_cndmask_b32_e64 v8, v11, v10, s[0:1]
	v_add_co_u32_e64 v10, s[0:1], 2, v5
	v_subb_co_u32_e32 v4, vcc, v9, v4, vcc
	v_addc_co_u32_e64 v11, s[0:1], 0, v6, s[0:1]
	v_cmp_le_u32_e32 vcc, s55, v4
	v_add_co_u32_e64 v12, s[0:1], 1, v5
	v_cndmask_b32_e64 v9, 0, -1, vcc
	v_cmp_le_u32_e32 vcc, s54, v3
	v_addc_co_u32_e64 v13, s[0:1], 0, v6, s[0:1]
	v_cndmask_b32_e64 v3, 0, -1, vcc
	v_cmp_eq_u32_e32 vcc, s55, v4
	v_cmp_ne_u32_e64 s[0:1], 0, v8
	v_cndmask_b32_e32 v3, v9, v3, vcc
	v_cmp_ne_u32_e32 vcc, 0, v3
	v_cndmask_b32_e64 v4, v12, v10, s[0:1]
	v_cndmask_b32_e64 v8, v13, v11, s[0:1]
	v_cndmask_b32_e32 v4, v5, v4, vcc
	v_xor_b32_e32 v5, s52, v7
	v_cndmask_b32_e32 v3, v6, v8, vcc
	v_xor_b32_e32 v4, v4, v5
	v_xor_b32_e32 v3, v3, v5
	v_sub_co_u32_e32 v6, vcc, v4, v5
	v_subb_co_u32_e32 v7, vcc, v3, v5, vcc
.LBB59_5:                               ;   in Loop: Header=BB59_3 Depth=1
	s_andn2_saveexec_b64 s[0:1], s[50:51]
	s_cbranch_execz .LBB59_7
; %bb.6:                                ;   in Loop: Header=BB59_3 Depth=1
	v_cvt_f32_u32_e32 v3, s26
	s_sub_i32 s50, 0, s26
	v_mov_b32_e32 v7, v2
	v_rcp_iflag_f32_e32 v3, v3
	v_mul_f32_e32 v3, 0x4f7ffffe, v3
	v_cvt_u32_f32_e32 v3, v3
	v_mul_lo_u32 v4, s50, v3
	v_mul_hi_u32 v4, v3, v4
	v_add_u32_e32 v3, v3, v4
	v_mul_hi_u32 v3, v0, v3
	v_mul_lo_u32 v4, v3, s26
	v_add_u32_e32 v5, 1, v3
	v_sub_u32_e32 v4, v0, v4
	v_subrev_u32_e32 v6, s26, v4
	v_cmp_le_u32_e32 vcc, s26, v4
	v_cndmask_b32_e32 v4, v4, v6, vcc
	v_cndmask_b32_e32 v3, v3, v5, vcc
	v_add_u32_e32 v5, 1, v3
	v_cmp_le_u32_e32 vcc, s26, v4
	v_cndmask_b32_e32 v6, v3, v5, vcc
.LBB59_7:                               ;   in Loop: Header=BB59_3 Depth=1
	s_or_b64 exec, exec, s[0:1]
	v_or_b32_e32 v3, s13, v7
	v_cmp_ne_u64_e32 vcc, 0, v[2:3]
                                        ; implicit-def: $vgpr10_vgpr11
	s_and_saveexec_b64 s[0:1], vcc
	s_xor_b64 s[50:51], exec, s[0:1]
	s_cbranch_execz .LBB59_9
; %bb.8:                                ;   in Loop: Header=BB59_3 Depth=1
	s_ashr_i32 s52, s13, 31
	s_add_u32 s0, s12, s52
	s_mov_b32 s53, s52
	s_addc_u32 s1, s13, s52
	s_xor_b64 s[54:55], s[0:1], s[52:53]
	v_cvt_f32_u32_e32 v3, s54
	v_cvt_f32_u32_e32 v4, s55
	s_sub_u32 s53, 0, s54
	s_subb_u32 s56, 0, s55
	v_ashrrev_i32_e32 v5, 31, v7
	v_mac_f32_e32 v3, 0x4f800000, v4
	v_rcp_f32_e32 v3, v3
	v_mul_f32_e32 v3, 0x5f7ffffc, v3
	v_mul_f32_e32 v4, 0x2f800000, v3
	v_trunc_f32_e32 v4, v4
	v_mac_f32_e32 v3, 0xcf800000, v4
	v_cvt_u32_f32_e32 v4, v4
	v_cvt_u32_f32_e32 v3, v3
	v_readfirstlane_b32 s57, v4
	v_readfirstlane_b32 s0, v3
	s_mul_i32 s1, s53, s57
	s_mul_hi_u32 s59, s53, s0
	s_mul_i32 s58, s56, s0
	s_add_i32 s1, s59, s1
	s_add_i32 s1, s1, s58
	s_mul_i32 s60, s53, s0
	s_mul_i32 s59, s0, s1
	s_mul_hi_u32 s61, s0, s60
	s_mul_hi_u32 s58, s0, s1
	s_add_u32 s59, s61, s59
	s_addc_u32 s58, 0, s58
	s_mul_hi_u32 s62, s57, s60
	s_mul_i32 s60, s57, s60
	s_add_u32 s59, s59, s60
	s_mul_hi_u32 s61, s57, s1
	s_addc_u32 s58, s58, s62
	s_addc_u32 s59, s61, 0
	s_mul_i32 s1, s57, s1
	s_add_u32 s1, s58, s1
	s_addc_u32 s58, 0, s59
	s_add_u32 s59, s0, s1
	s_cselect_b64 s[0:1], -1, 0
	s_cmp_lg_u64 s[0:1], 0
	s_addc_u32 s57, s57, s58
	s_mul_i32 s0, s53, s57
	s_mul_hi_u32 s1, s53, s59
	s_add_i32 s0, s1, s0
	s_mul_i32 s56, s56, s59
	s_add_i32 s0, s0, s56
	s_mul_i32 s53, s53, s59
	s_mul_hi_u32 s56, s57, s53
	s_mul_i32 s58, s57, s53
	s_mul_i32 s61, s59, s0
	s_mul_hi_u32 s53, s59, s53
	s_mul_hi_u32 s60, s59, s0
	s_add_u32 s53, s53, s61
	s_addc_u32 s60, 0, s60
	s_add_u32 s53, s53, s58
	s_mul_hi_u32 s1, s57, s0
	s_addc_u32 s53, s60, s56
	s_addc_u32 s1, s1, 0
	s_mul_i32 s0, s57, s0
	s_add_u32 s0, s53, s0
	s_addc_u32 s53, 0, s1
	s_add_u32 s56, s59, s0
	s_cselect_b64 s[0:1], -1, 0
	s_cmp_lg_u64 s[0:1], 0
	v_add_co_u32_e32 v3, vcc, v6, v5
	s_addc_u32 s53, s57, s53
	v_xor_b32_e32 v10, v3, v5
	v_mad_u64_u32 v[3:4], s[0:1], v10, s53, 0
	v_mul_hi_u32 v9, v10, s56
	v_addc_co_u32_e32 v8, vcc, v7, v5, vcc
	v_xor_b32_e32 v11, v8, v5
	v_add_co_u32_e32 v12, vcc, v9, v3
	v_addc_co_u32_e32 v13, vcc, 0, v4, vcc
	v_mad_u64_u32 v[3:4], s[0:1], v11, s56, 0
	v_mad_u64_u32 v[8:9], s[0:1], v11, s53, 0
	v_add_co_u32_e32 v3, vcc, v12, v3
	v_addc_co_u32_e32 v3, vcc, v13, v4, vcc
	v_addc_co_u32_e32 v4, vcc, 0, v9, vcc
	v_add_co_u32_e32 v8, vcc, v3, v8
	v_addc_co_u32_e32 v9, vcc, 0, v4, vcc
	v_mul_lo_u32 v12, s55, v8
	v_mul_lo_u32 v13, s54, v9
	v_mad_u64_u32 v[3:4], s[0:1], s54, v8, 0
	v_xor_b32_e32 v5, s52, v5
	v_add3_u32 v4, v4, v13, v12
	v_sub_u32_e32 v12, v11, v4
	v_mov_b32_e32 v13, s55
	v_sub_co_u32_e32 v3, vcc, v10, v3
	v_subb_co_u32_e64 v10, s[0:1], v12, v13, vcc
	v_subrev_co_u32_e64 v12, s[0:1], s54, v3
	v_subbrev_co_u32_e64 v10, s[0:1], 0, v10, s[0:1]
	v_cmp_le_u32_e64 s[0:1], s55, v10
	v_cndmask_b32_e64 v13, 0, -1, s[0:1]
	v_cmp_le_u32_e64 s[0:1], s54, v12
	v_cndmask_b32_e64 v12, 0, -1, s[0:1]
	v_cmp_eq_u32_e64 s[0:1], s55, v10
	v_cndmask_b32_e64 v10, v13, v12, s[0:1]
	v_add_co_u32_e64 v12, s[0:1], 2, v8
	v_subb_co_u32_e32 v4, vcc, v11, v4, vcc
	v_addc_co_u32_e64 v13, s[0:1], 0, v9, s[0:1]
	v_cmp_le_u32_e32 vcc, s55, v4
	v_add_co_u32_e64 v14, s[0:1], 1, v8
	v_cndmask_b32_e64 v11, 0, -1, vcc
	v_cmp_le_u32_e32 vcc, s54, v3
	v_addc_co_u32_e64 v15, s[0:1], 0, v9, s[0:1]
	v_cndmask_b32_e64 v3, 0, -1, vcc
	v_cmp_eq_u32_e32 vcc, s55, v4
	v_cmp_ne_u32_e64 s[0:1], 0, v10
	v_cndmask_b32_e32 v3, v11, v3, vcc
	v_cmp_ne_u32_e32 vcc, 0, v3
	v_cndmask_b32_e64 v4, v14, v12, s[0:1]
	v_cndmask_b32_e64 v10, v15, v13, s[0:1]
	v_cndmask_b32_e32 v4, v8, v4, vcc
	v_cndmask_b32_e32 v3, v9, v10, vcc
	v_xor_b32_e32 v4, v4, v5
	v_xor_b32_e32 v3, v3, v5
	v_sub_co_u32_e32 v10, vcc, v4, v5
	v_subb_co_u32_e32 v11, vcc, v3, v5, vcc
.LBB59_9:                               ;   in Loop: Header=BB59_3 Depth=1
	s_andn2_saveexec_b64 s[0:1], s[50:51]
	s_cbranch_execz .LBB59_11
; %bb.10:                               ;   in Loop: Header=BB59_3 Depth=1
	v_cvt_f32_u32_e32 v3, s12
	s_sub_i32 s50, 0, s12
	v_mov_b32_e32 v11, v2
	v_rcp_iflag_f32_e32 v3, v3
	v_mul_f32_e32 v3, 0x4f7ffffe, v3
	v_cvt_u32_f32_e32 v3, v3
	v_mul_lo_u32 v4, s50, v3
	v_mul_hi_u32 v4, v3, v4
	v_add_u32_e32 v3, v3, v4
	v_mul_hi_u32 v3, v6, v3
	v_mul_lo_u32 v4, v3, s12
	v_add_u32_e32 v5, 1, v3
	v_sub_u32_e32 v4, v6, v4
	v_subrev_u32_e32 v8, s12, v4
	v_cmp_le_u32_e32 vcc, s12, v4
	v_cndmask_b32_e32 v4, v4, v8, vcc
	v_cndmask_b32_e32 v3, v3, v5, vcc
	v_add_u32_e32 v5, 1, v3
	v_cmp_le_u32_e32 vcc, s12, v4
	v_cndmask_b32_e32 v10, v3, v5, vcc
.LBB59_11:                              ;   in Loop: Header=BB59_3 Depth=1
	s_or_b64 exec, exec, s[0:1]
	v_mul_lo_u32 v5, v7, s26
	v_mul_lo_u32 v8, v6, s27
	v_mad_u64_u32 v[3:4], s[0:1], v6, s26, 0
	v_mul_lo_u32 v12, v11, s12
	v_mul_lo_u32 v13, v10, s13
	v_add3_u32 v5, v4, v8, v5
	v_mad_u64_u32 v[8:9], s[0:1], v10, s12, 0
	v_sub_co_u32_e32 v4, vcc, v0, v3
	v_subb_co_u32_e32 v5, vcc, v1, v5, vcc
	v_add3_u32 v3, v9, v13, v12
	v_mul_lo_u32 v9, s19, v4
	v_mul_lo_u32 v14, s18, v5
	v_mad_u64_u32 v[12:13], s[0:1], s18, v4, 0
	v_sub_co_u32_e32 v16, vcc, v6, v8
	v_subb_co_u32_e32 v17, vcc, v7, v3, vcc
	v_add3_u32 v13, v13, v14, v9
	v_mul_lo_u32 v3, s23, v4
	v_mul_lo_u32 v14, s22, v5
	v_mad_u64_u32 v[6:7], s[0:1], s22, v4, 0
	v_mad_u64_u32 v[8:9], s[0:1], s16, v16, v[12:13]
	v_mul_lo_u32 v12, s16, v17
	v_mul_lo_u32 v13, s17, v16
	v_add3_u32 v7, v7, v14, v3
	v_mad_u64_u32 v[6:7], s[0:1], s20, v16, v[6:7]
	v_add3_u32 v9, v13, v9, v12
	v_mul_lo_u32 v3, s20, v17
	v_mul_lo_u32 v12, s21, v16
	s_andn2_b64 vcc, exec, s[6:7]
	v_add3_u32 v7, v12, v7, v3
	s_cbranch_vccnz .LBB59_29
; %bb.12:                               ;   in Loop: Header=BB59_3 Depth=1
	s_andn2_b64 vcc, exec, s[40:41]
	s_cbranch_vccnz .LBB59_18
; %bb.13:                               ;   in Loop: Header=BB59_3 Depth=1
	s_load_dwordx2 s[50:51], s[42:43], 0x8
                                        ; implicit-def: $vgpr12_vgpr13
	s_waitcnt lgkmcnt(0)
	v_or_b32_e32 v3, s51, v11
	v_cmp_ne_u64_e32 vcc, 0, v[2:3]
	s_and_saveexec_b64 s[0:1], vcc
	s_xor_b64 s[52:53], exec, s[0:1]
	s_cbranch_execz .LBB59_15
; %bb.14:                               ;   in Loop: Header=BB59_3 Depth=1
	s_ashr_i32 s54, s51, 31
	s_add_u32 s0, s50, s54
	s_mov_b32 s55, s54
	s_addc_u32 s1, s51, s54
	s_xor_b64 s[56:57], s[0:1], s[54:55]
	v_cvt_f32_u32_e32 v3, s56
	v_cvt_f32_u32_e32 v12, s57
	s_sub_u32 s55, 0, s56
	s_subb_u32 s58, 0, s57
	v_mac_f32_e32 v3, 0x4f800000, v12
	v_rcp_f32_e32 v3, v3
	v_mul_f32_e32 v3, 0x5f7ffffc, v3
	v_mul_f32_e32 v12, 0x2f800000, v3
	v_trunc_f32_e32 v12, v12
	v_mac_f32_e32 v3, 0xcf800000, v12
	v_cvt_u32_f32_e32 v12, v12
	v_cvt_u32_f32_e32 v3, v3
	v_readfirstlane_b32 s59, v12
	v_readfirstlane_b32 s0, v3
	s_mul_i32 s1, s55, s59
	s_mul_hi_u32 s61, s55, s0
	s_mul_i32 s60, s58, s0
	s_add_i32 s1, s61, s1
	s_add_i32 s1, s1, s60
	s_mul_i32 s62, s55, s0
	s_mul_i32 s61, s0, s1
	s_mul_hi_u32 s63, s0, s62
	s_mul_hi_u32 s60, s0, s1
	s_add_u32 s61, s63, s61
	s_addc_u32 s60, 0, s60
	s_mul_hi_u32 s64, s59, s62
	s_mul_i32 s62, s59, s62
	s_add_u32 s61, s61, s62
	s_mul_hi_u32 s63, s59, s1
	s_addc_u32 s60, s60, s64
	s_addc_u32 s61, s63, 0
	s_mul_i32 s1, s59, s1
	s_add_u32 s1, s60, s1
	s_addc_u32 s60, 0, s61
	s_add_u32 s61, s0, s1
	s_cselect_b64 s[0:1], -1, 0
	s_cmp_lg_u64 s[0:1], 0
	s_addc_u32 s59, s59, s60
	s_mul_i32 s0, s55, s59
	s_mul_hi_u32 s1, s55, s61
	s_add_i32 s0, s1, s0
	s_mul_i32 s58, s58, s61
	s_add_i32 s0, s0, s58
	s_mul_i32 s55, s55, s61
	s_mul_hi_u32 s58, s59, s55
	s_mul_i32 s60, s59, s55
	s_mul_i32 s63, s61, s0
	s_mul_hi_u32 s55, s61, s55
	s_mul_hi_u32 s62, s61, s0
	s_add_u32 s55, s55, s63
	s_addc_u32 s62, 0, s62
	s_add_u32 s55, s55, s60
	s_mul_hi_u32 s1, s59, s0
	s_addc_u32 s55, s62, s58
	s_addc_u32 s1, s1, 0
	s_mul_i32 s0, s59, s0
	s_add_u32 s0, s55, s0
	s_addc_u32 s55, 0, s1
	s_add_u32 s58, s61, s0
	s_cselect_b64 s[0:1], -1, 0
	v_ashrrev_i32_e32 v3, 31, v11
	s_cmp_lg_u64 s[0:1], 0
	v_add_co_u32_e32 v12, vcc, v10, v3
	s_addc_u32 s55, s59, s55
	v_xor_b32_e32 v18, v12, v3
	v_mad_u64_u32 v[12:13], s[0:1], v18, s55, 0
	v_mul_hi_u32 v15, v18, s58
	v_addc_co_u32_e32 v14, vcc, v11, v3, vcc
	v_xor_b32_e32 v19, v14, v3
	v_add_co_u32_e32 v20, vcc, v15, v12
	v_addc_co_u32_e32 v21, vcc, 0, v13, vcc
	v_mad_u64_u32 v[12:13], s[0:1], v19, s58, 0
	v_mad_u64_u32 v[14:15], s[0:1], v19, s55, 0
	v_add_co_u32_e32 v12, vcc, v20, v12
	v_addc_co_u32_e32 v12, vcc, v21, v13, vcc
	v_addc_co_u32_e32 v13, vcc, 0, v15, vcc
	v_add_co_u32_e32 v14, vcc, v12, v14
	v_addc_co_u32_e32 v15, vcc, 0, v13, vcc
	v_mul_lo_u32 v20, s57, v14
	v_mul_lo_u32 v21, s56, v15
	v_mad_u64_u32 v[12:13], s[0:1], s56, v14, 0
	v_xor_b32_e32 v3, s54, v3
	v_add3_u32 v13, v13, v21, v20
	v_sub_u32_e32 v20, v19, v13
	v_mov_b32_e32 v21, s57
	v_sub_co_u32_e32 v12, vcc, v18, v12
	v_subb_co_u32_e64 v18, s[0:1], v20, v21, vcc
	v_subrev_co_u32_e64 v20, s[0:1], s56, v12
	v_subbrev_co_u32_e64 v18, s[0:1], 0, v18, s[0:1]
	v_cmp_le_u32_e64 s[0:1], s57, v18
	v_cndmask_b32_e64 v21, 0, -1, s[0:1]
	v_cmp_le_u32_e64 s[0:1], s56, v20
	v_cndmask_b32_e64 v20, 0, -1, s[0:1]
	v_cmp_eq_u32_e64 s[0:1], s57, v18
	v_cndmask_b32_e64 v18, v21, v20, s[0:1]
	v_add_co_u32_e64 v20, s[0:1], 2, v14
	v_subb_co_u32_e32 v13, vcc, v19, v13, vcc
	v_addc_co_u32_e64 v21, s[0:1], 0, v15, s[0:1]
	v_cmp_le_u32_e32 vcc, s57, v13
	v_add_co_u32_e64 v22, s[0:1], 1, v14
	v_cndmask_b32_e64 v19, 0, -1, vcc
	v_cmp_le_u32_e32 vcc, s56, v12
	v_addc_co_u32_e64 v23, s[0:1], 0, v15, s[0:1]
	v_cndmask_b32_e64 v12, 0, -1, vcc
	v_cmp_eq_u32_e32 vcc, s57, v13
	v_cmp_ne_u32_e64 s[0:1], 0, v18
	v_cndmask_b32_e32 v12, v19, v12, vcc
	v_cndmask_b32_e64 v18, v23, v21, s[0:1]
	v_cmp_ne_u32_e32 vcc, 0, v12
	v_cndmask_b32_e64 v13, v22, v20, s[0:1]
	v_cndmask_b32_e32 v12, v15, v18, vcc
	v_cndmask_b32_e32 v13, v14, v13, vcc
	v_xor_b32_e32 v14, v12, v3
	v_xor_b32_e32 v12, v13, v3
	v_sub_co_u32_e32 v12, vcc, v12, v3
	v_subb_co_u32_e32 v13, vcc, v14, v3, vcc
.LBB59_15:                              ;   in Loop: Header=BB59_3 Depth=1
	s_andn2_saveexec_b64 s[0:1], s[52:53]
	s_cbranch_execz .LBB59_17
; %bb.16:                               ;   in Loop: Header=BB59_3 Depth=1
	v_cvt_f32_u32_e32 v3, s50
	s_sub_i32 s52, 0, s50
	v_rcp_iflag_f32_e32 v3, v3
	v_mul_f32_e32 v3, 0x4f7ffffe, v3
	v_cvt_u32_f32_e32 v3, v3
	v_mul_lo_u32 v12, s52, v3
	v_mul_hi_u32 v12, v3, v12
	v_add_u32_e32 v3, v3, v12
	v_mul_hi_u32 v3, v10, v3
	v_mul_lo_u32 v12, v3, s50
	v_add_u32_e32 v13, 1, v3
	v_sub_u32_e32 v12, v10, v12
	v_subrev_u32_e32 v14, s50, v12
	v_cmp_le_u32_e32 vcc, s50, v12
	v_cndmask_b32_e32 v12, v12, v14, vcc
	v_cndmask_b32_e32 v3, v3, v13, vcc
	v_add_u32_e32 v13, 1, v3
	v_cmp_le_u32_e32 vcc, s50, v12
	v_cndmask_b32_e32 v12, v3, v13, vcc
	v_mov_b32_e32 v13, v2
.LBB59_17:                              ;   in Loop: Header=BB59_3 Depth=1
	s_or_b64 exec, exec, s[0:1]
	v_mul_lo_u32 v3, v13, s50
	v_mul_lo_u32 v18, v12, s51
	v_mad_u64_u32 v[14:15], s[0:1], v12, s50, 0
	s_load_dwordx2 s[0:1], s[42:43], 0xd0
	s_load_dwordx2 s[50:51], s[44:45], 0xd0
	v_add3_u32 v3, v15, v18, v3
	v_sub_co_u32_e32 v10, vcc, v10, v14
	v_subb_co_u32_e32 v3, vcc, v11, v3, vcc
	s_waitcnt lgkmcnt(0)
	v_mul_lo_u32 v11, s0, v3
	v_mul_lo_u32 v14, s1, v10
	v_mad_u64_u32 v[8:9], s[0:1], s0, v10, v[8:9]
	v_mul_lo_u32 v3, s50, v3
	v_mul_lo_u32 v15, s51, v10
	v_mad_u64_u32 v[6:7], s[0:1], s50, v10, v[6:7]
	v_add3_u32 v9, v14, v9, v11
	v_mov_b32_e32 v10, v12
	v_add3_u32 v7, v15, v7, v3
	v_mov_b32_e32 v11, v13
	s_mov_b64 s[0:1], s[46:47]
	s_andn2_b64 vcc, exec, s[48:49]
	s_cbranch_vccz .LBB59_19
	s_branch .LBB59_29
.LBB59_18:                              ;   in Loop: Header=BB59_3 Depth=1
	s_mov_b64 s[0:1], s[24:25]
	s_andn2_b64 vcc, exec, s[48:49]
	s_cbranch_vccnz .LBB59_29
.LBB59_19:                              ;   in Loop: Header=BB59_3 Depth=1
	s_lshl_b64 s[52:53], s[0:1], 3
	s_add_u32 s50, s72, s52
	s_addc_u32 s51, s73, s53
	s_add_u32 s52, s33, s52
	s_addc_u32 s53, s70, s53
	;; [unrolled: 2-line block ×3, first 2 shown]
	s_branch .LBB59_21
.LBB59_20:                              ;   in Loop: Header=BB59_21 Depth=2
	s_or_b64 exec, exec, s[0:1]
	v_mul_lo_u32 v3, v13, s56
	v_mul_lo_u32 v20, v12, s57
	v_mad_u64_u32 v[18:19], s[0:1], v12, s56, 0
	v_mul_lo_u32 v21, v15, s58
	v_mul_lo_u32 v22, v14, s59
	v_add3_u32 v3, v19, v20, v3
	v_sub_co_u32_e32 v10, vcc, v10, v18
	v_subb_co_u32_e32 v3, vcc, v11, v3, vcc
	v_mul_lo_u32 v18, s62, v3
	v_mul_lo_u32 v19, s63, v10
	v_mad_u64_u32 v[8:9], s[0:1], s62, v10, v[8:9]
	v_mul_lo_u32 v3, s60, v3
	v_mul_lo_u32 v20, s61, v10
	v_mad_u64_u32 v[6:7], s[0:1], s60, v10, v[6:7]
	v_mad_u64_u32 v[10:11], s[0:1], v14, s58, 0
	s_load_dwordx2 s[0:1], s[52:53], 0xc8
	s_load_dwordx2 s[56:57], s[50:51], 0x0
	v_add3_u32 v7, v20, v7, v3
	v_add3_u32 v3, v11, v22, v21
	v_sub_co_u32_e32 v10, vcc, v12, v10
	v_add3_u32 v9, v19, v9, v18
	v_subb_co_u32_e32 v3, vcc, v13, v3, vcc
	s_add_u32 s50, s50, -16
	s_waitcnt lgkmcnt(0)
	v_mad_u64_u32 v[8:9], s[58:59], s0, v10, v[8:9]
	v_mul_lo_u32 v11, s0, v3
	v_mul_lo_u32 v12, s1, v10
	v_mad_u64_u32 v[6:7], s[0:1], s56, v10, v[6:7]
	v_mul_lo_u32 v3, s56, v3
	v_mul_lo_u32 v10, s57, v10
	s_addc_u32 s51, s51, -1
	s_add_u32 s52, s52, -16
	s_addc_u32 s53, s53, -1
	s_add_u32 s54, s54, -2
	v_add3_u32 v9, v12, v9, v11
	v_add3_u32 v7, v10, v7, v3
	s_addc_u32 s55, s55, -1
	v_mov_b32_e32 v10, v14
	s_cmp_eq_u64 s[54:55], 0
	v_mov_b32_e32 v11, v15
	s_cbranch_scc1 .LBB59_29
.LBB59_21:                              ;   Parent Loop BB59_3 Depth=1
                                        ; =>  This Inner Loop Header: Depth=2
	s_load_dwordx2 s[56:57], s[52:53], 0x8
                                        ; implicit-def: $vgpr12_vgpr13
	s_waitcnt lgkmcnt(0)
	v_or_b32_e32 v3, s57, v11
	v_cmp_ne_u64_e32 vcc, 0, v[2:3]
	s_and_saveexec_b64 s[0:1], vcc
	s_xor_b64 s[58:59], exec, s[0:1]
	s_cbranch_execz .LBB59_23
; %bb.22:                               ;   in Loop: Header=BB59_21 Depth=2
	s_ashr_i32 s60, s57, 31
	s_add_u32 s0, s56, s60
	s_mov_b32 s61, s60
	s_addc_u32 s1, s57, s60
	s_xor_b64 s[62:63], s[0:1], s[60:61]
	v_cvt_f32_u32_e32 v3, s62
	v_cvt_f32_u32_e32 v12, s63
	s_sub_u32 s61, 0, s62
	s_subb_u32 s64, 0, s63
	v_mac_f32_e32 v3, 0x4f800000, v12
	v_rcp_f32_e32 v3, v3
	v_mul_f32_e32 v3, 0x5f7ffffc, v3
	v_mul_f32_e32 v12, 0x2f800000, v3
	v_trunc_f32_e32 v12, v12
	v_mac_f32_e32 v3, 0xcf800000, v12
	v_cvt_u32_f32_e32 v12, v12
	v_cvt_u32_f32_e32 v3, v3
	v_readfirstlane_b32 s65, v12
	v_readfirstlane_b32 s0, v3
	s_mul_i32 s1, s61, s65
	s_mul_hi_u32 s67, s61, s0
	s_mul_i32 s66, s64, s0
	s_add_i32 s1, s67, s1
	s_add_i32 s1, s1, s66
	s_mul_i32 s68, s61, s0
	s_mul_i32 s67, s0, s1
	s_mul_hi_u32 s69, s0, s68
	s_mul_hi_u32 s66, s0, s1
	s_add_u32 s67, s69, s67
	s_addc_u32 s66, 0, s66
	s_mul_hi_u32 s74, s65, s68
	s_mul_i32 s68, s65, s68
	s_add_u32 s67, s67, s68
	s_mul_hi_u32 s69, s65, s1
	s_addc_u32 s66, s66, s74
	s_addc_u32 s67, s69, 0
	s_mul_i32 s1, s65, s1
	s_add_u32 s1, s66, s1
	s_addc_u32 s66, 0, s67
	s_add_u32 s67, s0, s1
	s_cselect_b64 s[0:1], -1, 0
	s_cmp_lg_u64 s[0:1], 0
	s_addc_u32 s65, s65, s66
	s_mul_i32 s0, s61, s65
	s_mul_hi_u32 s1, s61, s67
	s_add_i32 s0, s1, s0
	s_mul_i32 s64, s64, s67
	s_add_i32 s0, s0, s64
	s_mul_i32 s61, s61, s67
	s_mul_hi_u32 s64, s65, s61
	s_mul_i32 s66, s65, s61
	s_mul_i32 s69, s67, s0
	s_mul_hi_u32 s61, s67, s61
	s_mul_hi_u32 s68, s67, s0
	s_add_u32 s61, s61, s69
	s_addc_u32 s68, 0, s68
	s_add_u32 s61, s61, s66
	s_mul_hi_u32 s1, s65, s0
	s_addc_u32 s61, s68, s64
	s_addc_u32 s1, s1, 0
	s_mul_i32 s0, s65, s0
	s_add_u32 s0, s61, s0
	s_addc_u32 s61, 0, s1
	s_add_u32 s64, s67, s0
	s_cselect_b64 s[0:1], -1, 0
	v_ashrrev_i32_e32 v3, 31, v11
	s_cmp_lg_u64 s[0:1], 0
	v_add_co_u32_e32 v12, vcc, v10, v3
	s_addc_u32 s61, s65, s61
	v_xor_b32_e32 v18, v12, v3
	v_mad_u64_u32 v[12:13], s[0:1], v18, s61, 0
	v_mul_hi_u32 v15, v18, s64
	v_addc_co_u32_e32 v14, vcc, v11, v3, vcc
	v_xor_b32_e32 v19, v14, v3
	v_add_co_u32_e32 v20, vcc, v15, v12
	v_addc_co_u32_e32 v21, vcc, 0, v13, vcc
	v_mad_u64_u32 v[12:13], s[0:1], v19, s64, 0
	v_mad_u64_u32 v[14:15], s[0:1], v19, s61, 0
	v_add_co_u32_e32 v12, vcc, v20, v12
	v_addc_co_u32_e32 v12, vcc, v21, v13, vcc
	v_addc_co_u32_e32 v13, vcc, 0, v15, vcc
	v_add_co_u32_e32 v14, vcc, v12, v14
	v_addc_co_u32_e32 v15, vcc, 0, v13, vcc
	v_mul_lo_u32 v20, s63, v14
	v_mul_lo_u32 v21, s62, v15
	v_mad_u64_u32 v[12:13], s[0:1], s62, v14, 0
	v_xor_b32_e32 v3, s60, v3
	v_add3_u32 v13, v13, v21, v20
	v_sub_u32_e32 v20, v19, v13
	v_mov_b32_e32 v21, s63
	v_sub_co_u32_e32 v12, vcc, v18, v12
	v_subb_co_u32_e64 v18, s[0:1], v20, v21, vcc
	v_subrev_co_u32_e64 v20, s[0:1], s62, v12
	v_subbrev_co_u32_e64 v18, s[0:1], 0, v18, s[0:1]
	v_cmp_le_u32_e64 s[0:1], s63, v18
	v_cndmask_b32_e64 v21, 0, -1, s[0:1]
	v_cmp_le_u32_e64 s[0:1], s62, v20
	v_cndmask_b32_e64 v20, 0, -1, s[0:1]
	v_cmp_eq_u32_e64 s[0:1], s63, v18
	v_cndmask_b32_e64 v18, v21, v20, s[0:1]
	v_add_co_u32_e64 v20, s[0:1], 2, v14
	v_subb_co_u32_e32 v13, vcc, v19, v13, vcc
	v_addc_co_u32_e64 v21, s[0:1], 0, v15, s[0:1]
	v_cmp_le_u32_e32 vcc, s63, v13
	v_add_co_u32_e64 v22, s[0:1], 1, v14
	v_cndmask_b32_e64 v19, 0, -1, vcc
	v_cmp_le_u32_e32 vcc, s62, v12
	v_addc_co_u32_e64 v23, s[0:1], 0, v15, s[0:1]
	v_cndmask_b32_e64 v12, 0, -1, vcc
	v_cmp_eq_u32_e32 vcc, s63, v13
	v_cmp_ne_u32_e64 s[0:1], 0, v18
	v_cndmask_b32_e32 v12, v19, v12, vcc
	v_cndmask_b32_e64 v18, v23, v21, s[0:1]
	v_cmp_ne_u32_e32 vcc, 0, v12
	v_cndmask_b32_e64 v13, v22, v20, s[0:1]
	v_cndmask_b32_e32 v12, v15, v18, vcc
	v_cndmask_b32_e32 v13, v14, v13, vcc
	v_xor_b32_e32 v14, v12, v3
	v_xor_b32_e32 v12, v13, v3
	v_sub_co_u32_e32 v12, vcc, v12, v3
	v_subb_co_u32_e32 v13, vcc, v14, v3, vcc
.LBB59_23:                              ;   in Loop: Header=BB59_21 Depth=2
	s_andn2_saveexec_b64 s[0:1], s[58:59]
	s_cbranch_execz .LBB59_25
; %bb.24:                               ;   in Loop: Header=BB59_21 Depth=2
	v_cvt_f32_u32_e32 v3, s56
	s_sub_i32 s58, 0, s56
	v_rcp_iflag_f32_e32 v3, v3
	v_mul_f32_e32 v3, 0x4f7ffffe, v3
	v_cvt_u32_f32_e32 v3, v3
	v_mul_lo_u32 v12, s58, v3
	v_mul_hi_u32 v12, v3, v12
	v_add_u32_e32 v3, v3, v12
	v_mul_hi_u32 v3, v10, v3
	v_mul_lo_u32 v12, v3, s56
	v_add_u32_e32 v13, 1, v3
	v_sub_u32_e32 v12, v10, v12
	v_subrev_u32_e32 v14, s56, v12
	v_cmp_le_u32_e32 vcc, s56, v12
	v_cndmask_b32_e32 v12, v12, v14, vcc
	v_cndmask_b32_e32 v3, v3, v13, vcc
	v_add_u32_e32 v13, 1, v3
	v_cmp_le_u32_e32 vcc, s56, v12
	v_cndmask_b32_e32 v12, v3, v13, vcc
	v_mov_b32_e32 v13, v2
.LBB59_25:                              ;   in Loop: Header=BB59_21 Depth=2
	s_or_b64 exec, exec, s[0:1]
	s_load_dwordx2 s[58:59], s[52:53], 0x0
	s_load_dwordx2 s[62:63], s[52:53], 0xd0
	;; [unrolled: 1-line block ×3, first 2 shown]
                                        ; implicit-def: $vgpr14_vgpr15
	s_waitcnt lgkmcnt(0)
	v_or_b32_e32 v3, s59, v13
	v_cmp_ne_u64_e32 vcc, 0, v[2:3]
	s_and_saveexec_b64 s[0:1], vcc
	s_xor_b64 s[64:65], exec, s[0:1]
	s_cbranch_execz .LBB59_27
; %bb.26:                               ;   in Loop: Header=BB59_21 Depth=2
	s_ashr_i32 s66, s59, 31
	s_add_u32 s0, s58, s66
	s_mov_b32 s67, s66
	s_addc_u32 s1, s59, s66
	s_xor_b64 s[68:69], s[0:1], s[66:67]
	v_cvt_f32_u32_e32 v3, s68
	v_cvt_f32_u32_e32 v14, s69
	s_sub_u32 s67, 0, s68
	s_subb_u32 s74, 0, s69
	v_mac_f32_e32 v3, 0x4f800000, v14
	v_rcp_f32_e32 v3, v3
	v_mul_f32_e32 v3, 0x5f7ffffc, v3
	v_mul_f32_e32 v14, 0x2f800000, v3
	v_trunc_f32_e32 v14, v14
	v_mac_f32_e32 v3, 0xcf800000, v14
	v_cvt_u32_f32_e32 v14, v14
	v_cvt_u32_f32_e32 v3, v3
	v_readfirstlane_b32 s75, v14
	v_readfirstlane_b32 s0, v3
	s_mul_i32 s1, s67, s75
	s_mul_hi_u32 s77, s67, s0
	s_mul_i32 s76, s74, s0
	s_add_i32 s1, s77, s1
	s_add_i32 s1, s1, s76
	s_mul_i32 s78, s67, s0
	s_mul_i32 s77, s0, s1
	s_mul_hi_u32 s79, s0, s78
	s_mul_hi_u32 s76, s0, s1
	s_add_u32 s77, s79, s77
	s_addc_u32 s76, 0, s76
	s_mul_hi_u32 s80, s75, s78
	s_mul_i32 s78, s75, s78
	s_add_u32 s77, s77, s78
	s_mul_hi_u32 s79, s75, s1
	s_addc_u32 s76, s76, s80
	s_addc_u32 s77, s79, 0
	s_mul_i32 s1, s75, s1
	s_add_u32 s1, s76, s1
	s_addc_u32 s76, 0, s77
	s_add_u32 s77, s0, s1
	s_cselect_b64 s[0:1], -1, 0
	s_cmp_lg_u64 s[0:1], 0
	s_addc_u32 s75, s75, s76
	s_mul_i32 s0, s67, s75
	s_mul_hi_u32 s1, s67, s77
	s_add_i32 s0, s1, s0
	s_mul_i32 s74, s74, s77
	s_add_i32 s0, s0, s74
	s_mul_i32 s67, s67, s77
	s_mul_hi_u32 s74, s75, s67
	s_mul_i32 s76, s75, s67
	s_mul_i32 s79, s77, s0
	s_mul_hi_u32 s67, s77, s67
	s_mul_hi_u32 s78, s77, s0
	s_add_u32 s67, s67, s79
	s_addc_u32 s78, 0, s78
	s_add_u32 s67, s67, s76
	s_mul_hi_u32 s1, s75, s0
	s_addc_u32 s67, s78, s74
	s_addc_u32 s1, s1, 0
	s_mul_i32 s0, s75, s0
	s_add_u32 s0, s67, s0
	s_addc_u32 s67, 0, s1
	s_add_u32 s74, s77, s0
	s_cselect_b64 s[0:1], -1, 0
	v_ashrrev_i32_e32 v3, 31, v13
	s_cmp_lg_u64 s[0:1], 0
	v_add_co_u32_e32 v14, vcc, v12, v3
	s_addc_u32 s67, s75, s67
	v_xor_b32_e32 v20, v14, v3
	v_mad_u64_u32 v[14:15], s[0:1], v20, s67, 0
	v_mul_hi_u32 v19, v20, s74
	v_addc_co_u32_e32 v18, vcc, v13, v3, vcc
	v_xor_b32_e32 v21, v18, v3
	v_add_co_u32_e32 v22, vcc, v19, v14
	v_addc_co_u32_e32 v23, vcc, 0, v15, vcc
	v_mad_u64_u32 v[14:15], s[0:1], v21, s74, 0
	v_mad_u64_u32 v[18:19], s[0:1], v21, s67, 0
	v_add_co_u32_e32 v14, vcc, v22, v14
	v_addc_co_u32_e32 v14, vcc, v23, v15, vcc
	v_addc_co_u32_e32 v15, vcc, 0, v19, vcc
	v_add_co_u32_e32 v18, vcc, v14, v18
	v_addc_co_u32_e32 v19, vcc, 0, v15, vcc
	v_mul_lo_u32 v22, s69, v18
	v_mul_lo_u32 v23, s68, v19
	v_mad_u64_u32 v[14:15], s[0:1], s68, v18, 0
	v_xor_b32_e32 v3, s66, v3
	v_add3_u32 v15, v15, v23, v22
	v_sub_u32_e32 v22, v21, v15
	v_mov_b32_e32 v23, s69
	v_sub_co_u32_e32 v14, vcc, v20, v14
	v_subb_co_u32_e64 v20, s[0:1], v22, v23, vcc
	v_subrev_co_u32_e64 v22, s[0:1], s68, v14
	v_subbrev_co_u32_e64 v20, s[0:1], 0, v20, s[0:1]
	v_cmp_le_u32_e64 s[0:1], s69, v20
	v_cndmask_b32_e64 v23, 0, -1, s[0:1]
	v_cmp_le_u32_e64 s[0:1], s68, v22
	v_cndmask_b32_e64 v22, 0, -1, s[0:1]
	v_cmp_eq_u32_e64 s[0:1], s69, v20
	v_cndmask_b32_e64 v20, v23, v22, s[0:1]
	v_add_co_u32_e64 v22, s[0:1], 2, v18
	v_subb_co_u32_e32 v15, vcc, v21, v15, vcc
	v_addc_co_u32_e64 v23, s[0:1], 0, v19, s[0:1]
	v_cmp_le_u32_e32 vcc, s69, v15
	v_add_co_u32_e64 v24, s[0:1], 1, v18
	v_cndmask_b32_e64 v21, 0, -1, vcc
	v_cmp_le_u32_e32 vcc, s68, v14
	v_addc_co_u32_e64 v25, s[0:1], 0, v19, s[0:1]
	v_cndmask_b32_e64 v14, 0, -1, vcc
	v_cmp_eq_u32_e32 vcc, s69, v15
	v_cmp_ne_u32_e64 s[0:1], 0, v20
	v_cndmask_b32_e32 v14, v21, v14, vcc
	v_cndmask_b32_e64 v20, v25, v23, s[0:1]
	v_cmp_ne_u32_e32 vcc, 0, v14
	v_cndmask_b32_e64 v15, v24, v22, s[0:1]
	v_cndmask_b32_e32 v14, v19, v20, vcc
	v_cndmask_b32_e32 v15, v18, v15, vcc
	v_xor_b32_e32 v18, v14, v3
	v_xor_b32_e32 v14, v15, v3
	v_sub_co_u32_e32 v14, vcc, v14, v3
	v_subb_co_u32_e32 v15, vcc, v18, v3, vcc
.LBB59_27:                              ;   in Loop: Header=BB59_21 Depth=2
	s_andn2_saveexec_b64 s[0:1], s[64:65]
	s_cbranch_execz .LBB59_20
; %bb.28:                               ;   in Loop: Header=BB59_21 Depth=2
	v_cvt_f32_u32_e32 v3, s58
	s_sub_i32 s64, 0, s58
	v_rcp_iflag_f32_e32 v3, v3
	v_mul_f32_e32 v3, 0x4f7ffffe, v3
	v_cvt_u32_f32_e32 v3, v3
	v_mul_lo_u32 v14, s64, v3
	v_mul_hi_u32 v14, v3, v14
	v_add_u32_e32 v3, v3, v14
	v_mul_hi_u32 v3, v12, v3
	v_mul_lo_u32 v14, v3, s58
	v_add_u32_e32 v15, 1, v3
	v_sub_u32_e32 v14, v12, v14
	v_subrev_u32_e32 v18, s58, v14
	v_cmp_le_u32_e32 vcc, s58, v14
	v_cndmask_b32_e32 v14, v14, v18, vcc
	v_cndmask_b32_e32 v3, v3, v15, vcc
	v_add_u32_e32 v15, 1, v3
	v_cmp_le_u32_e32 vcc, s58, v14
	v_cndmask_b32_e32 v14, v3, v15, vcc
	v_mov_b32_e32 v15, v2
	s_branch .LBB59_20
.LBB59_29:                              ;   in Loop: Header=BB59_3 Depth=1
	v_sub_co_u32_e32 v10, vcc, v4, v16
	v_subb_co_u32_e32 v11, vcc, v5, v17, vcc
	v_add_co_u32_e32 v12, vcc, 4, v10
	v_addc_co_u32_e32 v13, vcc, 0, v11, vcc
	v_cmp_le_i64_e32 vcc, s[8:9], v[12:13]
	v_mov_b32_e32 v3, 0
	s_and_saveexec_b64 s[50:51], vcc
	s_cbranch_execz .LBB59_39
; %bb.30:                               ;   in Loop: Header=BB59_3 Depth=1
	v_cmp_gt_i64_e32 vcc, s[14:15], v[4:5]
	v_mov_b32_e32 v3, 0
	v_mov_b32_e32 v12, 0
	;; [unrolled: 1-line block ×4, first 2 shown]
	s_and_saveexec_b64 s[0:1], vcc
	s_cbranch_execz .LBB59_38
; %bb.31:                               ;   in Loop: Header=BB59_3 Depth=1
	v_mov_b32_e32 v3, s3
	v_add_co_u32_e32 v8, vcc, s2, v8
	v_addc_co_u32_e32 v9, vcc, v3, v9, vcc
	global_load_ubyte v3, v[8:9], off
	v_add_co_u32_e32 v13, vcc, 1, v4
	v_addc_co_u32_e32 v14, vcc, 0, v5, vcc
	v_cmp_gt_i64_e32 vcc, s[14:15], v[13:14]
	v_mov_b32_e32 v12, 0
	v_mov_b32_e32 v13, 0
	;; [unrolled: 1-line block ×3, first 2 shown]
	s_and_saveexec_b64 s[52:53], vcc
	s_xor_b64 s[52:53], exec, s[52:53]
	s_cbranch_execz .LBB59_37
; %bb.32:                               ;   in Loop: Header=BB59_3 Depth=1
	v_mov_b32_e32 v12, s19
	v_add_co_u32_e32 v8, vcc, s18, v8
	v_addc_co_u32_e32 v9, vcc, v9, v12, vcc
	global_load_ubyte v12, v[8:9], off
	v_add_co_u32_e32 v14, vcc, 2, v4
	v_addc_co_u32_e32 v15, vcc, 0, v5, vcc
	v_cmp_gt_i64_e32 vcc, s[14:15], v[14:15]
	v_mov_b32_e32 v13, 0
	v_mov_b32_e32 v14, 0
	s_and_saveexec_b64 s[54:55], vcc
	s_xor_b64 s[54:55], exec, s[54:55]
	s_cbranch_execz .LBB59_36
; %bb.33:                               ;   in Loop: Header=BB59_3 Depth=1
	v_mov_b32_e32 v13, s19
	v_add_co_u32_e32 v8, vcc, s18, v8
	v_addc_co_u32_e32 v9, vcc, v9, v13, vcc
	global_load_ubyte v13, v[8:9], off
	v_add_co_u32_e32 v14, vcc, 3, v4
	v_addc_co_u32_e32 v15, vcc, 0, v5, vcc
	v_cmp_gt_i64_e32 vcc, s[14:15], v[14:15]
	v_mov_b32_e32 v14, 0
	s_and_saveexec_b64 s[56:57], vcc
	s_xor_b64 s[56:57], exec, s[56:57]
	s_cbranch_execz .LBB59_35
; %bb.34:                               ;   in Loop: Header=BB59_3 Depth=1
	v_mov_b32_e32 v14, s19
	v_add_co_u32_e32 v8, vcc, s18, v8
	v_addc_co_u32_e32 v9, vcc, v9, v14, vcc
	global_load_ubyte v14, v[8:9], off
.LBB59_35:                              ;   in Loop: Header=BB59_3 Depth=1
	s_or_b64 exec, exec, s[56:57]
.LBB59_36:                              ;   in Loop: Header=BB59_3 Depth=1
	s_or_b64 exec, exec, s[54:55]
.LBB59_37:                              ;   in Loop: Header=BB59_3 Depth=1
	s_or_b64 exec, exec, s[52:53]
.LBB59_38:                              ;   in Loop: Header=BB59_3 Depth=1
	s_or_b64 exec, exec, s[0:1]
	v_add_co_u32_e32 v8, vcc, 1, v10
	v_addc_co_u32_e32 v9, vcc, 0, v11, vcc
	v_add_co_u32_e32 v15, vcc, 2, v10
	v_addc_co_u32_e32 v16, vcc, 0, v11, vcc
	v_cmp_le_i64_e32 vcc, s[34:35], v[8:9]
	v_add_co_u32_e64 v8, s[0:1], 3, v10
	s_waitcnt vmcnt(0)
	v_cndmask_b32_sdwa v12, v2, v12, vcc dst_sel:BYTE_1 dst_unused:UNUSED_PAD src0_sel:DWORD src1_sel:DWORD
	v_cmp_le_i64_e32 vcc, s[30:31], v[10:11]
	v_addc_co_u32_e64 v9, s[0:1], 0, v11, s[0:1]
	v_cndmask_b32_e32 v3, 0, v3, vcc
	v_cmp_le_i64_e32 vcc, s[38:39], v[8:9]
	v_or_b32_sdwa v3, v3, v12 dst_sel:DWORD dst_unused:UNUSED_PAD src0_sel:BYTE_0 src1_sel:DWORD
	v_cndmask_b32_sdwa v8, v2, v14, vcc dst_sel:BYTE_1 dst_unused:UNUSED_PAD src0_sel:DWORD src1_sel:DWORD
	v_cmp_le_i64_e32 vcc, s[36:37], v[15:16]
	v_cndmask_b32_e32 v9, 0, v13, vcc
	v_or_b32_sdwa v8, v9, v8 dst_sel:WORD_1 dst_unused:UNUSED_PAD src0_sel:BYTE_0 src1_sel:DWORD
	v_or_b32_sdwa v3, v3, v8 dst_sel:DWORD dst_unused:UNUSED_PAD src0_sel:WORD_0 src1_sel:DWORD
.LBB59_39:                              ;   in Loop: Header=BB59_3 Depth=1
	s_or_b64 exec, exec, s[50:51]
	v_cmp_gt_i64_e32 vcc, s[14:15], v[4:5]
	s_and_saveexec_b64 s[0:1], vcc
	s_cbranch_execz .LBB59_2
; %bb.40:                               ;   in Loop: Header=BB59_3 Depth=1
	v_mov_b32_e32 v8, s29
	v_add_co_u32_e32 v6, vcc, s28, v6
	v_addc_co_u32_e32 v7, vcc, v8, v7, vcc
	v_add_co_u32_e32 v8, vcc, 1, v4
	v_addc_co_u32_e32 v9, vcc, 0, v5, vcc
	v_cmp_gt_i64_e32 vcc, s[14:15], v[8:9]
	global_store_byte v[6:7], v3, off
	s_and_saveexec_b64 s[50:51], vcc
	s_xor_b64 s[50:51], exec, s[50:51]
	s_cbranch_execz .LBB59_2
; %bb.41:                               ;   in Loop: Header=BB59_3 Depth=1
	v_mov_b32_e32 v8, s23
	v_add_co_u32_e32 v6, vcc, s22, v6
	v_addc_co_u32_e32 v7, vcc, v7, v8, vcc
	v_add_co_u32_e32 v8, vcc, 2, v4
	v_addc_co_u32_e32 v9, vcc, 0, v5, vcc
	v_cmp_gt_i64_e32 vcc, s[14:15], v[8:9]
	v_lshrrev_b32_e32 v10, 8, v3
	global_store_byte v[6:7], v10, off
	s_and_saveexec_b64 s[50:51], vcc
	s_xor_b64 s[50:51], exec, s[50:51]
	s_cbranch_execz .LBB59_2
; %bb.42:                               ;   in Loop: Header=BB59_3 Depth=1
	v_mov_b32_e32 v8, s23
	v_add_co_u32_e32 v6, vcc, s22, v6
	v_addc_co_u32_e32 v7, vcc, v7, v8, vcc
	v_add_co_u32_e32 v4, vcc, 3, v4
	v_addc_co_u32_e32 v5, vcc, 0, v5, vcc
	v_cmp_gt_i64_e32 vcc, s[14:15], v[4:5]
	global_store_byte_d16_hi v[6:7], v3, off
	s_and_saveexec_b64 s[50:51], vcc
	s_xor_b64 s[50:51], exec, s[50:51]
	s_cbranch_execz .LBB59_2
; %bb.43:                               ;   in Loop: Header=BB59_3 Depth=1
	v_lshrrev_b32_e32 v5, 24, v3
	v_mov_b32_e32 v4, s23
	v_add_co_u32_e32 v3, vcc, s22, v6
	v_addc_co_u32_e32 v4, vcc, v7, v4, vcc
	global_store_byte v[3:4], v5, off
	s_branch .LBB59_2
.LBB59_44:
	s_endpgm
	.section	.rodata,"a",@progbits
	.p2align	6, 0x0
	.amdhsa_kernel _ZN2at6native16triu_tril_kernelIalLb1ELi4ELb0EEEvNS_4cuda6detail10TensorInfoIT_T0_EENS4_IKS5_S6_EEllS6_
		.amdhsa_group_segment_fixed_size 0
		.amdhsa_private_segment_fixed_size 0
		.amdhsa_kernarg_size 1112
		.amdhsa_user_sgpr_count 6
		.amdhsa_user_sgpr_private_segment_buffer 1
		.amdhsa_user_sgpr_dispatch_ptr 0
		.amdhsa_user_sgpr_queue_ptr 0
		.amdhsa_user_sgpr_kernarg_segment_ptr 1
		.amdhsa_user_sgpr_dispatch_id 0
		.amdhsa_user_sgpr_flat_scratch_init 0
		.amdhsa_user_sgpr_private_segment_size 0
		.amdhsa_uses_dynamic_stack 0
		.amdhsa_system_sgpr_private_segment_wavefront_offset 0
		.amdhsa_system_sgpr_workgroup_id_x 1
		.amdhsa_system_sgpr_workgroup_id_y 0
		.amdhsa_system_sgpr_workgroup_id_z 0
		.amdhsa_system_sgpr_workgroup_info 0
		.amdhsa_system_vgpr_workitem_id 0
		.amdhsa_next_free_vgpr 26
		.amdhsa_next_free_sgpr 81
		.amdhsa_reserve_vcc 1
		.amdhsa_reserve_flat_scratch 0
		.amdhsa_float_round_mode_32 0
		.amdhsa_float_round_mode_16_64 0
		.amdhsa_float_denorm_mode_32 3
		.amdhsa_float_denorm_mode_16_64 3
		.amdhsa_dx10_clamp 1
		.amdhsa_ieee_mode 1
		.amdhsa_fp16_overflow 0
		.amdhsa_exception_fp_ieee_invalid_op 0
		.amdhsa_exception_fp_denorm_src 0
		.amdhsa_exception_fp_ieee_div_zero 0
		.amdhsa_exception_fp_ieee_overflow 0
		.amdhsa_exception_fp_ieee_underflow 0
		.amdhsa_exception_fp_ieee_inexact 0
		.amdhsa_exception_int_div_zero 0
	.end_amdhsa_kernel
	.section	.text._ZN2at6native16triu_tril_kernelIalLb1ELi4ELb0EEEvNS_4cuda6detail10TensorInfoIT_T0_EENS4_IKS5_S6_EEllS6_,"axG",@progbits,_ZN2at6native16triu_tril_kernelIalLb1ELi4ELb0EEEvNS_4cuda6detail10TensorInfoIT_T0_EENS4_IKS5_S6_EEllS6_,comdat
.Lfunc_end59:
	.size	_ZN2at6native16triu_tril_kernelIalLb1ELi4ELb0EEEvNS_4cuda6detail10TensorInfoIT_T0_EENS4_IKS5_S6_EEllS6_, .Lfunc_end59-_ZN2at6native16triu_tril_kernelIalLb1ELi4ELb0EEEvNS_4cuda6detail10TensorInfoIT_T0_EENS4_IKS5_S6_EEllS6_
                                        ; -- End function
	.set _ZN2at6native16triu_tril_kernelIalLb1ELi4ELb0EEEvNS_4cuda6detail10TensorInfoIT_T0_EENS4_IKS5_S6_EEllS6_.num_vgpr, 26
	.set _ZN2at6native16triu_tril_kernelIalLb1ELi4ELb0EEEvNS_4cuda6detail10TensorInfoIT_T0_EENS4_IKS5_S6_EEllS6_.num_agpr, 0
	.set _ZN2at6native16triu_tril_kernelIalLb1ELi4ELb0EEEvNS_4cuda6detail10TensorInfoIT_T0_EENS4_IKS5_S6_EEllS6_.numbered_sgpr, 81
	.set _ZN2at6native16triu_tril_kernelIalLb1ELi4ELb0EEEvNS_4cuda6detail10TensorInfoIT_T0_EENS4_IKS5_S6_EEllS6_.num_named_barrier, 0
	.set _ZN2at6native16triu_tril_kernelIalLb1ELi4ELb0EEEvNS_4cuda6detail10TensorInfoIT_T0_EENS4_IKS5_S6_EEllS6_.private_seg_size, 0
	.set _ZN2at6native16triu_tril_kernelIalLb1ELi4ELb0EEEvNS_4cuda6detail10TensorInfoIT_T0_EENS4_IKS5_S6_EEllS6_.uses_vcc, 1
	.set _ZN2at6native16triu_tril_kernelIalLb1ELi4ELb0EEEvNS_4cuda6detail10TensorInfoIT_T0_EENS4_IKS5_S6_EEllS6_.uses_flat_scratch, 0
	.set _ZN2at6native16triu_tril_kernelIalLb1ELi4ELb0EEEvNS_4cuda6detail10TensorInfoIT_T0_EENS4_IKS5_S6_EEllS6_.has_dyn_sized_stack, 0
	.set _ZN2at6native16triu_tril_kernelIalLb1ELi4ELb0EEEvNS_4cuda6detail10TensorInfoIT_T0_EENS4_IKS5_S6_EEllS6_.has_recursion, 0
	.set _ZN2at6native16triu_tril_kernelIalLb1ELi4ELb0EEEvNS_4cuda6detail10TensorInfoIT_T0_EENS4_IKS5_S6_EEllS6_.has_indirect_call, 0
	.section	.AMDGPU.csdata,"",@progbits
; Kernel info:
; codeLenInByte = 5300
; TotalNumSgprs: 85
; NumVgprs: 26
; ScratchSize: 0
; MemoryBound: 0
; FloatMode: 240
; IeeeMode: 1
; LDSByteSize: 0 bytes/workgroup (compile time only)
; SGPRBlocks: 10
; VGPRBlocks: 6
; NumSGPRsForWavesPerEU: 85
; NumVGPRsForWavesPerEU: 26
; Occupancy: 9
; WaveLimiterHint : 0
; COMPUTE_PGM_RSRC2:SCRATCH_EN: 0
; COMPUTE_PGM_RSRC2:USER_SGPR: 6
; COMPUTE_PGM_RSRC2:TRAP_HANDLER: 0
; COMPUTE_PGM_RSRC2:TGID_X_EN: 1
; COMPUTE_PGM_RSRC2:TGID_Y_EN: 0
; COMPUTE_PGM_RSRC2:TGID_Z_EN: 0
; COMPUTE_PGM_RSRC2:TIDIG_COMP_CNT: 0
	.section	.text._ZN2at6native16triu_tril_kernelIiiLb1ELi2ELb1EEEvNS_4cuda6detail10TensorInfoIT_T0_EENS4_IKS5_S6_EEllS6_,"axG",@progbits,_ZN2at6native16triu_tril_kernelIiiLb1ELi2ELb1EEEvNS_4cuda6detail10TensorInfoIT_T0_EENS4_IKS5_S6_EEllS6_,comdat
	.protected	_ZN2at6native16triu_tril_kernelIiiLb1ELi2ELb1EEEvNS_4cuda6detail10TensorInfoIT_T0_EENS4_IKS5_S6_EEllS6_ ; -- Begin function _ZN2at6native16triu_tril_kernelIiiLb1ELi2ELb1EEEvNS_4cuda6detail10TensorInfoIT_T0_EENS4_IKS5_S6_EEllS6_
	.globl	_ZN2at6native16triu_tril_kernelIiiLb1ELi2ELb1EEEvNS_4cuda6detail10TensorInfoIT_T0_EENS4_IKS5_S6_EEllS6_
	.p2align	8
	.type	_ZN2at6native16triu_tril_kernelIiiLb1ELi2ELb1EEEvNS_4cuda6detail10TensorInfoIT_T0_EENS4_IKS5_S6_EEllS6_,@function
_ZN2at6native16triu_tril_kernelIiiLb1ELi2ELb1EEEvNS_4cuda6detail10TensorInfoIT_T0_EENS4_IKS5_S6_EEllS6_: ; @_ZN2at6native16triu_tril_kernelIiiLb1ELi2ELb1EEEvNS_4cuda6detail10TensorInfoIT_T0_EENS4_IKS5_S6_EEllS6_
; %bb.0:
	s_load_dword s2, s[4:5], 0x1d4
	s_load_dwordx4 s[8:11], s[4:5], 0x1b0
	s_add_u32 s0, s4, 0x1c8
	v_mov_b32_e32 v2, 0
	s_addc_u32 s1, s5, 0
	s_waitcnt lgkmcnt(0)
	s_and_b32 s7, s2, 0xffff
	v_mov_b32_e32 v1, v2
	v_mov_b32_e32 v3, s6
	v_mad_u64_u32 v[0:1], s[2:3], s7, v3, v[0:1]
	v_lshlrev_b64 v[0:1], 1, v[0:1]
	v_cmp_gt_i64_e32 vcc, s[10:11], v[0:1]
	s_and_saveexec_b64 s[2:3], vcc
	s_cbranch_execz .LBB60_61
; %bb.1:
	s_load_dword s33, s[4:5], 0x1c0
	s_load_dword s16, s[4:5], 0x1a8
	s_add_u32 s42, s4, 0xd8
	s_addc_u32 s43, s5, 0
	s_load_dword s6, s[0:1], 0x0
	s_waitcnt lgkmcnt(0)
	s_ashr_i32 s44, s33, 31
	s_ashr_i32 s17, s16, 31
	s_lshl_b64 s[0:1], s[16:17], 2
	s_add_u32 s2, s42, s0
	s_addc_u32 s3, s43, s1
	s_load_dword s45, s[2:3], 0x0
	s_load_dwordx2 s[12:13], s[4:5], 0x0
	s_mul_i32 s18, s6, s7
	v_cmp_gt_i64_e64 s[6:7], s[16:17], 2
	s_mov_b32 s17, 0
	s_waitcnt lgkmcnt(0)
	s_ashr_i32 s46, s45, 31
	s_add_u32 s14, s4, s0
	s_addc_u32 s15, s5, s1
	s_add_i32 s0, s16, 6
	s_add_i32 s47, s16, -3
	s_lshl_b32 s48, s18, 1
	s_and_b32 s49, s0, 7
	s_and_b32 s0, s16, 7
	s_cmp_lg_u32 s0, 2
	s_cselect_b64 s[18:19], -1, 0
	s_cmp_gt_u32 s47, 6
	s_cselect_b64 s[20:21], -1, 0
	s_mov_b64 s[22:23], 0
	s_ashr_i32 s24, s44, 31
	s_branch .LBB60_3
.LBB60_2:                               ;   in Loop: Header=BB60_3 Depth=1
	s_or_b64 exec, exec, s[26:27]
	v_add_co_u32_e32 v0, vcc, s48, v0
	v_addc_co_u32_e32 v1, vcc, 0, v1, vcc
	v_cmp_le_i64_e32 vcc, s[10:11], v[0:1]
	s_or_b64 s[22:23], vcc, s[22:23]
	s_andn2_b64 exec, exec, s[22:23]
	s_cbranch_execz .LBB60_61
.LBB60_3:                               ; =>This Loop Header: Depth=1
                                        ;     Child Loop BB60_14 Depth 2
                                        ;     Child Loop BB60_23 Depth 2
	v_or_b32_e32 v3, s44, v1
	v_cmp_ne_u64_e32 vcc, 0, v[2:3]
                                        ; implicit-def: $vgpr4_vgpr5
	s_and_saveexec_b64 s[0:1], vcc
	s_xor_b64 s[26:27], exec, s[0:1]
	s_cbranch_execz .LBB60_5
; %bb.4:                                ;   in Loop: Header=BB60_3 Depth=1
	s_add_u32 s0, s33, s24
	s_mov_b32 s25, s24
	s_addc_u32 s1, s44, s24
	s_xor_b64 s[28:29], s[0:1], s[24:25]
	v_cvt_f32_u32_e32 v3, s28
	v_cvt_f32_u32_e32 v4, s29
	s_sub_u32 s16, 0, s28
	s_subb_u32 s25, 0, s29
	v_ashrrev_i32_e32 v7, 31, v1
	v_mac_f32_e32 v3, 0x4f800000, v4
	v_rcp_f32_e32 v3, v3
	v_mul_f32_e32 v3, 0x5f7ffffc, v3
	v_mul_f32_e32 v4, 0x2f800000, v3
	v_trunc_f32_e32 v4, v4
	v_mac_f32_e32 v3, 0xcf800000, v4
	v_cvt_u32_f32_e32 v4, v4
	v_cvt_u32_f32_e32 v3, v3
	v_readfirstlane_b32 s30, v4
	v_readfirstlane_b32 s0, v3
	s_mul_i32 s1, s16, s30
	s_mul_hi_u32 s34, s16, s0
	s_mul_i32 s31, s25, s0
	s_add_i32 s1, s34, s1
	s_add_i32 s1, s1, s31
	s_mul_i32 s35, s16, s0
	s_mul_i32 s34, s0, s1
	s_mul_hi_u32 s36, s0, s35
	s_mul_hi_u32 s31, s0, s1
	s_add_u32 s34, s36, s34
	s_addc_u32 s31, 0, s31
	s_mul_hi_u32 s37, s30, s35
	s_mul_i32 s35, s30, s35
	s_add_u32 s34, s34, s35
	s_mul_hi_u32 s36, s30, s1
	s_addc_u32 s31, s31, s37
	s_addc_u32 s34, s36, 0
	s_mul_i32 s1, s30, s1
	s_add_u32 s1, s31, s1
	s_addc_u32 s31, 0, s34
	s_add_u32 s34, s0, s1
	s_cselect_b64 s[0:1], -1, 0
	s_cmp_lg_u64 s[0:1], 0
	s_addc_u32 s30, s30, s31
	s_mul_i32 s0, s16, s30
	s_mul_hi_u32 s1, s16, s34
	s_add_i32 s0, s1, s0
	s_mul_i32 s25, s25, s34
	s_add_i32 s0, s0, s25
	s_mul_i32 s16, s16, s34
	s_mul_hi_u32 s25, s30, s16
	s_mul_i32 s31, s30, s16
	s_mul_i32 s36, s34, s0
	s_mul_hi_u32 s16, s34, s16
	s_mul_hi_u32 s35, s34, s0
	s_add_u32 s16, s16, s36
	s_addc_u32 s35, 0, s35
	s_add_u32 s16, s16, s31
	s_mul_hi_u32 s1, s30, s0
	s_addc_u32 s16, s35, s25
	s_addc_u32 s1, s1, 0
	s_mul_i32 s0, s30, s0
	s_add_u32 s0, s16, s0
	s_addc_u32 s16, 0, s1
	s_add_u32 s25, s34, s0
	s_cselect_b64 s[0:1], -1, 0
	s_cmp_lg_u64 s[0:1], 0
	v_add_co_u32_e32 v3, vcc, v0, v7
	s_addc_u32 s16, s30, s16
	v_xor_b32_e32 v8, v3, v7
	v_mad_u64_u32 v[3:4], s[0:1], v8, s16, 0
	v_mul_hi_u32 v6, v8, s25
	v_addc_co_u32_e32 v5, vcc, v1, v7, vcc
	v_xor_b32_e32 v9, v5, v7
	v_add_co_u32_e32 v10, vcc, v6, v3
	v_addc_co_u32_e32 v11, vcc, 0, v4, vcc
	v_mad_u64_u32 v[3:4], s[0:1], v9, s25, 0
	v_mad_u64_u32 v[5:6], s[0:1], v9, s16, 0
	v_add_co_u32_e32 v3, vcc, v10, v3
	v_addc_co_u32_e32 v3, vcc, v11, v4, vcc
	v_addc_co_u32_e32 v4, vcc, 0, v6, vcc
	v_add_co_u32_e32 v5, vcc, v3, v5
	v_addc_co_u32_e32 v6, vcc, 0, v4, vcc
	v_mul_lo_u32 v10, s29, v5
	v_mul_lo_u32 v11, s28, v6
	v_mad_u64_u32 v[3:4], s[0:1], s28, v5, 0
	v_add3_u32 v4, v4, v11, v10
	v_sub_u32_e32 v10, v9, v4
	v_mov_b32_e32 v11, s29
	v_sub_co_u32_e32 v3, vcc, v8, v3
	v_subb_co_u32_e64 v8, s[0:1], v10, v11, vcc
	v_subrev_co_u32_e64 v10, s[0:1], s28, v3
	v_subbrev_co_u32_e64 v8, s[0:1], 0, v8, s[0:1]
	v_cmp_le_u32_e64 s[0:1], s29, v8
	v_cndmask_b32_e64 v11, 0, -1, s[0:1]
	v_cmp_le_u32_e64 s[0:1], s28, v10
	v_cndmask_b32_e64 v10, 0, -1, s[0:1]
	v_cmp_eq_u32_e64 s[0:1], s29, v8
	v_cndmask_b32_e64 v8, v11, v10, s[0:1]
	v_add_co_u32_e64 v10, s[0:1], 2, v5
	v_subb_co_u32_e32 v4, vcc, v9, v4, vcc
	v_addc_co_u32_e64 v11, s[0:1], 0, v6, s[0:1]
	v_cmp_le_u32_e32 vcc, s29, v4
	v_add_co_u32_e64 v12, s[0:1], 1, v5
	v_cndmask_b32_e64 v9, 0, -1, vcc
	v_cmp_le_u32_e32 vcc, s28, v3
	v_addc_co_u32_e64 v13, s[0:1], 0, v6, s[0:1]
	v_cndmask_b32_e64 v3, 0, -1, vcc
	v_cmp_eq_u32_e32 vcc, s29, v4
	v_cmp_ne_u32_e64 s[0:1], 0, v8
	v_cndmask_b32_e32 v3, v9, v3, vcc
	v_cmp_ne_u32_e32 vcc, 0, v3
	v_cndmask_b32_e64 v4, v12, v10, s[0:1]
	v_cndmask_b32_e64 v8, v13, v11, s[0:1]
	v_cndmask_b32_e32 v4, v5, v4, vcc
	v_xor_b32_e32 v5, s24, v7
	v_cndmask_b32_e32 v3, v6, v8, vcc
	v_xor_b32_e32 v4, v4, v5
	v_xor_b32_e32 v3, v3, v5
	v_sub_co_u32_e32 v4, vcc, v4, v5
	v_subb_co_u32_e32 v5, vcc, v3, v5, vcc
.LBB60_5:                               ;   in Loop: Header=BB60_3 Depth=1
	s_andn2_saveexec_b64 s[0:1], s[26:27]
	s_cbranch_execz .LBB60_7
; %bb.6:                                ;   in Loop: Header=BB60_3 Depth=1
	v_cvt_f32_u32_e32 v3, s33
	s_sub_i32 s16, 0, s33
	v_rcp_iflag_f32_e32 v3, v3
	v_mul_f32_e32 v3, 0x4f7ffffe, v3
	v_cvt_u32_f32_e32 v3, v3
	v_mul_lo_u32 v4, s16, v3
	v_mul_hi_u32 v4, v3, v4
	v_add_u32_e32 v3, v3, v4
	v_mul_hi_u32 v3, v0, v3
	v_mul_lo_u32 v4, v3, s33
	v_add_u32_e32 v5, 1, v3
	v_sub_u32_e32 v4, v0, v4
	v_subrev_u32_e32 v6, s33, v4
	v_cmp_le_u32_e32 vcc, s33, v4
	v_cndmask_b32_e32 v4, v4, v6, vcc
	v_cndmask_b32_e32 v3, v3, v5, vcc
	v_add_u32_e32 v5, 1, v3
	v_cmp_le_u32_e32 vcc, s33, v4
	v_cndmask_b32_e32 v4, v3, v5, vcc
	v_mov_b32_e32 v5, v2
.LBB60_7:                               ;   in Loop: Header=BB60_3 Depth=1
	s_or_b64 exec, exec, s[0:1]
	v_or_b32_e32 v3, s46, v5
	v_cmp_ne_u64_e32 vcc, 0, v[2:3]
                                        ; implicit-def: $vgpr6_vgpr7
	s_and_saveexec_b64 s[0:1], vcc
	s_xor_b64 s[26:27], exec, s[0:1]
	s_cbranch_execz .LBB60_9
; %bb.8:                                ;   in Loop: Header=BB60_3 Depth=1
	s_ashr_i32 s28, s46, 31
	s_add_u32 s0, s45, s28
	s_mov_b32 s29, s28
	s_addc_u32 s1, s46, s28
	s_xor_b64 s[30:31], s[0:1], s[28:29]
	v_cvt_f32_u32_e32 v3, s30
	v_cvt_f32_u32_e32 v6, s31
	s_sub_u32 s16, 0, s30
	s_subb_u32 s25, 0, s31
	v_mac_f32_e32 v3, 0x4f800000, v6
	v_rcp_f32_e32 v3, v3
	v_mul_f32_e32 v3, 0x5f7ffffc, v3
	v_mul_f32_e32 v6, 0x2f800000, v3
	v_trunc_f32_e32 v6, v6
	v_mac_f32_e32 v3, 0xcf800000, v6
	v_cvt_u32_f32_e32 v6, v6
	v_cvt_u32_f32_e32 v3, v3
	v_readfirstlane_b32 s29, v6
	v_readfirstlane_b32 s0, v3
	s_mul_i32 s1, s16, s29
	s_mul_hi_u32 s35, s16, s0
	s_mul_i32 s34, s25, s0
	s_add_i32 s1, s35, s1
	s_add_i32 s1, s1, s34
	s_mul_i32 s36, s16, s0
	s_mul_i32 s35, s0, s1
	s_mul_hi_u32 s37, s0, s36
	s_mul_hi_u32 s34, s0, s1
	s_add_u32 s35, s37, s35
	s_addc_u32 s34, 0, s34
	s_mul_hi_u32 s38, s29, s36
	s_mul_i32 s36, s29, s36
	s_add_u32 s35, s35, s36
	s_mul_hi_u32 s37, s29, s1
	s_addc_u32 s34, s34, s38
	s_addc_u32 s35, s37, 0
	s_mul_i32 s1, s29, s1
	s_add_u32 s1, s34, s1
	s_addc_u32 s34, 0, s35
	s_add_u32 s35, s0, s1
	s_cselect_b64 s[0:1], -1, 0
	s_cmp_lg_u64 s[0:1], 0
	s_addc_u32 s29, s29, s34
	s_mul_i32 s0, s16, s29
	s_mul_hi_u32 s1, s16, s35
	s_add_i32 s0, s1, s0
	s_mul_i32 s25, s25, s35
	s_add_i32 s0, s0, s25
	s_mul_i32 s16, s16, s35
	s_mul_hi_u32 s25, s29, s16
	s_mul_i32 s34, s29, s16
	s_mul_i32 s37, s35, s0
	s_mul_hi_u32 s16, s35, s16
	s_mul_hi_u32 s36, s35, s0
	s_add_u32 s16, s16, s37
	s_addc_u32 s36, 0, s36
	s_add_u32 s16, s16, s34
	s_mul_hi_u32 s1, s29, s0
	s_addc_u32 s16, s36, s25
	s_addc_u32 s1, s1, 0
	s_mul_i32 s0, s29, s0
	s_add_u32 s0, s16, s0
	s_addc_u32 s16, 0, s1
	s_add_u32 s25, s35, s0
	s_cselect_b64 s[0:1], -1, 0
	v_ashrrev_i32_e32 v3, 31, v5
	s_cmp_lg_u64 s[0:1], 0
	v_add_co_u32_e32 v6, vcc, v4, v3
	s_addc_u32 s16, s29, s16
	v_xor_b32_e32 v9, v6, v3
	v_addc_co_u32_e32 v7, vcc, v5, v3, vcc
	v_mad_u64_u32 v[5:6], s[0:1], v9, s16, 0
	v_mul_hi_u32 v8, v9, s25
	v_xor_b32_e32 v10, v7, v3
	v_xor_b32_e32 v3, s28, v3
	v_add_co_u32_e32 v11, vcc, v8, v5
	v_addc_co_u32_e32 v12, vcc, 0, v6, vcc
	v_mad_u64_u32 v[5:6], s[0:1], v10, s25, 0
	v_mad_u64_u32 v[7:8], s[0:1], v10, s16, 0
	v_add_co_u32_e32 v5, vcc, v11, v5
	v_addc_co_u32_e32 v5, vcc, v12, v6, vcc
	v_addc_co_u32_e32 v6, vcc, 0, v8, vcc
	v_add_co_u32_e32 v7, vcc, v5, v7
	v_addc_co_u32_e32 v8, vcc, 0, v6, vcc
	v_mul_lo_u32 v11, s31, v7
	v_mul_lo_u32 v12, s30, v8
	v_mad_u64_u32 v[5:6], s[0:1], s30, v7, 0
	v_add3_u32 v6, v6, v12, v11
	v_sub_u32_e32 v11, v10, v6
	v_mov_b32_e32 v12, s31
	v_sub_co_u32_e32 v5, vcc, v9, v5
	v_subb_co_u32_e64 v9, s[0:1], v11, v12, vcc
	v_subrev_co_u32_e64 v11, s[0:1], s30, v5
	v_subbrev_co_u32_e64 v9, s[0:1], 0, v9, s[0:1]
	v_cmp_le_u32_e64 s[0:1], s31, v9
	v_cndmask_b32_e64 v12, 0, -1, s[0:1]
	v_cmp_le_u32_e64 s[0:1], s30, v11
	v_cndmask_b32_e64 v11, 0, -1, s[0:1]
	v_cmp_eq_u32_e64 s[0:1], s31, v9
	v_cndmask_b32_e64 v9, v12, v11, s[0:1]
	v_add_co_u32_e64 v11, s[0:1], 2, v7
	v_subb_co_u32_e32 v6, vcc, v10, v6, vcc
	v_addc_co_u32_e64 v12, s[0:1], 0, v8, s[0:1]
	v_cmp_le_u32_e32 vcc, s31, v6
	v_add_co_u32_e64 v13, s[0:1], 1, v7
	v_cndmask_b32_e64 v10, 0, -1, vcc
	v_cmp_le_u32_e32 vcc, s30, v5
	v_addc_co_u32_e64 v14, s[0:1], 0, v8, s[0:1]
	v_cndmask_b32_e64 v5, 0, -1, vcc
	v_cmp_eq_u32_e32 vcc, s31, v6
	v_cmp_ne_u32_e64 s[0:1], 0, v9
	v_cndmask_b32_e32 v5, v10, v5, vcc
	v_cmp_ne_u32_e32 vcc, 0, v5
	v_cndmask_b32_e64 v6, v13, v11, s[0:1]
	v_cndmask_b32_e64 v9, v14, v12, s[0:1]
	v_cndmask_b32_e32 v6, v7, v6, vcc
	v_cndmask_b32_e32 v5, v8, v9, vcc
	v_xor_b32_e32 v6, v6, v3
	v_xor_b32_e32 v5, v5, v3
	v_sub_co_u32_e32 v6, vcc, v6, v3
	v_subb_co_u32_e32 v7, vcc, v5, v3, vcc
.LBB60_9:                               ;   in Loop: Header=BB60_3 Depth=1
	s_andn2_saveexec_b64 s[0:1], s[26:27]
	s_cbranch_execz .LBB60_11
; %bb.10:                               ;   in Loop: Header=BB60_3 Depth=1
	v_cvt_f32_u32_e32 v3, s45
	s_sub_i32 s16, 0, s45
	v_rcp_iflag_f32_e32 v3, v3
	v_mul_f32_e32 v3, 0x4f7ffffe, v3
	v_cvt_u32_f32_e32 v3, v3
	v_mul_lo_u32 v5, s16, v3
	v_mul_hi_u32 v5, v3, v5
	v_add_u32_e32 v3, v3, v5
	v_mul_hi_u32 v3, v4, v3
	v_mul_lo_u32 v5, v3, s45
	v_add_u32_e32 v6, 1, v3
	v_sub_u32_e32 v5, v4, v5
	v_subrev_u32_e32 v7, s45, v5
	v_cmp_le_u32_e32 vcc, s45, v5
	v_cndmask_b32_e32 v5, v5, v7, vcc
	v_cndmask_b32_e32 v3, v3, v6, vcc
	v_add_u32_e32 v6, 1, v3
	v_cmp_le_u32_e32 vcc, s45, v5
	v_cndmask_b32_e32 v6, v3, v6, vcc
	v_mov_b32_e32 v7, v2
.LBB60_11:                              ;   in Loop: Header=BB60_3 Depth=1
	s_or_b64 exec, exec, s[0:1]
	v_mad_u64_u32 v[8:9], s[0:1], v4, s33, 0
	v_mad_u64_u32 v[9:10], s[0:1], v6, s45, 0
	v_sub_co_u32_e32 v25, vcc, v0, v8
	v_sub_co_u32_e32 v24, vcc, v4, v9
	v_sub_u32_e32 v3, v25, v24
	v_ashrrev_i32_e32 v4, 31, v3
	v_cmp_gt_i64_e32 vcc, s[8:9], v[3:4]
	s_and_saveexec_b64 s[26:27], vcc
	s_cbranch_execz .LBB60_2
; %bb.12:                               ;   in Loop: Header=BB60_3 Depth=1
	s_load_dwordx2 s[28:29], s[14:15], 0x64
	s_andn2_b64 vcc, exec, s[6:7]
	s_waitcnt lgkmcnt(0)
	v_mul_lo_u32 v3, s29, v25
	v_mad_u64_u32 v[4:5], s[0:1], s28, v24, v[3:4]
	s_cbranch_vccnz .LBB60_57
; %bb.13:                               ;   in Loop: Header=BB60_3 Depth=1
	s_andn2_b64 vcc, exec, s[18:19]
	s_mov_b32 s25, s49
	s_mov_b32 s16, s47
	;; [unrolled: 1-line block ×3, first 2 shown]
	s_cbranch_vccnz .LBB60_21
.LBB60_14:                              ;   Parent Loop BB60_3 Depth=1
                                        ; =>  This Inner Loop Header: Depth=2
	s_lshl_b64 s[30:31], s[16:17], 2
	s_add_u32 s0, s42, s30
	s_addc_u32 s1, s43, s31
	s_load_dword s28, s[0:1], 0x8
                                        ; implicit-def: $vgpr8_vgpr9
	s_waitcnt lgkmcnt(0)
	s_ashr_i32 s0, s28, 31
	v_or_b32_e32 v3, s0, v7
	v_cmp_ne_u64_e32 vcc, 0, v[2:3]
	s_and_saveexec_b64 s[34:35], vcc
	s_xor_b64 s[34:35], exec, s[34:35]
	s_cbranch_execz .LBB60_16
; %bb.15:                               ;   in Loop: Header=BB60_14 Depth=2
	s_ashr_i32 s36, s0, 31
	s_add_u32 s38, s28, s36
	s_mov_b32 s37, s36
	s_addc_u32 s39, s0, s36
	s_xor_b64 s[38:39], s[38:39], s[36:37]
	v_cvt_f32_u32_e32 v3, s38
	v_cvt_f32_u32_e32 v5, s39
	s_sub_u32 s37, 0, s38
	s_subb_u32 s40, 0, s39
	v_mac_f32_e32 v3, 0x4f800000, v5
	v_rcp_f32_e32 v3, v3
	v_mul_f32_e32 v3, 0x5f7ffffc, v3
	v_mul_f32_e32 v5, 0x2f800000, v3
	v_trunc_f32_e32 v5, v5
	v_mac_f32_e32 v3, 0xcf800000, v5
	v_cvt_u32_f32_e32 v5, v5
	v_cvt_u32_f32_e32 v3, v3
	v_readfirstlane_b32 s41, v5
	v_readfirstlane_b32 s0, v3
	s_mul_i32 s1, s37, s41
	s_mul_hi_u32 s51, s37, s0
	s_mul_i32 s50, s40, s0
	s_add_i32 s1, s51, s1
	s_add_i32 s1, s1, s50
	s_mul_i32 s52, s37, s0
	s_mul_i32 s51, s0, s1
	s_mul_hi_u32 s53, s0, s52
	s_mul_hi_u32 s50, s0, s1
	s_add_u32 s51, s53, s51
	s_addc_u32 s50, 0, s50
	s_mul_hi_u32 s54, s41, s52
	s_mul_i32 s52, s41, s52
	s_add_u32 s51, s51, s52
	s_mul_hi_u32 s53, s41, s1
	s_addc_u32 s50, s50, s54
	s_addc_u32 s51, s53, 0
	s_mul_i32 s1, s41, s1
	s_add_u32 s1, s50, s1
	s_addc_u32 s50, 0, s51
	s_add_u32 s51, s0, s1
	s_cselect_b64 s[0:1], -1, 0
	s_cmp_lg_u64 s[0:1], 0
	s_addc_u32 s41, s41, s50
	s_mul_i32 s0, s37, s41
	s_mul_hi_u32 s1, s37, s51
	s_add_i32 s0, s1, s0
	s_mul_i32 s40, s40, s51
	s_add_i32 s0, s0, s40
	s_mul_i32 s37, s37, s51
	s_mul_hi_u32 s40, s41, s37
	s_mul_i32 s50, s41, s37
	s_mul_i32 s53, s51, s0
	s_mul_hi_u32 s37, s51, s37
	s_mul_hi_u32 s52, s51, s0
	s_add_u32 s37, s37, s53
	s_addc_u32 s52, 0, s52
	s_add_u32 s37, s37, s50
	s_mul_hi_u32 s1, s41, s0
	s_addc_u32 s37, s52, s40
	s_addc_u32 s1, s1, 0
	s_mul_i32 s0, s41, s0
	s_add_u32 s0, s37, s0
	s_addc_u32 s37, 0, s1
	s_add_u32 s40, s51, s0
	s_cselect_b64 s[0:1], -1, 0
	v_ashrrev_i32_e32 v3, 31, v7
	s_cmp_lg_u64 s[0:1], 0
	v_add_co_u32_e32 v5, vcc, v6, v3
	s_addc_u32 s37, s41, s37
	v_xor_b32_e32 v5, v5, v3
	v_addc_co_u32_e32 v9, vcc, v7, v3, vcc
	v_mad_u64_u32 v[7:8], s[0:1], v5, s37, 0
	v_mul_hi_u32 v10, v5, s40
	v_xor_b32_e32 v11, v9, v3
	v_xor_b32_e32 v3, s36, v3
	v_add_co_u32_e32 v12, vcc, v10, v7
	v_addc_co_u32_e32 v13, vcc, 0, v8, vcc
	v_mad_u64_u32 v[7:8], s[0:1], v11, s40, 0
	v_mad_u64_u32 v[9:10], s[0:1], v11, s37, 0
	v_add_co_u32_e32 v7, vcc, v12, v7
	v_addc_co_u32_e32 v7, vcc, v13, v8, vcc
	v_addc_co_u32_e32 v8, vcc, 0, v10, vcc
	v_add_co_u32_e32 v9, vcc, v7, v9
	v_addc_co_u32_e32 v10, vcc, 0, v8, vcc
	v_mul_lo_u32 v12, s39, v9
	v_mul_lo_u32 v13, s38, v10
	v_mad_u64_u32 v[7:8], s[0:1], s38, v9, 0
	v_add3_u32 v8, v8, v13, v12
	v_sub_u32_e32 v12, v11, v8
	v_mov_b32_e32 v13, s39
	v_sub_co_u32_e32 v5, vcc, v5, v7
	v_subb_co_u32_e64 v7, s[0:1], v12, v13, vcc
	v_subrev_co_u32_e64 v12, s[0:1], s38, v5
	v_subbrev_co_u32_e64 v7, s[0:1], 0, v7, s[0:1]
	v_cmp_le_u32_e64 s[0:1], s39, v7
	v_cndmask_b32_e64 v13, 0, -1, s[0:1]
	v_cmp_le_u32_e64 s[0:1], s38, v12
	v_cndmask_b32_e64 v12, 0, -1, s[0:1]
	v_cmp_eq_u32_e64 s[0:1], s39, v7
	v_cndmask_b32_e64 v7, v13, v12, s[0:1]
	v_add_co_u32_e64 v12, s[0:1], 2, v9
	v_subb_co_u32_e32 v8, vcc, v11, v8, vcc
	v_addc_co_u32_e64 v13, s[0:1], 0, v10, s[0:1]
	v_cmp_le_u32_e32 vcc, s39, v8
	v_add_co_u32_e64 v14, s[0:1], 1, v9
	v_cndmask_b32_e64 v11, 0, -1, vcc
	v_cmp_le_u32_e32 vcc, s38, v5
	v_addc_co_u32_e64 v15, s[0:1], 0, v10, s[0:1]
	v_cndmask_b32_e64 v5, 0, -1, vcc
	v_cmp_eq_u32_e32 vcc, s39, v8
	v_cmp_ne_u32_e64 s[0:1], 0, v7
	v_cndmask_b32_e32 v5, v11, v5, vcc
	v_cndmask_b32_e64 v7, v15, v13, s[0:1]
	v_cmp_ne_u32_e32 vcc, 0, v5
	v_cndmask_b32_e32 v5, v10, v7, vcc
	v_cndmask_b32_e64 v7, v14, v12, s[0:1]
	v_cndmask_b32_e32 v7, v9, v7, vcc
	v_xor_b32_e32 v7, v7, v3
	v_xor_b32_e32 v5, v5, v3
	v_sub_co_u32_e32 v8, vcc, v7, v3
	v_subb_co_u32_e32 v9, vcc, v5, v3, vcc
.LBB60_16:                              ;   in Loop: Header=BB60_14 Depth=2
	s_andn2_saveexec_b64 s[0:1], s[34:35]
	s_cbranch_execz .LBB60_18
; %bb.17:                               ;   in Loop: Header=BB60_14 Depth=2
	v_cvt_f32_u32_e32 v3, s28
	s_sub_i32 s34, 0, s28
	v_mov_b32_e32 v9, v2
	v_rcp_iflag_f32_e32 v3, v3
	v_mul_f32_e32 v3, 0x4f7ffffe, v3
	v_cvt_u32_f32_e32 v3, v3
	v_mul_lo_u32 v5, s34, v3
	v_mul_hi_u32 v5, v3, v5
	v_add_u32_e32 v3, v3, v5
	v_mul_hi_u32 v3, v6, v3
	v_mul_lo_u32 v5, v3, s28
	v_add_u32_e32 v7, 1, v3
	v_sub_u32_e32 v5, v6, v5
	v_subrev_u32_e32 v8, s28, v5
	v_cmp_le_u32_e32 vcc, s28, v5
	v_cndmask_b32_e32 v5, v5, v8, vcc
	v_cndmask_b32_e32 v3, v3, v7, vcc
	v_add_u32_e32 v7, 1, v3
	v_cmp_le_u32_e32 vcc, s28, v5
	v_cndmask_b32_e32 v8, v3, v7, vcc
.LBB60_18:                              ;   in Loop: Header=BB60_14 Depth=2
	s_or_b64 exec, exec, s[0:1]
	s_add_u32 s0, s4, s30
	s_addc_u32 s1, s5, s31
	v_mul_lo_u32 v3, v8, s28
	s_load_dword s0, s[0:1], 0x6c
	s_add_i32 s16, s16, -1
	s_add_i32 s25, s25, -1
	v_sub_u32_e32 v3, v6, v3
	s_cmp_lg_u32 s25, 0
	s_waitcnt lgkmcnt(0)
	v_mad_u64_u32 v[4:5], s[0:1], s0, v3, v[4:5]
	s_cbranch_scc0 .LBB60_20
; %bb.19:                               ;   in Loop: Header=BB60_14 Depth=2
	v_mov_b32_e32 v6, v8
	v_mov_b32_e32 v7, v9
	s_branch .LBB60_14
.LBB60_20:                              ;   in Loop: Header=BB60_3 Depth=1
	v_mov_b32_e32 v6, v8
	s_mov_b32 s0, s16
	v_mov_b32_e32 v7, v9
.LBB60_21:                              ;   in Loop: Header=BB60_3 Depth=1
	s_andn2_b64 vcc, exec, s[20:21]
	s_cbranch_vccnz .LBB60_57
; %bb.22:                               ;   in Loop: Header=BB60_3 Depth=1
	s_add_i32 s30, s0, -7
.LBB60_23:                              ;   Parent Loop BB60_3 Depth=1
                                        ; =>  This Inner Loop Header: Depth=2
	s_add_i32 s16, s30, 7
	s_lshl_b64 s[34:35], s[16:17], 2
	s_add_u32 s0, s42, s34
	s_addc_u32 s1, s43, s35
	s_load_dword s25, s[0:1], 0x8
                                        ; implicit-def: $vgpr8_vgpr9
	s_waitcnt lgkmcnt(0)
	s_ashr_i32 s0, s25, 31
	v_or_b32_e32 v3, s0, v7
	v_cmp_ne_u64_e32 vcc, 0, v[2:3]
	s_and_saveexec_b64 s[36:37], vcc
	s_xor_b64 s[36:37], exec, s[36:37]
	s_cbranch_execz .LBB60_25
; %bb.24:                               ;   in Loop: Header=BB60_23 Depth=2
	s_ashr_i32 s38, s0, 31
	s_add_u32 s40, s25, s38
	s_mov_b32 s39, s38
	s_addc_u32 s41, s0, s38
	s_xor_b64 s[40:41], s[40:41], s[38:39]
	v_cvt_f32_u32_e32 v3, s40
	v_cvt_f32_u32_e32 v5, s41
	s_sub_u32 s16, 0, s40
	s_subb_u32 s28, 0, s41
	v_mac_f32_e32 v3, 0x4f800000, v5
	v_rcp_f32_e32 v3, v3
	v_mul_f32_e32 v3, 0x5f7ffffc, v3
	v_mul_f32_e32 v5, 0x2f800000, v3
	v_trunc_f32_e32 v5, v5
	v_mac_f32_e32 v3, 0xcf800000, v5
	v_cvt_u32_f32_e32 v5, v5
	v_cvt_u32_f32_e32 v3, v3
	v_readfirstlane_b32 s31, v5
	v_readfirstlane_b32 s0, v3
	s_mul_i32 s1, s16, s31
	s_mul_hi_u32 s50, s16, s0
	s_mul_i32 s39, s28, s0
	s_add_i32 s1, s50, s1
	s_add_i32 s1, s1, s39
	s_mul_i32 s51, s16, s0
	s_mul_i32 s50, s0, s1
	s_mul_hi_u32 s52, s0, s51
	s_mul_hi_u32 s39, s0, s1
	s_add_u32 s50, s52, s50
	s_addc_u32 s39, 0, s39
	s_mul_hi_u32 s53, s31, s51
	s_mul_i32 s51, s31, s51
	s_add_u32 s50, s50, s51
	s_mul_hi_u32 s52, s31, s1
	s_addc_u32 s39, s39, s53
	s_addc_u32 s50, s52, 0
	s_mul_i32 s1, s31, s1
	s_add_u32 s1, s39, s1
	s_addc_u32 s39, 0, s50
	s_add_u32 s50, s0, s1
	s_cselect_b64 s[0:1], -1, 0
	s_cmp_lg_u64 s[0:1], 0
	s_addc_u32 s31, s31, s39
	s_mul_i32 s0, s16, s31
	s_mul_hi_u32 s1, s16, s50
	s_add_i32 s0, s1, s0
	s_mul_i32 s28, s28, s50
	s_add_i32 s0, s0, s28
	s_mul_i32 s16, s16, s50
	s_mul_hi_u32 s28, s31, s16
	s_mul_i32 s39, s31, s16
	s_mul_i32 s52, s50, s0
	s_mul_hi_u32 s16, s50, s16
	s_mul_hi_u32 s51, s50, s0
	s_add_u32 s16, s16, s52
	s_addc_u32 s51, 0, s51
	s_add_u32 s16, s16, s39
	s_mul_hi_u32 s1, s31, s0
	s_addc_u32 s16, s51, s28
	s_addc_u32 s1, s1, 0
	s_mul_i32 s0, s31, s0
	s_add_u32 s0, s16, s0
	s_addc_u32 s16, 0, s1
	s_add_u32 s28, s50, s0
	s_cselect_b64 s[0:1], -1, 0
	v_ashrrev_i32_e32 v3, 31, v7
	s_cmp_lg_u64 s[0:1], 0
	v_add_co_u32_e32 v5, vcc, v6, v3
	s_addc_u32 s16, s31, s16
	v_xor_b32_e32 v5, v5, v3
	v_addc_co_u32_e32 v9, vcc, v7, v3, vcc
	v_mad_u64_u32 v[7:8], s[0:1], v5, s16, 0
	v_mul_hi_u32 v10, v5, s28
	v_xor_b32_e32 v11, v9, v3
	v_xor_b32_e32 v3, s38, v3
	v_add_co_u32_e32 v12, vcc, v10, v7
	v_addc_co_u32_e32 v13, vcc, 0, v8, vcc
	v_mad_u64_u32 v[7:8], s[0:1], v11, s28, 0
	v_mad_u64_u32 v[9:10], s[0:1], v11, s16, 0
	v_add_co_u32_e32 v7, vcc, v12, v7
	v_addc_co_u32_e32 v7, vcc, v13, v8, vcc
	v_addc_co_u32_e32 v8, vcc, 0, v10, vcc
	v_add_co_u32_e32 v9, vcc, v7, v9
	v_addc_co_u32_e32 v10, vcc, 0, v8, vcc
	v_mul_lo_u32 v12, s41, v9
	v_mul_lo_u32 v13, s40, v10
	v_mad_u64_u32 v[7:8], s[0:1], s40, v9, 0
	v_add3_u32 v8, v8, v13, v12
	v_sub_u32_e32 v12, v11, v8
	v_mov_b32_e32 v13, s41
	v_sub_co_u32_e32 v5, vcc, v5, v7
	v_subb_co_u32_e64 v7, s[0:1], v12, v13, vcc
	v_subrev_co_u32_e64 v12, s[0:1], s40, v5
	v_subbrev_co_u32_e64 v7, s[0:1], 0, v7, s[0:1]
	v_cmp_le_u32_e64 s[0:1], s41, v7
	v_cndmask_b32_e64 v13, 0, -1, s[0:1]
	v_cmp_le_u32_e64 s[0:1], s40, v12
	v_cndmask_b32_e64 v12, 0, -1, s[0:1]
	v_cmp_eq_u32_e64 s[0:1], s41, v7
	v_cndmask_b32_e64 v7, v13, v12, s[0:1]
	v_add_co_u32_e64 v12, s[0:1], 2, v9
	v_subb_co_u32_e32 v8, vcc, v11, v8, vcc
	v_addc_co_u32_e64 v13, s[0:1], 0, v10, s[0:1]
	v_cmp_le_u32_e32 vcc, s41, v8
	v_add_co_u32_e64 v14, s[0:1], 1, v9
	v_cndmask_b32_e64 v11, 0, -1, vcc
	v_cmp_le_u32_e32 vcc, s40, v5
	v_addc_co_u32_e64 v15, s[0:1], 0, v10, s[0:1]
	v_cndmask_b32_e64 v5, 0, -1, vcc
	v_cmp_eq_u32_e32 vcc, s41, v8
	v_cmp_ne_u32_e64 s[0:1], 0, v7
	v_cndmask_b32_e32 v5, v11, v5, vcc
	v_cndmask_b32_e64 v7, v15, v13, s[0:1]
	v_cmp_ne_u32_e32 vcc, 0, v5
	v_cndmask_b32_e32 v5, v10, v7, vcc
	v_cndmask_b32_e64 v7, v14, v12, s[0:1]
	v_cndmask_b32_e32 v7, v9, v7, vcc
	v_xor_b32_e32 v7, v7, v3
	v_xor_b32_e32 v5, v5, v3
	v_sub_co_u32_e32 v8, vcc, v7, v3
	v_subb_co_u32_e32 v9, vcc, v5, v3, vcc
.LBB60_25:                              ;   in Loop: Header=BB60_23 Depth=2
	s_andn2_saveexec_b64 s[0:1], s[36:37]
	s_cbranch_execz .LBB60_27
; %bb.26:                               ;   in Loop: Header=BB60_23 Depth=2
	v_cvt_f32_u32_e32 v3, s25
	s_sub_i32 s16, 0, s25
	v_mov_b32_e32 v9, v2
	v_rcp_iflag_f32_e32 v3, v3
	v_mul_f32_e32 v3, 0x4f7ffffe, v3
	v_cvt_u32_f32_e32 v3, v3
	v_mul_lo_u32 v5, s16, v3
	v_mul_hi_u32 v5, v3, v5
	v_add_u32_e32 v3, v3, v5
	v_mul_hi_u32 v3, v6, v3
	v_mul_lo_u32 v5, v3, s25
	v_add_u32_e32 v7, 1, v3
	v_sub_u32_e32 v5, v6, v5
	v_subrev_u32_e32 v8, s25, v5
	v_cmp_le_u32_e32 vcc, s25, v5
	v_cndmask_b32_e32 v5, v5, v8, vcc
	v_cndmask_b32_e32 v3, v3, v7, vcc
	v_add_u32_e32 v7, 1, v3
	v_cmp_le_u32_e32 vcc, s25, v5
	v_cndmask_b32_e32 v8, v3, v7, vcc
.LBB60_27:                              ;   in Loop: Header=BB60_23 Depth=2
	s_or_b64 exec, exec, s[0:1]
	s_add_u32 s0, s4, s34
	s_addc_u32 s1, s5, s35
	s_add_i32 s16, s30, 6
	s_lshl_b64 s[34:35], s[16:17], 2
	s_add_u32 s36, s42, s34
	s_addc_u32 s37, s43, s35
	s_load_dword s50, s[36:37], 0x8
	s_load_dword s28, s[0:1], 0x6c
                                        ; implicit-def: $vgpr10_vgpr11
	s_waitcnt lgkmcnt(0)
	s_ashr_i32 s0, s50, 31
	v_or_b32_e32 v3, s0, v9
	v_cmp_ne_u64_e32 vcc, 0, v[2:3]
	s_and_saveexec_b64 s[36:37], vcc
	s_xor_b64 s[36:37], exec, s[36:37]
	s_cbranch_execz .LBB60_29
; %bb.28:                               ;   in Loop: Header=BB60_23 Depth=2
	s_ashr_i32 s38, s0, 31
	s_add_u32 s40, s50, s38
	s_mov_b32 s39, s38
	s_addc_u32 s41, s0, s38
	s_xor_b64 s[40:41], s[40:41], s[38:39]
	v_cvt_f32_u32_e32 v3, s40
	v_cvt_f32_u32_e32 v5, s41
	s_sub_u32 s16, 0, s40
	s_subb_u32 s31, 0, s41
	v_mac_f32_e32 v3, 0x4f800000, v5
	v_rcp_f32_e32 v3, v3
	v_mul_f32_e32 v3, 0x5f7ffffc, v3
	v_mul_f32_e32 v5, 0x2f800000, v3
	v_trunc_f32_e32 v5, v5
	v_mac_f32_e32 v3, 0xcf800000, v5
	v_cvt_u32_f32_e32 v5, v5
	v_cvt_u32_f32_e32 v3, v3
	v_readfirstlane_b32 s39, v5
	v_readfirstlane_b32 s0, v3
	s_mul_i32 s1, s16, s39
	s_mul_hi_u32 s52, s16, s0
	s_mul_i32 s51, s31, s0
	s_add_i32 s1, s52, s1
	s_add_i32 s1, s1, s51
	s_mul_i32 s53, s16, s0
	s_mul_i32 s52, s0, s1
	s_mul_hi_u32 s54, s0, s53
	s_mul_hi_u32 s51, s0, s1
	s_add_u32 s52, s54, s52
	s_addc_u32 s51, 0, s51
	s_mul_hi_u32 s55, s39, s53
	s_mul_i32 s53, s39, s53
	s_add_u32 s52, s52, s53
	s_mul_hi_u32 s54, s39, s1
	s_addc_u32 s51, s51, s55
	s_addc_u32 s52, s54, 0
	s_mul_i32 s1, s39, s1
	s_add_u32 s1, s51, s1
	s_addc_u32 s51, 0, s52
	s_add_u32 s52, s0, s1
	s_cselect_b64 s[0:1], -1, 0
	s_cmp_lg_u64 s[0:1], 0
	s_addc_u32 s39, s39, s51
	s_mul_i32 s0, s16, s39
	s_mul_hi_u32 s1, s16, s52
	s_add_i32 s0, s1, s0
	s_mul_i32 s31, s31, s52
	s_add_i32 s0, s0, s31
	s_mul_i32 s16, s16, s52
	s_mul_hi_u32 s31, s39, s16
	s_mul_i32 s51, s39, s16
	s_mul_i32 s54, s52, s0
	s_mul_hi_u32 s16, s52, s16
	s_mul_hi_u32 s53, s52, s0
	s_add_u32 s16, s16, s54
	s_addc_u32 s53, 0, s53
	s_add_u32 s16, s16, s51
	s_mul_hi_u32 s1, s39, s0
	s_addc_u32 s16, s53, s31
	s_addc_u32 s1, s1, 0
	s_mul_i32 s0, s39, s0
	s_add_u32 s0, s16, s0
	s_addc_u32 s16, 0, s1
	s_add_u32 s31, s52, s0
	s_cselect_b64 s[0:1], -1, 0
	v_ashrrev_i32_e32 v3, 31, v9
	s_cmp_lg_u64 s[0:1], 0
	v_add_co_u32_e32 v5, vcc, v8, v3
	s_addc_u32 s16, s39, s16
	v_xor_b32_e32 v5, v5, v3
	v_addc_co_u32_e32 v7, vcc, v9, v3, vcc
	v_mad_u64_u32 v[9:10], s[0:1], v5, s16, 0
	v_mul_hi_u32 v11, v5, s31
	v_xor_b32_e32 v7, v7, v3
	v_xor_b32_e32 v3, s38, v3
	v_add_co_u32_e32 v13, vcc, v11, v9
	v_addc_co_u32_e32 v14, vcc, 0, v10, vcc
	v_mad_u64_u32 v[9:10], s[0:1], v7, s31, 0
	v_mad_u64_u32 v[11:12], s[0:1], v7, s16, 0
	v_add_co_u32_e32 v9, vcc, v13, v9
	v_addc_co_u32_e32 v9, vcc, v14, v10, vcc
	v_addc_co_u32_e32 v10, vcc, 0, v12, vcc
	v_add_co_u32_e32 v11, vcc, v9, v11
	v_addc_co_u32_e32 v12, vcc, 0, v10, vcc
	v_mul_lo_u32 v13, s41, v11
	v_mul_lo_u32 v14, s40, v12
	v_mad_u64_u32 v[9:10], s[0:1], s40, v11, 0
	v_add3_u32 v10, v10, v14, v13
	v_sub_u32_e32 v13, v7, v10
	v_mov_b32_e32 v14, s41
	v_sub_co_u32_e32 v5, vcc, v5, v9
	v_subb_co_u32_e64 v9, s[0:1], v13, v14, vcc
	v_subrev_co_u32_e64 v13, s[0:1], s40, v5
	v_subbrev_co_u32_e64 v9, s[0:1], 0, v9, s[0:1]
	v_cmp_le_u32_e64 s[0:1], s41, v9
	v_cndmask_b32_e64 v14, 0, -1, s[0:1]
	v_cmp_le_u32_e64 s[0:1], s40, v13
	v_cndmask_b32_e64 v13, 0, -1, s[0:1]
	v_cmp_eq_u32_e64 s[0:1], s41, v9
	v_cndmask_b32_e64 v9, v14, v13, s[0:1]
	v_add_co_u32_e64 v13, s[0:1], 2, v11
	v_subb_co_u32_e32 v7, vcc, v7, v10, vcc
	v_addc_co_u32_e64 v14, s[0:1], 0, v12, s[0:1]
	v_cmp_le_u32_e32 vcc, s41, v7
	v_add_co_u32_e64 v15, s[0:1], 1, v11
	v_cndmask_b32_e64 v10, 0, -1, vcc
	v_cmp_le_u32_e32 vcc, s40, v5
	v_addc_co_u32_e64 v16, s[0:1], 0, v12, s[0:1]
	v_cndmask_b32_e64 v5, 0, -1, vcc
	v_cmp_eq_u32_e32 vcc, s41, v7
	v_cmp_ne_u32_e64 s[0:1], 0, v9
	v_cndmask_b32_e32 v5, v10, v5, vcc
	v_cmp_ne_u32_e32 vcc, 0, v5
	v_cndmask_b32_e64 v7, v15, v13, s[0:1]
	v_cndmask_b32_e64 v9, v16, v14, s[0:1]
	v_cndmask_b32_e32 v7, v11, v7, vcc
	v_cndmask_b32_e32 v5, v12, v9, vcc
	v_xor_b32_e32 v7, v7, v3
	v_xor_b32_e32 v5, v5, v3
	v_sub_co_u32_e32 v10, vcc, v7, v3
	v_subb_co_u32_e32 v11, vcc, v5, v3, vcc
.LBB60_29:                              ;   in Loop: Header=BB60_23 Depth=2
	s_andn2_saveexec_b64 s[0:1], s[36:37]
	s_cbranch_execz .LBB60_31
; %bb.30:                               ;   in Loop: Header=BB60_23 Depth=2
	v_cvt_f32_u32_e32 v3, s50
	s_sub_i32 s16, 0, s50
	v_mov_b32_e32 v11, v2
	v_rcp_iflag_f32_e32 v3, v3
	v_mul_f32_e32 v3, 0x4f7ffffe, v3
	v_cvt_u32_f32_e32 v3, v3
	v_mul_lo_u32 v5, s16, v3
	v_mul_hi_u32 v5, v3, v5
	v_add_u32_e32 v3, v3, v5
	v_mul_hi_u32 v3, v8, v3
	v_mul_lo_u32 v5, v3, s50
	v_add_u32_e32 v7, 1, v3
	v_sub_u32_e32 v5, v8, v5
	v_subrev_u32_e32 v9, s50, v5
	v_cmp_le_u32_e32 vcc, s50, v5
	v_cndmask_b32_e32 v5, v5, v9, vcc
	v_cndmask_b32_e32 v3, v3, v7, vcc
	v_add_u32_e32 v7, 1, v3
	v_cmp_le_u32_e32 vcc, s50, v5
	v_cndmask_b32_e32 v10, v3, v7, vcc
.LBB60_31:                              ;   in Loop: Header=BB60_23 Depth=2
	s_or_b64 exec, exec, s[0:1]
	s_add_u32 s0, s4, s34
	s_addc_u32 s1, s5, s35
	s_add_i32 s16, s30, 5
	s_lshl_b64 s[34:35], s[16:17], 2
	s_add_u32 s36, s42, s34
	s_addc_u32 s37, s43, s35
	s_load_dword s52, s[36:37], 0x8
	s_load_dword s51, s[0:1], 0x6c
                                        ; implicit-def: $vgpr12_vgpr13
	s_waitcnt lgkmcnt(0)
	s_ashr_i32 s0, s52, 31
	v_or_b32_e32 v3, s0, v11
	v_cmp_ne_u64_e32 vcc, 0, v[2:3]
	s_and_saveexec_b64 s[36:37], vcc
	s_xor_b64 s[36:37], exec, s[36:37]
	s_cbranch_execz .LBB60_33
; %bb.32:                               ;   in Loop: Header=BB60_23 Depth=2
	s_ashr_i32 s38, s0, 31
	s_add_u32 s40, s52, s38
	s_mov_b32 s39, s38
	s_addc_u32 s41, s0, s38
	s_xor_b64 s[40:41], s[40:41], s[38:39]
	v_cvt_f32_u32_e32 v3, s40
	v_cvt_f32_u32_e32 v5, s41
	s_sub_u32 s16, 0, s40
	s_subb_u32 s31, 0, s41
	v_mac_f32_e32 v3, 0x4f800000, v5
	v_rcp_f32_e32 v3, v3
	v_mul_f32_e32 v3, 0x5f7ffffc, v3
	v_mul_f32_e32 v5, 0x2f800000, v3
	v_trunc_f32_e32 v5, v5
	v_mac_f32_e32 v3, 0xcf800000, v5
	v_cvt_u32_f32_e32 v5, v5
	v_cvt_u32_f32_e32 v3, v3
	v_readfirstlane_b32 s39, v5
	v_readfirstlane_b32 s0, v3
	s_mul_i32 s1, s16, s39
	s_mul_hi_u32 s54, s16, s0
	s_mul_i32 s53, s31, s0
	s_add_i32 s1, s54, s1
	s_add_i32 s1, s1, s53
	s_mul_i32 s55, s16, s0
	s_mul_i32 s54, s0, s1
	s_mul_hi_u32 s56, s0, s55
	s_mul_hi_u32 s53, s0, s1
	s_add_u32 s54, s56, s54
	s_addc_u32 s53, 0, s53
	s_mul_hi_u32 s57, s39, s55
	s_mul_i32 s55, s39, s55
	s_add_u32 s54, s54, s55
	s_mul_hi_u32 s56, s39, s1
	s_addc_u32 s53, s53, s57
	s_addc_u32 s54, s56, 0
	s_mul_i32 s1, s39, s1
	s_add_u32 s1, s53, s1
	s_addc_u32 s53, 0, s54
	s_add_u32 s54, s0, s1
	s_cselect_b64 s[0:1], -1, 0
	s_cmp_lg_u64 s[0:1], 0
	s_addc_u32 s39, s39, s53
	s_mul_i32 s0, s16, s39
	s_mul_hi_u32 s1, s16, s54
	s_add_i32 s0, s1, s0
	s_mul_i32 s31, s31, s54
	s_add_i32 s0, s0, s31
	s_mul_i32 s16, s16, s54
	s_mul_hi_u32 s31, s39, s16
	s_mul_i32 s53, s39, s16
	s_mul_i32 s56, s54, s0
	s_mul_hi_u32 s16, s54, s16
	s_mul_hi_u32 s55, s54, s0
	s_add_u32 s16, s16, s56
	s_addc_u32 s55, 0, s55
	s_add_u32 s16, s16, s53
	s_mul_hi_u32 s1, s39, s0
	s_addc_u32 s16, s55, s31
	s_addc_u32 s1, s1, 0
	s_mul_i32 s0, s39, s0
	s_add_u32 s0, s16, s0
	s_addc_u32 s16, 0, s1
	s_add_u32 s31, s54, s0
	s_cselect_b64 s[0:1], -1, 0
	v_ashrrev_i32_e32 v3, 31, v11
	s_cmp_lg_u64 s[0:1], 0
	v_add_co_u32_e32 v5, vcc, v10, v3
	s_addc_u32 s16, s39, s16
	v_xor_b32_e32 v5, v5, v3
	v_addc_co_u32_e32 v7, vcc, v11, v3, vcc
	v_mad_u64_u32 v[11:12], s[0:1], v5, s16, 0
	v_mul_hi_u32 v9, v5, s31
	v_xor_b32_e32 v7, v7, v3
	v_mad_u64_u32 v[13:14], s[0:1], v7, s16, 0
	v_add_co_u32_e32 v9, vcc, v9, v11
	v_addc_co_u32_e32 v15, vcc, 0, v12, vcc
	v_mad_u64_u32 v[11:12], s[0:1], v7, s31, 0
	v_xor_b32_e32 v3, s38, v3
	v_add_co_u32_e32 v9, vcc, v9, v11
	v_addc_co_u32_e32 v9, vcc, v15, v12, vcc
	v_addc_co_u32_e32 v11, vcc, 0, v14, vcc
	v_add_co_u32_e32 v9, vcc, v9, v13
	v_addc_co_u32_e32 v13, vcc, 0, v11, vcc
	v_mul_lo_u32 v14, s41, v9
	v_mul_lo_u32 v15, s40, v13
	v_mad_u64_u32 v[11:12], s[0:1], s40, v9, 0
	v_add3_u32 v12, v12, v15, v14
	v_sub_u32_e32 v14, v7, v12
	v_mov_b32_e32 v15, s41
	v_sub_co_u32_e32 v5, vcc, v5, v11
	v_subb_co_u32_e64 v11, s[0:1], v14, v15, vcc
	v_subrev_co_u32_e64 v14, s[0:1], s40, v5
	v_subbrev_co_u32_e64 v11, s[0:1], 0, v11, s[0:1]
	v_cmp_le_u32_e64 s[0:1], s41, v11
	v_cndmask_b32_e64 v15, 0, -1, s[0:1]
	v_cmp_le_u32_e64 s[0:1], s40, v14
	v_cndmask_b32_e64 v14, 0, -1, s[0:1]
	v_cmp_eq_u32_e64 s[0:1], s41, v11
	v_cndmask_b32_e64 v11, v15, v14, s[0:1]
	v_add_co_u32_e64 v14, s[0:1], 2, v9
	v_subb_co_u32_e32 v7, vcc, v7, v12, vcc
	v_addc_co_u32_e64 v15, s[0:1], 0, v13, s[0:1]
	v_cmp_le_u32_e32 vcc, s41, v7
	v_add_co_u32_e64 v16, s[0:1], 1, v9
	v_cndmask_b32_e64 v12, 0, -1, vcc
	v_cmp_le_u32_e32 vcc, s40, v5
	v_addc_co_u32_e64 v17, s[0:1], 0, v13, s[0:1]
	v_cndmask_b32_e64 v5, 0, -1, vcc
	v_cmp_eq_u32_e32 vcc, s41, v7
	v_cmp_ne_u32_e64 s[0:1], 0, v11
	v_cndmask_b32_e32 v5, v12, v5, vcc
	v_cmp_ne_u32_e32 vcc, 0, v5
	v_cndmask_b32_e64 v7, v16, v14, s[0:1]
	v_cndmask_b32_e64 v11, v17, v15, s[0:1]
	v_cndmask_b32_e32 v7, v9, v7, vcc
	v_cndmask_b32_e32 v5, v13, v11, vcc
	v_xor_b32_e32 v7, v7, v3
	v_xor_b32_e32 v5, v5, v3
	v_sub_co_u32_e32 v12, vcc, v7, v3
	v_subb_co_u32_e32 v13, vcc, v5, v3, vcc
.LBB60_33:                              ;   in Loop: Header=BB60_23 Depth=2
	s_andn2_saveexec_b64 s[0:1], s[36:37]
	s_cbranch_execz .LBB60_35
; %bb.34:                               ;   in Loop: Header=BB60_23 Depth=2
	v_cvt_f32_u32_e32 v3, s52
	s_sub_i32 s16, 0, s52
	v_mov_b32_e32 v13, v2
	v_rcp_iflag_f32_e32 v3, v3
	v_mul_f32_e32 v3, 0x4f7ffffe, v3
	v_cvt_u32_f32_e32 v3, v3
	v_mul_lo_u32 v5, s16, v3
	v_mul_hi_u32 v5, v3, v5
	v_add_u32_e32 v3, v3, v5
	v_mul_hi_u32 v3, v10, v3
	v_mul_lo_u32 v5, v3, s52
	v_add_u32_e32 v7, 1, v3
	v_sub_u32_e32 v5, v10, v5
	v_subrev_u32_e32 v9, s52, v5
	v_cmp_le_u32_e32 vcc, s52, v5
	v_cndmask_b32_e32 v5, v5, v9, vcc
	v_cndmask_b32_e32 v3, v3, v7, vcc
	v_add_u32_e32 v7, 1, v3
	v_cmp_le_u32_e32 vcc, s52, v5
	v_cndmask_b32_e32 v12, v3, v7, vcc
.LBB60_35:                              ;   in Loop: Header=BB60_23 Depth=2
	s_or_b64 exec, exec, s[0:1]
	s_add_u32 s0, s4, s34
	s_addc_u32 s1, s5, s35
	s_add_i32 s16, s30, 4
	s_lshl_b64 s[34:35], s[16:17], 2
	s_add_u32 s36, s42, s34
	s_addc_u32 s37, s43, s35
	s_load_dword s54, s[36:37], 0x8
	s_load_dword s53, s[0:1], 0x6c
                                        ; implicit-def: $vgpr14_vgpr15
	s_waitcnt lgkmcnt(0)
	s_ashr_i32 s0, s54, 31
	v_or_b32_e32 v3, s0, v13
	v_cmp_ne_u64_e32 vcc, 0, v[2:3]
	s_and_saveexec_b64 s[36:37], vcc
	s_xor_b64 s[36:37], exec, s[36:37]
	s_cbranch_execz .LBB60_37
; %bb.36:                               ;   in Loop: Header=BB60_23 Depth=2
	s_ashr_i32 s38, s0, 31
	s_add_u32 s40, s54, s38
	s_mov_b32 s39, s38
	s_addc_u32 s41, s0, s38
	s_xor_b64 s[40:41], s[40:41], s[38:39]
	v_cvt_f32_u32_e32 v3, s40
	v_cvt_f32_u32_e32 v5, s41
	s_sub_u32 s16, 0, s40
	s_subb_u32 s31, 0, s41
	v_mac_f32_e32 v3, 0x4f800000, v5
	v_rcp_f32_e32 v3, v3
	v_mul_f32_e32 v3, 0x5f7ffffc, v3
	v_mul_f32_e32 v5, 0x2f800000, v3
	v_trunc_f32_e32 v5, v5
	v_mac_f32_e32 v3, 0xcf800000, v5
	v_cvt_u32_f32_e32 v5, v5
	v_cvt_u32_f32_e32 v3, v3
	v_readfirstlane_b32 s39, v5
	v_readfirstlane_b32 s0, v3
	s_mul_i32 s1, s16, s39
	s_mul_hi_u32 s56, s16, s0
	s_mul_i32 s55, s31, s0
	s_add_i32 s1, s56, s1
	s_add_i32 s1, s1, s55
	s_mul_i32 s57, s16, s0
	s_mul_i32 s56, s0, s1
	s_mul_hi_u32 s58, s0, s57
	s_mul_hi_u32 s55, s0, s1
	s_add_u32 s56, s58, s56
	s_addc_u32 s55, 0, s55
	s_mul_hi_u32 s59, s39, s57
	s_mul_i32 s57, s39, s57
	s_add_u32 s56, s56, s57
	s_mul_hi_u32 s58, s39, s1
	s_addc_u32 s55, s55, s59
	s_addc_u32 s56, s58, 0
	s_mul_i32 s1, s39, s1
	s_add_u32 s1, s55, s1
	s_addc_u32 s55, 0, s56
	s_add_u32 s56, s0, s1
	s_cselect_b64 s[0:1], -1, 0
	s_cmp_lg_u64 s[0:1], 0
	s_addc_u32 s39, s39, s55
	s_mul_i32 s0, s16, s39
	s_mul_hi_u32 s1, s16, s56
	s_add_i32 s0, s1, s0
	s_mul_i32 s31, s31, s56
	s_add_i32 s0, s0, s31
	s_mul_i32 s16, s16, s56
	s_mul_hi_u32 s31, s39, s16
	s_mul_i32 s55, s39, s16
	s_mul_i32 s58, s56, s0
	s_mul_hi_u32 s16, s56, s16
	s_mul_hi_u32 s57, s56, s0
	s_add_u32 s16, s16, s58
	s_addc_u32 s57, 0, s57
	s_add_u32 s16, s16, s55
	s_mul_hi_u32 s1, s39, s0
	s_addc_u32 s16, s57, s31
	s_addc_u32 s1, s1, 0
	s_mul_i32 s0, s39, s0
	s_add_u32 s0, s16, s0
	s_addc_u32 s16, 0, s1
	s_add_u32 s31, s56, s0
	s_cselect_b64 s[0:1], -1, 0
	v_ashrrev_i32_e32 v3, 31, v13
	s_cmp_lg_u64 s[0:1], 0
	v_add_co_u32_e32 v5, vcc, v12, v3
	s_addc_u32 s16, s39, s16
	v_xor_b32_e32 v5, v5, v3
	v_addc_co_u32_e32 v7, vcc, v13, v3, vcc
	v_mad_u64_u32 v[13:14], s[0:1], v5, s16, 0
	v_mul_hi_u32 v9, v5, s31
	v_xor_b32_e32 v7, v7, v3
	v_mad_u64_u32 v[15:16], s[0:1], v7, s16, 0
	v_add_co_u32_e32 v9, vcc, v9, v13
	v_addc_co_u32_e32 v11, vcc, 0, v14, vcc
	v_mad_u64_u32 v[13:14], s[0:1], v7, s31, 0
	v_xor_b32_e32 v3, s38, v3
	v_add_co_u32_e32 v9, vcc, v9, v13
	v_addc_co_u32_e32 v9, vcc, v11, v14, vcc
	v_addc_co_u32_e32 v11, vcc, 0, v16, vcc
	v_add_co_u32_e32 v9, vcc, v9, v15
	v_addc_co_u32_e32 v11, vcc, 0, v11, vcc
	v_mul_lo_u32 v15, s41, v9
	v_mul_lo_u32 v16, s40, v11
	v_mad_u64_u32 v[13:14], s[0:1], s40, v9, 0
	v_add3_u32 v14, v14, v16, v15
	v_sub_u32_e32 v15, v7, v14
	v_mov_b32_e32 v16, s41
	v_sub_co_u32_e32 v5, vcc, v5, v13
	v_subb_co_u32_e64 v13, s[0:1], v15, v16, vcc
	v_subrev_co_u32_e64 v15, s[0:1], s40, v5
	v_subbrev_co_u32_e64 v13, s[0:1], 0, v13, s[0:1]
	v_cmp_le_u32_e64 s[0:1], s41, v13
	v_cndmask_b32_e64 v16, 0, -1, s[0:1]
	v_cmp_le_u32_e64 s[0:1], s40, v15
	v_cndmask_b32_e64 v15, 0, -1, s[0:1]
	v_cmp_eq_u32_e64 s[0:1], s41, v13
	v_cndmask_b32_e64 v13, v16, v15, s[0:1]
	v_add_co_u32_e64 v15, s[0:1], 2, v9
	v_subb_co_u32_e32 v7, vcc, v7, v14, vcc
	v_addc_co_u32_e64 v16, s[0:1], 0, v11, s[0:1]
	v_cmp_le_u32_e32 vcc, s41, v7
	v_add_co_u32_e64 v17, s[0:1], 1, v9
	v_cndmask_b32_e64 v14, 0, -1, vcc
	v_cmp_le_u32_e32 vcc, s40, v5
	v_addc_co_u32_e64 v18, s[0:1], 0, v11, s[0:1]
	v_cndmask_b32_e64 v5, 0, -1, vcc
	v_cmp_eq_u32_e32 vcc, s41, v7
	v_cmp_ne_u32_e64 s[0:1], 0, v13
	v_cndmask_b32_e32 v5, v14, v5, vcc
	v_cmp_ne_u32_e32 vcc, 0, v5
	v_cndmask_b32_e64 v7, v17, v15, s[0:1]
	v_cndmask_b32_e64 v13, v18, v16, s[0:1]
	v_cndmask_b32_e32 v7, v9, v7, vcc
	v_cndmask_b32_e32 v5, v11, v13, vcc
	v_xor_b32_e32 v7, v7, v3
	v_xor_b32_e32 v5, v5, v3
	v_sub_co_u32_e32 v14, vcc, v7, v3
	v_subb_co_u32_e32 v15, vcc, v5, v3, vcc
.LBB60_37:                              ;   in Loop: Header=BB60_23 Depth=2
	s_andn2_saveexec_b64 s[0:1], s[36:37]
	s_cbranch_execz .LBB60_39
; %bb.38:                               ;   in Loop: Header=BB60_23 Depth=2
	v_cvt_f32_u32_e32 v3, s54
	s_sub_i32 s16, 0, s54
	v_mov_b32_e32 v15, v2
	v_rcp_iflag_f32_e32 v3, v3
	v_mul_f32_e32 v3, 0x4f7ffffe, v3
	v_cvt_u32_f32_e32 v3, v3
	v_mul_lo_u32 v5, s16, v3
	v_mul_hi_u32 v5, v3, v5
	v_add_u32_e32 v3, v3, v5
	v_mul_hi_u32 v3, v12, v3
	v_mul_lo_u32 v5, v3, s54
	v_add_u32_e32 v7, 1, v3
	v_sub_u32_e32 v5, v12, v5
	v_subrev_u32_e32 v9, s54, v5
	v_cmp_le_u32_e32 vcc, s54, v5
	v_cndmask_b32_e32 v5, v5, v9, vcc
	v_cndmask_b32_e32 v3, v3, v7, vcc
	v_add_u32_e32 v7, 1, v3
	v_cmp_le_u32_e32 vcc, s54, v5
	v_cndmask_b32_e32 v14, v3, v7, vcc
.LBB60_39:                              ;   in Loop: Header=BB60_23 Depth=2
	s_or_b64 exec, exec, s[0:1]
	s_add_u32 s0, s4, s34
	s_addc_u32 s1, s5, s35
	s_add_i32 s16, s30, 3
	s_lshl_b64 s[34:35], s[16:17], 2
	s_add_u32 s36, s42, s34
	s_addc_u32 s37, s43, s35
	s_load_dword s55, s[36:37], 0x8
	s_load_dword s56, s[0:1], 0x6c
                                        ; implicit-def: $vgpr16_vgpr17
	s_waitcnt lgkmcnt(0)
	s_ashr_i32 s0, s55, 31
	v_or_b32_e32 v3, s0, v15
	v_cmp_ne_u64_e32 vcc, 0, v[2:3]
	s_and_saveexec_b64 s[36:37], vcc
	s_xor_b64 s[36:37], exec, s[36:37]
	s_cbranch_execz .LBB60_41
; %bb.40:                               ;   in Loop: Header=BB60_23 Depth=2
	s_ashr_i32 s38, s0, 31
	s_add_u32 s40, s55, s38
	s_mov_b32 s39, s38
	s_addc_u32 s41, s0, s38
	s_xor_b64 s[40:41], s[40:41], s[38:39]
	v_cvt_f32_u32_e32 v3, s40
	v_cvt_f32_u32_e32 v5, s41
	s_sub_u32 s16, 0, s40
	s_subb_u32 s31, 0, s41
	v_mac_f32_e32 v3, 0x4f800000, v5
	v_rcp_f32_e32 v3, v3
	v_mul_f32_e32 v3, 0x5f7ffffc, v3
	v_mul_f32_e32 v5, 0x2f800000, v3
	v_trunc_f32_e32 v5, v5
	v_mac_f32_e32 v3, 0xcf800000, v5
	v_cvt_u32_f32_e32 v5, v5
	v_cvt_u32_f32_e32 v3, v3
	v_readfirstlane_b32 s39, v5
	v_readfirstlane_b32 s0, v3
	s_mul_i32 s1, s16, s39
	s_mul_hi_u32 s58, s16, s0
	s_mul_i32 s57, s31, s0
	s_add_i32 s1, s58, s1
	s_add_i32 s1, s1, s57
	s_mul_i32 s59, s16, s0
	s_mul_i32 s58, s0, s1
	s_mul_hi_u32 s60, s0, s59
	s_mul_hi_u32 s57, s0, s1
	s_add_u32 s58, s60, s58
	s_addc_u32 s57, 0, s57
	s_mul_hi_u32 s61, s39, s59
	s_mul_i32 s59, s39, s59
	s_add_u32 s58, s58, s59
	s_mul_hi_u32 s60, s39, s1
	s_addc_u32 s57, s57, s61
	s_addc_u32 s58, s60, 0
	s_mul_i32 s1, s39, s1
	s_add_u32 s1, s57, s1
	s_addc_u32 s57, 0, s58
	s_add_u32 s58, s0, s1
	s_cselect_b64 s[0:1], -1, 0
	s_cmp_lg_u64 s[0:1], 0
	s_addc_u32 s39, s39, s57
	s_mul_i32 s0, s16, s39
	s_mul_hi_u32 s1, s16, s58
	s_add_i32 s0, s1, s0
	s_mul_i32 s31, s31, s58
	s_add_i32 s0, s0, s31
	s_mul_i32 s16, s16, s58
	s_mul_hi_u32 s31, s39, s16
	s_mul_i32 s57, s39, s16
	s_mul_i32 s60, s58, s0
	s_mul_hi_u32 s16, s58, s16
	s_mul_hi_u32 s59, s58, s0
	s_add_u32 s16, s16, s60
	s_addc_u32 s59, 0, s59
	s_add_u32 s16, s16, s57
	s_mul_hi_u32 s1, s39, s0
	s_addc_u32 s16, s59, s31
	s_addc_u32 s1, s1, 0
	s_mul_i32 s0, s39, s0
	s_add_u32 s0, s16, s0
	s_addc_u32 s16, 0, s1
	s_add_u32 s31, s58, s0
	s_cselect_b64 s[0:1], -1, 0
	v_ashrrev_i32_e32 v3, 31, v15
	s_cmp_lg_u64 s[0:1], 0
	v_add_co_u32_e32 v5, vcc, v14, v3
	s_addc_u32 s16, s39, s16
	v_xor_b32_e32 v5, v5, v3
	v_addc_co_u32_e32 v7, vcc, v15, v3, vcc
	v_mad_u64_u32 v[15:16], s[0:1], v5, s16, 0
	v_mul_hi_u32 v9, v5, s31
	v_xor_b32_e32 v7, v7, v3
	v_mad_u64_u32 v[17:18], s[0:1], v7, s16, 0
	v_add_co_u32_e32 v9, vcc, v9, v15
	v_addc_co_u32_e32 v11, vcc, 0, v16, vcc
	v_mad_u64_u32 v[15:16], s[0:1], v7, s31, 0
	v_xor_b32_e32 v3, s38, v3
	v_add_co_u32_e32 v9, vcc, v9, v15
	v_addc_co_u32_e32 v9, vcc, v11, v16, vcc
	v_addc_co_u32_e32 v11, vcc, 0, v18, vcc
	v_add_co_u32_e32 v9, vcc, v9, v17
	v_addc_co_u32_e32 v11, vcc, 0, v11, vcc
	v_mul_lo_u32 v13, s41, v9
	v_mul_lo_u32 v17, s40, v11
	v_mad_u64_u32 v[15:16], s[0:1], s40, v9, 0
	v_add3_u32 v13, v16, v17, v13
	v_sub_u32_e32 v16, v7, v13
	v_mov_b32_e32 v17, s41
	v_sub_co_u32_e32 v5, vcc, v5, v15
	v_subb_co_u32_e64 v15, s[0:1], v16, v17, vcc
	v_subrev_co_u32_e64 v16, s[0:1], s40, v5
	v_subbrev_co_u32_e64 v15, s[0:1], 0, v15, s[0:1]
	v_cmp_le_u32_e64 s[0:1], s41, v15
	v_cndmask_b32_e64 v17, 0, -1, s[0:1]
	v_cmp_le_u32_e64 s[0:1], s40, v16
	v_cndmask_b32_e64 v16, 0, -1, s[0:1]
	v_cmp_eq_u32_e64 s[0:1], s41, v15
	v_cndmask_b32_e64 v15, v17, v16, s[0:1]
	v_add_co_u32_e64 v16, s[0:1], 2, v9
	v_subb_co_u32_e32 v7, vcc, v7, v13, vcc
	v_addc_co_u32_e64 v17, s[0:1], 0, v11, s[0:1]
	v_cmp_le_u32_e32 vcc, s41, v7
	v_add_co_u32_e64 v18, s[0:1], 1, v9
	v_cndmask_b32_e64 v13, 0, -1, vcc
	v_cmp_le_u32_e32 vcc, s40, v5
	v_addc_co_u32_e64 v19, s[0:1], 0, v11, s[0:1]
	v_cndmask_b32_e64 v5, 0, -1, vcc
	v_cmp_eq_u32_e32 vcc, s41, v7
	v_cmp_ne_u32_e64 s[0:1], 0, v15
	v_cndmask_b32_e32 v5, v13, v5, vcc
	v_cmp_ne_u32_e32 vcc, 0, v5
	v_cndmask_b32_e64 v7, v18, v16, s[0:1]
	v_cndmask_b32_e64 v15, v19, v17, s[0:1]
	v_cndmask_b32_e32 v7, v9, v7, vcc
	v_cndmask_b32_e32 v5, v11, v15, vcc
	v_xor_b32_e32 v7, v7, v3
	v_xor_b32_e32 v5, v5, v3
	v_sub_co_u32_e32 v16, vcc, v7, v3
	v_subb_co_u32_e32 v17, vcc, v5, v3, vcc
.LBB60_41:                              ;   in Loop: Header=BB60_23 Depth=2
	s_andn2_saveexec_b64 s[0:1], s[36:37]
	s_cbranch_execz .LBB60_43
; %bb.42:                               ;   in Loop: Header=BB60_23 Depth=2
	v_cvt_f32_u32_e32 v3, s55
	s_sub_i32 s16, 0, s55
	v_mov_b32_e32 v17, v2
	v_rcp_iflag_f32_e32 v3, v3
	v_mul_f32_e32 v3, 0x4f7ffffe, v3
	v_cvt_u32_f32_e32 v3, v3
	v_mul_lo_u32 v5, s16, v3
	v_mul_hi_u32 v5, v3, v5
	v_add_u32_e32 v3, v3, v5
	v_mul_hi_u32 v3, v14, v3
	v_mul_lo_u32 v5, v3, s55
	v_add_u32_e32 v7, 1, v3
	v_sub_u32_e32 v5, v14, v5
	v_subrev_u32_e32 v9, s55, v5
	v_cmp_le_u32_e32 vcc, s55, v5
	v_cndmask_b32_e32 v5, v5, v9, vcc
	v_cndmask_b32_e32 v3, v3, v7, vcc
	v_add_u32_e32 v7, 1, v3
	v_cmp_le_u32_e32 vcc, s55, v5
	v_cndmask_b32_e32 v16, v3, v7, vcc
.LBB60_43:                              ;   in Loop: Header=BB60_23 Depth=2
	s_or_b64 exec, exec, s[0:1]
	s_add_u32 s0, s4, s34
	s_addc_u32 s1, s5, s35
	s_add_i32 s16, s30, 2
	s_lshl_b64 s[34:35], s[16:17], 2
	s_add_u32 s36, s42, s34
	s_addc_u32 s37, s43, s35
	s_load_dword s58, s[36:37], 0x8
	s_load_dword s57, s[0:1], 0x6c
                                        ; implicit-def: $vgpr18_vgpr19
	s_waitcnt lgkmcnt(0)
	s_ashr_i32 s0, s58, 31
	v_or_b32_e32 v3, s0, v17
	v_cmp_ne_u64_e32 vcc, 0, v[2:3]
	s_and_saveexec_b64 s[36:37], vcc
	s_xor_b64 s[36:37], exec, s[36:37]
	s_cbranch_execz .LBB60_45
; %bb.44:                               ;   in Loop: Header=BB60_23 Depth=2
	s_ashr_i32 s38, s0, 31
	s_add_u32 s40, s58, s38
	s_mov_b32 s39, s38
	s_addc_u32 s41, s0, s38
	s_xor_b64 s[40:41], s[40:41], s[38:39]
	v_cvt_f32_u32_e32 v3, s40
	v_cvt_f32_u32_e32 v5, s41
	s_sub_u32 s16, 0, s40
	s_subb_u32 s31, 0, s41
	v_mac_f32_e32 v3, 0x4f800000, v5
	v_rcp_f32_e32 v3, v3
	v_mul_f32_e32 v3, 0x5f7ffffc, v3
	v_mul_f32_e32 v5, 0x2f800000, v3
	v_trunc_f32_e32 v5, v5
	v_mac_f32_e32 v3, 0xcf800000, v5
	v_cvt_u32_f32_e32 v5, v5
	v_cvt_u32_f32_e32 v3, v3
	v_readfirstlane_b32 s39, v5
	v_readfirstlane_b32 s0, v3
	s_mul_i32 s1, s16, s39
	s_mul_hi_u32 s60, s16, s0
	s_mul_i32 s59, s31, s0
	s_add_i32 s1, s60, s1
	s_add_i32 s1, s1, s59
	s_mul_i32 s61, s16, s0
	s_mul_i32 s60, s0, s1
	s_mul_hi_u32 s62, s0, s61
	s_mul_hi_u32 s59, s0, s1
	s_add_u32 s60, s62, s60
	s_addc_u32 s59, 0, s59
	s_mul_hi_u32 s63, s39, s61
	s_mul_i32 s61, s39, s61
	s_add_u32 s60, s60, s61
	s_mul_hi_u32 s62, s39, s1
	s_addc_u32 s59, s59, s63
	s_addc_u32 s60, s62, 0
	s_mul_i32 s1, s39, s1
	s_add_u32 s1, s59, s1
	s_addc_u32 s59, 0, s60
	s_add_u32 s60, s0, s1
	s_cselect_b64 s[0:1], -1, 0
	s_cmp_lg_u64 s[0:1], 0
	s_addc_u32 s39, s39, s59
	s_mul_i32 s0, s16, s39
	s_mul_hi_u32 s1, s16, s60
	s_add_i32 s0, s1, s0
	s_mul_i32 s31, s31, s60
	s_add_i32 s0, s0, s31
	s_mul_i32 s16, s16, s60
	s_mul_hi_u32 s31, s39, s16
	s_mul_i32 s59, s39, s16
	s_mul_i32 s62, s60, s0
	s_mul_hi_u32 s16, s60, s16
	s_mul_hi_u32 s61, s60, s0
	s_add_u32 s16, s16, s62
	s_addc_u32 s61, 0, s61
	s_add_u32 s16, s16, s59
	s_mul_hi_u32 s1, s39, s0
	s_addc_u32 s16, s61, s31
	s_addc_u32 s1, s1, 0
	s_mul_i32 s0, s39, s0
	s_add_u32 s0, s16, s0
	s_addc_u32 s16, 0, s1
	s_add_u32 s31, s60, s0
	s_cselect_b64 s[0:1], -1, 0
	v_ashrrev_i32_e32 v3, 31, v17
	s_cmp_lg_u64 s[0:1], 0
	v_add_co_u32_e32 v5, vcc, v16, v3
	s_addc_u32 s16, s39, s16
	v_xor_b32_e32 v5, v5, v3
	v_addc_co_u32_e32 v7, vcc, v17, v3, vcc
	v_mad_u64_u32 v[17:18], s[0:1], v5, s16, 0
	v_mul_hi_u32 v9, v5, s31
	v_xor_b32_e32 v7, v7, v3
	v_mad_u64_u32 v[19:20], s[0:1], v7, s16, 0
	v_add_co_u32_e32 v9, vcc, v9, v17
	v_addc_co_u32_e32 v11, vcc, 0, v18, vcc
	v_mad_u64_u32 v[17:18], s[0:1], v7, s31, 0
	v_xor_b32_e32 v3, s38, v3
	v_add_co_u32_e32 v9, vcc, v9, v17
	v_addc_co_u32_e32 v9, vcc, v11, v18, vcc
	v_addc_co_u32_e32 v11, vcc, 0, v20, vcc
	v_add_co_u32_e32 v9, vcc, v9, v19
	v_addc_co_u32_e32 v11, vcc, 0, v11, vcc
	v_mul_lo_u32 v13, s41, v9
	v_mul_lo_u32 v15, s40, v11
	v_mad_u64_u32 v[17:18], s[0:1], s40, v9, 0
	v_add3_u32 v13, v18, v15, v13
	v_sub_u32_e32 v15, v7, v13
	v_mov_b32_e32 v18, s41
	v_sub_co_u32_e32 v5, vcc, v5, v17
	v_subb_co_u32_e64 v15, s[0:1], v15, v18, vcc
	v_subrev_co_u32_e64 v17, s[0:1], s40, v5
	v_subbrev_co_u32_e64 v15, s[0:1], 0, v15, s[0:1]
	v_cmp_le_u32_e64 s[0:1], s41, v15
	v_cndmask_b32_e64 v18, 0, -1, s[0:1]
	v_cmp_le_u32_e64 s[0:1], s40, v17
	v_cndmask_b32_e64 v17, 0, -1, s[0:1]
	v_cmp_eq_u32_e64 s[0:1], s41, v15
	v_cndmask_b32_e64 v15, v18, v17, s[0:1]
	v_add_co_u32_e64 v17, s[0:1], 2, v9
	v_subb_co_u32_e32 v7, vcc, v7, v13, vcc
	v_addc_co_u32_e64 v18, s[0:1], 0, v11, s[0:1]
	v_cmp_le_u32_e32 vcc, s41, v7
	v_add_co_u32_e64 v19, s[0:1], 1, v9
	v_cndmask_b32_e64 v13, 0, -1, vcc
	v_cmp_le_u32_e32 vcc, s40, v5
	v_addc_co_u32_e64 v20, s[0:1], 0, v11, s[0:1]
	v_cndmask_b32_e64 v5, 0, -1, vcc
	v_cmp_eq_u32_e32 vcc, s41, v7
	v_cmp_ne_u32_e64 s[0:1], 0, v15
	v_cndmask_b32_e32 v5, v13, v5, vcc
	v_cmp_ne_u32_e32 vcc, 0, v5
	v_cndmask_b32_e64 v7, v19, v17, s[0:1]
	v_cndmask_b32_e64 v15, v20, v18, s[0:1]
	v_cndmask_b32_e32 v7, v9, v7, vcc
	v_cndmask_b32_e32 v5, v11, v15, vcc
	v_xor_b32_e32 v7, v7, v3
	v_xor_b32_e32 v5, v5, v3
	v_sub_co_u32_e32 v18, vcc, v7, v3
	v_subb_co_u32_e32 v19, vcc, v5, v3, vcc
.LBB60_45:                              ;   in Loop: Header=BB60_23 Depth=2
	s_andn2_saveexec_b64 s[0:1], s[36:37]
	s_cbranch_execz .LBB60_47
; %bb.46:                               ;   in Loop: Header=BB60_23 Depth=2
	v_cvt_f32_u32_e32 v3, s58
	s_sub_i32 s16, 0, s58
	v_mov_b32_e32 v19, v2
	v_rcp_iflag_f32_e32 v3, v3
	v_mul_f32_e32 v3, 0x4f7ffffe, v3
	v_cvt_u32_f32_e32 v3, v3
	v_mul_lo_u32 v5, s16, v3
	v_mul_hi_u32 v5, v3, v5
	v_add_u32_e32 v3, v3, v5
	v_mul_hi_u32 v3, v16, v3
	v_mul_lo_u32 v5, v3, s58
	v_add_u32_e32 v7, 1, v3
	v_sub_u32_e32 v5, v16, v5
	v_subrev_u32_e32 v9, s58, v5
	v_cmp_le_u32_e32 vcc, s58, v5
	v_cndmask_b32_e32 v5, v5, v9, vcc
	v_cndmask_b32_e32 v3, v3, v7, vcc
	v_add_u32_e32 v7, 1, v3
	v_cmp_le_u32_e32 vcc, s58, v5
	v_cndmask_b32_e32 v18, v3, v7, vcc
.LBB60_47:                              ;   in Loop: Header=BB60_23 Depth=2
	s_or_b64 exec, exec, s[0:1]
	s_add_u32 s0, s4, s34
	s_addc_u32 s1, s5, s35
	s_add_i32 s16, s30, 1
	s_lshl_b64 s[34:35], s[16:17], 2
	s_add_u32 s36, s42, s34
	s_addc_u32 s37, s43, s35
	s_load_dword s59, s[36:37], 0x8
	s_load_dword s16, s[0:1], 0x6c
                                        ; implicit-def: $vgpr20_vgpr21
	s_waitcnt lgkmcnt(0)
	s_ashr_i32 s0, s59, 31
	v_or_b32_e32 v3, s0, v19
	v_cmp_ne_u64_e32 vcc, 0, v[2:3]
	s_and_saveexec_b64 s[36:37], vcc
	s_xor_b64 s[36:37], exec, s[36:37]
	s_cbranch_execz .LBB60_49
; %bb.48:                               ;   in Loop: Header=BB60_23 Depth=2
	s_ashr_i32 s38, s0, 31
	s_add_u32 s40, s59, s38
	s_mov_b32 s39, s38
	s_addc_u32 s41, s0, s38
	s_xor_b64 s[40:41], s[40:41], s[38:39]
	v_cvt_f32_u32_e32 v3, s40
	v_cvt_f32_u32_e32 v5, s41
	s_sub_u32 s31, 0, s40
	s_subb_u32 s39, 0, s41
	v_mov_b32_e32 v17, s41
	v_mac_f32_e32 v3, 0x4f800000, v5
	v_rcp_f32_e32 v3, v3
	v_mul_f32_e32 v3, 0x5f7ffffc, v3
	v_mul_f32_e32 v5, 0x2f800000, v3
	v_trunc_f32_e32 v5, v5
	v_mac_f32_e32 v3, 0xcf800000, v5
	v_cvt_u32_f32_e32 v5, v5
	v_cvt_u32_f32_e32 v3, v3
	v_readfirstlane_b32 s60, v5
	v_readfirstlane_b32 s0, v3
	s_mul_i32 s1, s31, s60
	s_mul_hi_u32 s62, s31, s0
	s_mul_i32 s61, s39, s0
	s_add_i32 s1, s62, s1
	s_add_i32 s1, s1, s61
	s_mul_i32 s63, s31, s0
	s_mul_i32 s62, s0, s1
	s_mul_hi_u32 s64, s0, s63
	s_mul_hi_u32 s61, s0, s1
	s_add_u32 s62, s64, s62
	s_addc_u32 s61, 0, s61
	s_mul_hi_u32 s65, s60, s63
	s_mul_i32 s63, s60, s63
	s_add_u32 s62, s62, s63
	s_mul_hi_u32 s64, s60, s1
	s_addc_u32 s61, s61, s65
	s_addc_u32 s62, s64, 0
	s_mul_i32 s1, s60, s1
	s_add_u32 s1, s61, s1
	s_addc_u32 s61, 0, s62
	s_add_u32 s62, s0, s1
	s_cselect_b64 s[0:1], -1, 0
	s_cmp_lg_u64 s[0:1], 0
	s_addc_u32 s60, s60, s61
	s_mul_i32 s0, s31, s60
	s_mul_hi_u32 s1, s31, s62
	s_add_i32 s0, s1, s0
	s_mul_i32 s39, s39, s62
	s_add_i32 s0, s0, s39
	s_mul_i32 s31, s31, s62
	s_mul_hi_u32 s39, s60, s31
	s_mul_i32 s61, s60, s31
	s_mul_i32 s64, s62, s0
	s_mul_hi_u32 s31, s62, s31
	s_mul_hi_u32 s63, s62, s0
	s_add_u32 s31, s31, s64
	s_addc_u32 s63, 0, s63
	s_add_u32 s31, s31, s61
	s_mul_hi_u32 s1, s60, s0
	s_addc_u32 s31, s63, s39
	s_addc_u32 s1, s1, 0
	s_mul_i32 s0, s60, s0
	s_add_u32 s0, s31, s0
	s_addc_u32 s31, 0, s1
	s_add_u32 s39, s62, s0
	s_cselect_b64 s[0:1], -1, 0
	v_ashrrev_i32_e32 v3, 31, v19
	s_cmp_lg_u64 s[0:1], 0
	v_add_co_u32_e32 v5, vcc, v18, v3
	s_addc_u32 s31, s60, s31
	v_xor_b32_e32 v5, v5, v3
	v_addc_co_u32_e32 v7, vcc, v19, v3, vcc
	v_mad_u64_u32 v[19:20], s[0:1], v5, s31, 0
	v_mul_hi_u32 v9, v5, s39
	v_xor_b32_e32 v7, v7, v3
	v_mad_u64_u32 v[21:22], s[0:1], v7, s31, 0
	v_add_co_u32_e32 v9, vcc, v9, v19
	v_addc_co_u32_e32 v11, vcc, 0, v20, vcc
	v_mad_u64_u32 v[19:20], s[0:1], v7, s39, 0
	v_xor_b32_e32 v3, s38, v3
	v_add_co_u32_e32 v9, vcc, v9, v19
	v_addc_co_u32_e32 v9, vcc, v11, v20, vcc
	v_addc_co_u32_e32 v11, vcc, 0, v22, vcc
	v_add_co_u32_e32 v9, vcc, v9, v21
	v_addc_co_u32_e32 v11, vcc, 0, v11, vcc
	v_mul_lo_u32 v13, s41, v9
	v_mul_lo_u32 v15, s40, v11
	v_mad_u64_u32 v[19:20], s[0:1], s40, v9, 0
	v_add3_u32 v13, v20, v15, v13
	v_sub_u32_e32 v15, v7, v13
	v_sub_co_u32_e32 v5, vcc, v5, v19
	v_subb_co_u32_e64 v15, s[0:1], v15, v17, vcc
	v_subrev_co_u32_e64 v17, s[0:1], s40, v5
	v_subbrev_co_u32_e64 v15, s[0:1], 0, v15, s[0:1]
	v_cmp_le_u32_e64 s[0:1], s41, v15
	v_cndmask_b32_e64 v19, 0, -1, s[0:1]
	v_cmp_le_u32_e64 s[0:1], s40, v17
	v_cndmask_b32_e64 v17, 0, -1, s[0:1]
	v_cmp_eq_u32_e64 s[0:1], s41, v15
	v_cndmask_b32_e64 v15, v19, v17, s[0:1]
	v_add_co_u32_e64 v17, s[0:1], 2, v9
	v_subb_co_u32_e32 v7, vcc, v7, v13, vcc
	v_addc_co_u32_e64 v19, s[0:1], 0, v11, s[0:1]
	v_cmp_le_u32_e32 vcc, s41, v7
	v_add_co_u32_e64 v20, s[0:1], 1, v9
	v_cndmask_b32_e64 v13, 0, -1, vcc
	v_cmp_le_u32_e32 vcc, s40, v5
	v_addc_co_u32_e64 v21, s[0:1], 0, v11, s[0:1]
	v_cndmask_b32_e64 v5, 0, -1, vcc
	v_cmp_eq_u32_e32 vcc, s41, v7
	v_cmp_ne_u32_e64 s[0:1], 0, v15
	v_cndmask_b32_e32 v5, v13, v5, vcc
	v_cmp_ne_u32_e32 vcc, 0, v5
	v_cndmask_b32_e64 v7, v20, v17, s[0:1]
	v_cndmask_b32_e64 v15, v21, v19, s[0:1]
	v_cndmask_b32_e32 v7, v9, v7, vcc
	v_cndmask_b32_e32 v5, v11, v15, vcc
	v_xor_b32_e32 v7, v7, v3
	v_xor_b32_e32 v5, v5, v3
	v_sub_co_u32_e32 v20, vcc, v7, v3
	v_subb_co_u32_e32 v21, vcc, v5, v3, vcc
.LBB60_49:                              ;   in Loop: Header=BB60_23 Depth=2
	s_andn2_saveexec_b64 s[0:1], s[36:37]
	s_cbranch_execz .LBB60_51
; %bb.50:                               ;   in Loop: Header=BB60_23 Depth=2
	v_cvt_f32_u32_e32 v3, s59
	s_sub_i32 s31, 0, s59
	v_mov_b32_e32 v21, v2
	v_rcp_iflag_f32_e32 v3, v3
	v_mul_f32_e32 v3, 0x4f7ffffe, v3
	v_cvt_u32_f32_e32 v3, v3
	v_mul_lo_u32 v5, s31, v3
	v_mul_hi_u32 v5, v3, v5
	v_add_u32_e32 v3, v3, v5
	v_mul_hi_u32 v3, v18, v3
	v_mul_lo_u32 v5, v3, s59
	v_add_u32_e32 v7, 1, v3
	v_sub_u32_e32 v5, v18, v5
	v_subrev_u32_e32 v9, s59, v5
	v_cmp_le_u32_e32 vcc, s59, v5
	v_cndmask_b32_e32 v5, v5, v9, vcc
	v_cndmask_b32_e32 v3, v3, v7, vcc
	v_add_u32_e32 v7, 1, v3
	v_cmp_le_u32_e32 vcc, s59, v5
	v_cndmask_b32_e32 v20, v3, v7, vcc
.LBB60_51:                              ;   in Loop: Header=BB60_23 Depth=2
	s_or_b64 exec, exec, s[0:1]
	s_add_u32 s0, s4, s34
	s_mov_b32 s31, s17
	s_addc_u32 s1, s5, s35
	s_lshl_b64 s[34:35], s[30:31], 2
	s_add_u32 s36, s42, s34
	s_addc_u32 s37, s43, s35
	s_load_dword s60, s[36:37], 0x8
	s_load_dword s31, s[0:1], 0x6c
                                        ; implicit-def: $vgpr22_vgpr23
	s_waitcnt lgkmcnt(0)
	s_ashr_i32 s0, s60, 31
	v_or_b32_e32 v3, s0, v21
	v_cmp_ne_u64_e32 vcc, 0, v[2:3]
	s_and_saveexec_b64 s[36:37], vcc
	s_xor_b64 s[36:37], exec, s[36:37]
	s_cbranch_execz .LBB60_53
; %bb.52:                               ;   in Loop: Header=BB60_23 Depth=2
	s_ashr_i32 s38, s0, 31
	s_add_u32 s40, s60, s38
	s_mov_b32 s39, s38
	s_addc_u32 s41, s0, s38
	s_xor_b64 s[40:41], s[40:41], s[38:39]
	v_cvt_f32_u32_e32 v3, s40
	v_cvt_f32_u32_e32 v5, s41
	s_sub_u32 s39, 0, s40
	s_subb_u32 s61, 0, s41
	v_mov_b32_e32 v17, s41
	v_mac_f32_e32 v3, 0x4f800000, v5
	v_rcp_f32_e32 v3, v3
	v_mul_f32_e32 v3, 0x5f7ffffc, v3
	v_mul_f32_e32 v5, 0x2f800000, v3
	v_trunc_f32_e32 v5, v5
	v_mac_f32_e32 v3, 0xcf800000, v5
	v_cvt_u32_f32_e32 v5, v5
	v_cvt_u32_f32_e32 v3, v3
	v_readfirstlane_b32 s62, v5
	v_readfirstlane_b32 s0, v3
	s_mul_i32 s1, s39, s62
	s_mul_hi_u32 s64, s39, s0
	s_mul_i32 s63, s61, s0
	s_add_i32 s1, s64, s1
	s_add_i32 s1, s1, s63
	s_mul_i32 s65, s39, s0
	s_mul_i32 s64, s0, s1
	s_mul_hi_u32 s66, s0, s65
	s_mul_hi_u32 s63, s0, s1
	s_add_u32 s64, s66, s64
	s_addc_u32 s63, 0, s63
	s_mul_hi_u32 s67, s62, s65
	s_mul_i32 s65, s62, s65
	s_add_u32 s64, s64, s65
	s_mul_hi_u32 s66, s62, s1
	s_addc_u32 s63, s63, s67
	s_addc_u32 s64, s66, 0
	s_mul_i32 s1, s62, s1
	s_add_u32 s1, s63, s1
	s_addc_u32 s63, 0, s64
	s_add_u32 s64, s0, s1
	s_cselect_b64 s[0:1], -1, 0
	s_cmp_lg_u64 s[0:1], 0
	s_addc_u32 s62, s62, s63
	s_mul_i32 s0, s39, s62
	s_mul_hi_u32 s1, s39, s64
	s_add_i32 s0, s1, s0
	s_mul_i32 s61, s61, s64
	s_add_i32 s0, s0, s61
	s_mul_i32 s39, s39, s64
	s_mul_hi_u32 s61, s62, s39
	s_mul_i32 s63, s62, s39
	s_mul_i32 s66, s64, s0
	s_mul_hi_u32 s39, s64, s39
	s_mul_hi_u32 s65, s64, s0
	s_add_u32 s39, s39, s66
	s_addc_u32 s65, 0, s65
	s_add_u32 s39, s39, s63
	s_mul_hi_u32 s1, s62, s0
	s_addc_u32 s39, s65, s61
	s_addc_u32 s1, s1, 0
	s_mul_i32 s0, s62, s0
	s_add_u32 s0, s39, s0
	s_addc_u32 s39, 0, s1
	s_add_u32 s61, s64, s0
	s_cselect_b64 s[0:1], -1, 0
	v_ashrrev_i32_e32 v3, 31, v21
	s_cmp_lg_u64 s[0:1], 0
	v_add_co_u32_e32 v5, vcc, v20, v3
	s_addc_u32 s39, s62, s39
	v_xor_b32_e32 v5, v5, v3
	v_addc_co_u32_e32 v7, vcc, v21, v3, vcc
	v_mad_u64_u32 v[21:22], s[0:1], v5, s39, 0
	v_mul_hi_u32 v9, v5, s61
	v_xor_b32_e32 v7, v7, v3
	v_mad_u64_u32 v[26:27], s[0:1], v7, s39, 0
	v_add_co_u32_e32 v9, vcc, v9, v21
	v_addc_co_u32_e32 v11, vcc, 0, v22, vcc
	v_mad_u64_u32 v[21:22], s[0:1], v7, s61, 0
	v_xor_b32_e32 v3, s38, v3
	v_add_co_u32_e32 v9, vcc, v9, v21
	v_addc_co_u32_e32 v9, vcc, v11, v22, vcc
	v_addc_co_u32_e32 v11, vcc, 0, v27, vcc
	v_add_co_u32_e32 v9, vcc, v9, v26
	v_addc_co_u32_e32 v11, vcc, 0, v11, vcc
	v_mul_lo_u32 v13, s41, v9
	v_mul_lo_u32 v15, s40, v11
	v_mad_u64_u32 v[21:22], s[0:1], s40, v9, 0
	v_add3_u32 v13, v22, v15, v13
	v_sub_u32_e32 v15, v7, v13
	v_sub_co_u32_e32 v5, vcc, v5, v21
	v_subb_co_u32_e64 v15, s[0:1], v15, v17, vcc
	v_subrev_co_u32_e64 v17, s[0:1], s40, v5
	v_subbrev_co_u32_e64 v15, s[0:1], 0, v15, s[0:1]
	v_cmp_le_u32_e64 s[0:1], s41, v15
	v_cndmask_b32_e64 v19, 0, -1, s[0:1]
	v_cmp_le_u32_e64 s[0:1], s40, v17
	v_cndmask_b32_e64 v17, 0, -1, s[0:1]
	v_cmp_eq_u32_e64 s[0:1], s41, v15
	v_cndmask_b32_e64 v15, v19, v17, s[0:1]
	v_add_co_u32_e64 v17, s[0:1], 2, v9
	v_subb_co_u32_e32 v7, vcc, v7, v13, vcc
	v_addc_co_u32_e64 v19, s[0:1], 0, v11, s[0:1]
	v_cmp_le_u32_e32 vcc, s41, v7
	v_add_co_u32_e64 v21, s[0:1], 1, v9
	v_cndmask_b32_e64 v13, 0, -1, vcc
	v_cmp_le_u32_e32 vcc, s40, v5
	v_addc_co_u32_e64 v22, s[0:1], 0, v11, s[0:1]
	v_cndmask_b32_e64 v5, 0, -1, vcc
	v_cmp_eq_u32_e32 vcc, s41, v7
	v_cmp_ne_u32_e64 s[0:1], 0, v15
	v_cndmask_b32_e32 v5, v13, v5, vcc
	v_cmp_ne_u32_e32 vcc, 0, v5
	v_cndmask_b32_e64 v7, v21, v17, s[0:1]
	v_cndmask_b32_e64 v15, v22, v19, s[0:1]
	v_cndmask_b32_e32 v7, v9, v7, vcc
	v_cndmask_b32_e32 v5, v11, v15, vcc
	v_xor_b32_e32 v7, v7, v3
	v_xor_b32_e32 v5, v5, v3
	v_sub_co_u32_e32 v22, vcc, v7, v3
	v_subb_co_u32_e32 v23, vcc, v5, v3, vcc
.LBB60_53:                              ;   in Loop: Header=BB60_23 Depth=2
	s_andn2_saveexec_b64 s[0:1], s[36:37]
	s_cbranch_execz .LBB60_55
; %bb.54:                               ;   in Loop: Header=BB60_23 Depth=2
	v_cvt_f32_u32_e32 v3, s60
	s_sub_i32 s36, 0, s60
	v_mov_b32_e32 v23, v2
	v_rcp_iflag_f32_e32 v3, v3
	v_mul_f32_e32 v3, 0x4f7ffffe, v3
	v_cvt_u32_f32_e32 v3, v3
	v_mul_lo_u32 v5, s36, v3
	v_mul_hi_u32 v5, v3, v5
	v_add_u32_e32 v3, v3, v5
	v_mul_hi_u32 v3, v20, v3
	v_mul_lo_u32 v5, v3, s60
	v_add_u32_e32 v7, 1, v3
	v_sub_u32_e32 v5, v20, v5
	v_subrev_u32_e32 v9, s60, v5
	v_cmp_le_u32_e32 vcc, s60, v5
	v_cndmask_b32_e32 v5, v5, v9, vcc
	v_cndmask_b32_e32 v3, v3, v7, vcc
	v_add_u32_e32 v7, 1, v3
	v_cmp_le_u32_e32 vcc, s60, v5
	v_cndmask_b32_e32 v22, v3, v7, vcc
.LBB60_55:                              ;   in Loop: Header=BB60_23 Depth=2
	s_or_b64 exec, exec, s[0:1]
	v_mul_lo_u32 v3, v8, s25
	v_mul_lo_u32 v5, v10, s50
	v_mul_lo_u32 v7, v12, s52
	s_add_u32 s0, s4, s34
	v_sub_u32_e32 v3, v6, v3
	v_mul_lo_u32 v6, v14, s54
	v_sub_u32_e32 v5, v8, v5
	v_mul_lo_u32 v3, s28, v3
	v_mul_lo_u32 v5, s51, v5
	v_sub_u32_e32 v7, v10, v7
	v_sub_u32_e32 v6, v12, v6
	v_mul_lo_u32 v7, s53, v7
	v_mul_lo_u32 v6, s56, v6
	;; [unrolled: 1-line block ×3, first 2 shown]
	v_add3_u32 v3, v3, v4, v5
	v_mul_lo_u32 v4, v18, s58
	s_addc_u32 s1, s5, s35
	v_add3_u32 v3, v7, v3, v6
	v_mul_lo_u32 v6, v20, s59
	v_mul_lo_u32 v7, v22, s60
	s_load_dword s0, s[0:1], 0x6c
	v_sub_u32_e32 v5, v14, v8
	v_sub_u32_e32 v4, v16, v4
	v_mul_lo_u32 v5, s57, v5
	v_mul_lo_u32 v4, s16, v4
	v_sub_u32_e32 v6, v18, v6
	v_sub_u32_e32 v7, v20, v7
	v_mul_lo_u32 v6, s31, v6
	s_waitcnt lgkmcnt(0)
	v_mul_lo_u32 v7, s0, v7
	v_add3_u32 v3, v5, v3, v4
	s_add_i32 s30, s30, -8
	s_cmp_eq_u32 s30, -8
	v_add3_u32 v4, v6, v3, v7
	s_cbranch_scc1 .LBB60_57
; %bb.56:                               ;   in Loop: Header=BB60_23 Depth=2
	v_mov_b32_e32 v6, v22
	v_mov_b32_e32 v7, v23
	s_branch .LBB60_23
.LBB60_57:                              ;   in Loop: Header=BB60_3 Depth=1
	s_load_dword s0, s[2:3], 0x4
	s_waitcnt lgkmcnt(0)
	v_cmp_gt_i32_e32 vcc, s0, v25
	s_and_b64 exec, exec, vcc
	s_cbranch_execz .LBB60_2
; %bb.58:                               ;   in Loop: Header=BB60_3 Depth=1
	v_ashrrev_i32_e32 v5, 31, v4
	v_lshlrev_b64 v[5:6], 2, v[4:5]
	v_mov_b32_e32 v3, s13
	v_add_co_u32_e32 v5, vcc, s12, v5
	v_addc_co_u32_e32 v6, vcc, v3, v6, vcc
	v_add_u32_e32 v3, 1, v25
	v_cmp_gt_i32_e32 vcc, s0, v3
	global_store_dword v[5:6], v2, off
	s_and_b64 exec, exec, vcc
	s_cbranch_execz .LBB60_2
; %bb.59:                               ;   in Loop: Header=BB60_3 Depth=1
	v_sub_u32_e32 v5, v3, v24
	v_ashrrev_i32_e32 v6, 31, v5
	v_cmp_gt_i64_e32 vcc, s[8:9], v[5:6]
	s_and_b64 exec, exec, vcc
	s_cbranch_execz .LBB60_2
; %bb.60:                               ;   in Loop: Header=BB60_3 Depth=1
	v_add_u32_e32 v3, s29, v4
	v_ashrrev_i32_e32 v4, 31, v3
	v_lshlrev_b64 v[3:4], 2, v[3:4]
	v_mov_b32_e32 v5, s13
	v_add_co_u32_e32 v3, vcc, s12, v3
	v_addc_co_u32_e32 v4, vcc, v5, v4, vcc
	global_store_dword v[3:4], v2, off
	s_branch .LBB60_2
.LBB60_61:
	s_endpgm
	.section	.rodata,"a",@progbits
	.p2align	6, 0x0
	.amdhsa_kernel _ZN2at6native16triu_tril_kernelIiiLb1ELi2ELb1EEEvNS_4cuda6detail10TensorInfoIT_T0_EENS4_IKS5_S6_EEllS6_
		.amdhsa_group_segment_fixed_size 0
		.amdhsa_private_segment_fixed_size 0
		.amdhsa_kernarg_size 712
		.amdhsa_user_sgpr_count 6
		.amdhsa_user_sgpr_private_segment_buffer 1
		.amdhsa_user_sgpr_dispatch_ptr 0
		.amdhsa_user_sgpr_queue_ptr 0
		.amdhsa_user_sgpr_kernarg_segment_ptr 1
		.amdhsa_user_sgpr_dispatch_id 0
		.amdhsa_user_sgpr_flat_scratch_init 0
		.amdhsa_user_sgpr_private_segment_size 0
		.amdhsa_uses_dynamic_stack 0
		.amdhsa_system_sgpr_private_segment_wavefront_offset 0
		.amdhsa_system_sgpr_workgroup_id_x 1
		.amdhsa_system_sgpr_workgroup_id_y 0
		.amdhsa_system_sgpr_workgroup_id_z 0
		.amdhsa_system_sgpr_workgroup_info 0
		.amdhsa_system_vgpr_workitem_id 0
		.amdhsa_next_free_vgpr 28
		.amdhsa_next_free_sgpr 68
		.amdhsa_reserve_vcc 1
		.amdhsa_reserve_flat_scratch 0
		.amdhsa_float_round_mode_32 0
		.amdhsa_float_round_mode_16_64 0
		.amdhsa_float_denorm_mode_32 3
		.amdhsa_float_denorm_mode_16_64 3
		.amdhsa_dx10_clamp 1
		.amdhsa_ieee_mode 1
		.amdhsa_fp16_overflow 0
		.amdhsa_exception_fp_ieee_invalid_op 0
		.amdhsa_exception_fp_denorm_src 0
		.amdhsa_exception_fp_ieee_div_zero 0
		.amdhsa_exception_fp_ieee_overflow 0
		.amdhsa_exception_fp_ieee_underflow 0
		.amdhsa_exception_fp_ieee_inexact 0
		.amdhsa_exception_int_div_zero 0
	.end_amdhsa_kernel
	.section	.text._ZN2at6native16triu_tril_kernelIiiLb1ELi2ELb1EEEvNS_4cuda6detail10TensorInfoIT_T0_EENS4_IKS5_S6_EEllS6_,"axG",@progbits,_ZN2at6native16triu_tril_kernelIiiLb1ELi2ELb1EEEvNS_4cuda6detail10TensorInfoIT_T0_EENS4_IKS5_S6_EEllS6_,comdat
.Lfunc_end60:
	.size	_ZN2at6native16triu_tril_kernelIiiLb1ELi2ELb1EEEvNS_4cuda6detail10TensorInfoIT_T0_EENS4_IKS5_S6_EEllS6_, .Lfunc_end60-_ZN2at6native16triu_tril_kernelIiiLb1ELi2ELb1EEEvNS_4cuda6detail10TensorInfoIT_T0_EENS4_IKS5_S6_EEllS6_
                                        ; -- End function
	.set _ZN2at6native16triu_tril_kernelIiiLb1ELi2ELb1EEEvNS_4cuda6detail10TensorInfoIT_T0_EENS4_IKS5_S6_EEllS6_.num_vgpr, 28
	.set _ZN2at6native16triu_tril_kernelIiiLb1ELi2ELb1EEEvNS_4cuda6detail10TensorInfoIT_T0_EENS4_IKS5_S6_EEllS6_.num_agpr, 0
	.set _ZN2at6native16triu_tril_kernelIiiLb1ELi2ELb1EEEvNS_4cuda6detail10TensorInfoIT_T0_EENS4_IKS5_S6_EEllS6_.numbered_sgpr, 68
	.set _ZN2at6native16triu_tril_kernelIiiLb1ELi2ELb1EEEvNS_4cuda6detail10TensorInfoIT_T0_EENS4_IKS5_S6_EEllS6_.num_named_barrier, 0
	.set _ZN2at6native16triu_tril_kernelIiiLb1ELi2ELb1EEEvNS_4cuda6detail10TensorInfoIT_T0_EENS4_IKS5_S6_EEllS6_.private_seg_size, 0
	.set _ZN2at6native16triu_tril_kernelIiiLb1ELi2ELb1EEEvNS_4cuda6detail10TensorInfoIT_T0_EENS4_IKS5_S6_EEllS6_.uses_vcc, 1
	.set _ZN2at6native16triu_tril_kernelIiiLb1ELi2ELb1EEEvNS_4cuda6detail10TensorInfoIT_T0_EENS4_IKS5_S6_EEllS6_.uses_flat_scratch, 0
	.set _ZN2at6native16triu_tril_kernelIiiLb1ELi2ELb1EEEvNS_4cuda6detail10TensorInfoIT_T0_EENS4_IKS5_S6_EEllS6_.has_dyn_sized_stack, 0
	.set _ZN2at6native16triu_tril_kernelIiiLb1ELi2ELb1EEEvNS_4cuda6detail10TensorInfoIT_T0_EENS4_IKS5_S6_EEllS6_.has_recursion, 0
	.set _ZN2at6native16triu_tril_kernelIiiLb1ELi2ELb1EEEvNS_4cuda6detail10TensorInfoIT_T0_EENS4_IKS5_S6_EEllS6_.has_indirect_call, 0
	.section	.AMDGPU.csdata,"",@progbits
; Kernel info:
; codeLenInByte = 9316
; TotalNumSgprs: 72
; NumVgprs: 28
; ScratchSize: 0
; MemoryBound: 0
; FloatMode: 240
; IeeeMode: 1
; LDSByteSize: 0 bytes/workgroup (compile time only)
; SGPRBlocks: 8
; VGPRBlocks: 6
; NumSGPRsForWavesPerEU: 72
; NumVGPRsForWavesPerEU: 28
; Occupancy: 9
; WaveLimiterHint : 0
; COMPUTE_PGM_RSRC2:SCRATCH_EN: 0
; COMPUTE_PGM_RSRC2:USER_SGPR: 6
; COMPUTE_PGM_RSRC2:TRAP_HANDLER: 0
; COMPUTE_PGM_RSRC2:TGID_X_EN: 1
; COMPUTE_PGM_RSRC2:TGID_Y_EN: 0
; COMPUTE_PGM_RSRC2:TGID_Z_EN: 0
; COMPUTE_PGM_RSRC2:TIDIG_COMP_CNT: 0
	.section	.text._ZN2at6native16triu_tril_kernelIiiLb1ELi2ELb0EEEvNS_4cuda6detail10TensorInfoIT_T0_EENS4_IKS5_S6_EEllS6_,"axG",@progbits,_ZN2at6native16triu_tril_kernelIiiLb1ELi2ELb0EEEvNS_4cuda6detail10TensorInfoIT_T0_EENS4_IKS5_S6_EEllS6_,comdat
	.protected	_ZN2at6native16triu_tril_kernelIiiLb1ELi2ELb0EEEvNS_4cuda6detail10TensorInfoIT_T0_EENS4_IKS5_S6_EEllS6_ ; -- Begin function _ZN2at6native16triu_tril_kernelIiiLb1ELi2ELb0EEEvNS_4cuda6detail10TensorInfoIT_T0_EENS4_IKS5_S6_EEllS6_
	.globl	_ZN2at6native16triu_tril_kernelIiiLb1ELi2ELb0EEEvNS_4cuda6detail10TensorInfoIT_T0_EENS4_IKS5_S6_EEllS6_
	.p2align	8
	.type	_ZN2at6native16triu_tril_kernelIiiLb1ELi2ELb0EEEvNS_4cuda6detail10TensorInfoIT_T0_EENS4_IKS5_S6_EEllS6_,@function
_ZN2at6native16triu_tril_kernelIiiLb1ELi2ELb0EEEvNS_4cuda6detail10TensorInfoIT_T0_EENS4_IKS5_S6_EEllS6_: ; @_ZN2at6native16triu_tril_kernelIiiLb1ELi2ELb0EEEvNS_4cuda6detail10TensorInfoIT_T0_EENS4_IKS5_S6_EEllS6_
; %bb.0:
	s_load_dword s2, s[4:5], 0x1d4
	s_load_dwordx4 s[8:11], s[4:5], 0x1b0
	s_add_u32 s0, s4, 0x1c8
	v_mov_b32_e32 v2, 0
	s_addc_u32 s1, s5, 0
	s_waitcnt lgkmcnt(0)
	s_and_b32 s12, s2, 0xffff
	v_mov_b32_e32 v1, v2
	v_mov_b32_e32 v3, s6
	v_mad_u64_u32 v[0:1], s[2:3], s12, v3, v[0:1]
	v_lshlrev_b64 v[0:1], 1, v[0:1]
	v_cmp_gt_i64_e32 vcc, s[10:11], v[0:1]
	s_and_saveexec_b64 s[2:3], vcc
	s_cbranch_execz .LBB61_48
; %bb.1:
	s_load_dword s33, s[4:5], 0x1c0
	s_load_dwordx2 s[2:3], s[4:5], 0xd8
	s_load_dwordx2 s[18:19], s[4:5], 0x0
	s_load_dword s20, s[4:5], 0x1a8
	s_load_dword s13, s[0:1], 0x0
	s_add_u32 s46, s4, 0xd8
	s_addc_u32 s47, s5, 0
	s_waitcnt lgkmcnt(0)
	s_ashr_i32 s48, s33, 31
	s_ashr_i32 s21, s20, 31
	s_lshl_b64 s[0:1], s[20:21], 2
	s_add_u32 s16, s46, s0
	s_addc_u32 s17, s47, s1
	s_load_dwordx2 s[6:7], s[16:17], 0x0
	s_load_dwordx2 s[14:15], s[16:17], 0x64
	s_mul_i32 s22, s13, s12
	v_cmp_gt_i64_e64 s[12:13], s[20:21], 2
	s_mov_b32 s21, 0
	s_waitcnt lgkmcnt(0)
	s_ashr_i32 s49, s6, 31
	s_add_u32 s0, s4, s0
	s_addc_u32 s1, s5, s1
	s_load_dwordx2 s[16:17], s[0:1], 0x64
	s_add_i32 s50, s20, -3
	s_lshl_b32 s51, s22, 1
	s_and_b32 s52, s20, 3
	s_cmp_lg_u32 s52, 2
	s_cselect_b64 s[22:23], -1, 0
	s_cmp_gt_u32 s50, 2
	s_cselect_b64 s[24:25], -1, 0
	s_ashr_i32 s27, s15, 31
	s_mov_b32 s26, s15
	s_waitcnt lgkmcnt(0)
	s_ashr_i32 s29, s17, 31
	s_mov_b32 s28, s17
	s_mov_b64 s[30:31], 0
	s_ashr_i32 s34, s48, 31
	s_branch .LBB61_3
.LBB61_2:                               ;   in Loop: Header=BB61_3 Depth=1
	s_or_b64 exec, exec, s[0:1]
	v_add_co_u32_e32 v0, vcc, s51, v0
	v_addc_co_u32_e32 v1, vcc, 0, v1, vcc
	v_cmp_le_i64_e32 vcc, s[10:11], v[0:1]
	s_or_b64 s[30:31], vcc, s[30:31]
	s_andn2_b64 exec, exec, s[30:31]
	s_cbranch_execz .LBB61_48
.LBB61_3:                               ; =>This Loop Header: Depth=1
                                        ;     Child Loop BB61_13 Depth 2
                                        ;     Child Loop BB61_21 Depth 2
	v_or_b32_e32 v3, s48, v1
	v_cmp_ne_u64_e32 vcc, 0, v[2:3]
                                        ; implicit-def: $vgpr4_vgpr5
	s_and_saveexec_b64 s[0:1], vcc
	s_xor_b64 s[36:37], exec, s[0:1]
	s_cbranch_execz .LBB61_5
; %bb.4:                                ;   in Loop: Header=BB61_3 Depth=1
	s_add_u32 s0, s33, s34
	s_mov_b32 s35, s34
	s_addc_u32 s1, s48, s34
	s_xor_b64 s[38:39], s[0:1], s[34:35]
	v_cvt_f32_u32_e32 v3, s38
	v_cvt_f32_u32_e32 v4, s39
	s_sub_u32 s15, 0, s38
	s_subb_u32 s17, 0, s39
	v_ashrrev_i32_e32 v7, 31, v1
	v_mac_f32_e32 v3, 0x4f800000, v4
	v_rcp_f32_e32 v3, v3
	v_mul_f32_e32 v3, 0x5f7ffffc, v3
	v_mul_f32_e32 v4, 0x2f800000, v3
	v_trunc_f32_e32 v4, v4
	v_mac_f32_e32 v3, 0xcf800000, v4
	v_cvt_u32_f32_e32 v4, v4
	v_cvt_u32_f32_e32 v3, v3
	v_readfirstlane_b32 s20, v4
	v_readfirstlane_b32 s0, v3
	s_mul_i32 s1, s15, s20
	s_mul_hi_u32 s40, s15, s0
	s_mul_i32 s35, s17, s0
	s_add_i32 s1, s40, s1
	s_add_i32 s1, s1, s35
	s_mul_i32 s41, s15, s0
	s_mul_i32 s40, s0, s1
	s_mul_hi_u32 s42, s0, s41
	s_mul_hi_u32 s35, s0, s1
	s_add_u32 s40, s42, s40
	s_addc_u32 s35, 0, s35
	s_mul_hi_u32 s43, s20, s41
	s_mul_i32 s41, s20, s41
	s_add_u32 s40, s40, s41
	s_mul_hi_u32 s42, s20, s1
	s_addc_u32 s35, s35, s43
	s_addc_u32 s40, s42, 0
	s_mul_i32 s1, s20, s1
	s_add_u32 s1, s35, s1
	s_addc_u32 s35, 0, s40
	s_add_u32 s40, s0, s1
	s_cselect_b64 s[0:1], -1, 0
	s_cmp_lg_u64 s[0:1], 0
	s_addc_u32 s20, s20, s35
	s_mul_i32 s0, s15, s20
	s_mul_hi_u32 s1, s15, s40
	s_add_i32 s0, s1, s0
	s_mul_i32 s17, s17, s40
	s_add_i32 s0, s0, s17
	s_mul_i32 s15, s15, s40
	s_mul_hi_u32 s17, s20, s15
	s_mul_i32 s35, s20, s15
	s_mul_i32 s42, s40, s0
	s_mul_hi_u32 s15, s40, s15
	s_mul_hi_u32 s41, s40, s0
	s_add_u32 s15, s15, s42
	s_addc_u32 s41, 0, s41
	s_add_u32 s15, s15, s35
	s_mul_hi_u32 s1, s20, s0
	s_addc_u32 s15, s41, s17
	s_addc_u32 s1, s1, 0
	s_mul_i32 s0, s20, s0
	s_add_u32 s0, s15, s0
	s_addc_u32 s15, 0, s1
	s_add_u32 s17, s40, s0
	s_cselect_b64 s[0:1], -1, 0
	s_cmp_lg_u64 s[0:1], 0
	v_add_co_u32_e32 v3, vcc, v0, v7
	s_addc_u32 s15, s20, s15
	v_xor_b32_e32 v8, v3, v7
	v_mad_u64_u32 v[3:4], s[0:1], v8, s15, 0
	v_mul_hi_u32 v6, v8, s17
	v_addc_co_u32_e32 v5, vcc, v1, v7, vcc
	v_xor_b32_e32 v9, v5, v7
	v_add_co_u32_e32 v10, vcc, v6, v3
	v_addc_co_u32_e32 v11, vcc, 0, v4, vcc
	v_mad_u64_u32 v[3:4], s[0:1], v9, s17, 0
	v_mad_u64_u32 v[5:6], s[0:1], v9, s15, 0
	v_add_co_u32_e32 v3, vcc, v10, v3
	v_addc_co_u32_e32 v3, vcc, v11, v4, vcc
	v_addc_co_u32_e32 v4, vcc, 0, v6, vcc
	v_add_co_u32_e32 v5, vcc, v3, v5
	v_addc_co_u32_e32 v6, vcc, 0, v4, vcc
	v_mul_lo_u32 v10, s39, v5
	v_mul_lo_u32 v11, s38, v6
	v_mad_u64_u32 v[3:4], s[0:1], s38, v5, 0
	v_add3_u32 v4, v4, v11, v10
	v_sub_u32_e32 v10, v9, v4
	v_mov_b32_e32 v11, s39
	v_sub_co_u32_e32 v3, vcc, v8, v3
	v_subb_co_u32_e64 v8, s[0:1], v10, v11, vcc
	v_subrev_co_u32_e64 v10, s[0:1], s38, v3
	v_subbrev_co_u32_e64 v8, s[0:1], 0, v8, s[0:1]
	v_cmp_le_u32_e64 s[0:1], s39, v8
	v_cndmask_b32_e64 v11, 0, -1, s[0:1]
	v_cmp_le_u32_e64 s[0:1], s38, v10
	v_cndmask_b32_e64 v10, 0, -1, s[0:1]
	v_cmp_eq_u32_e64 s[0:1], s39, v8
	v_cndmask_b32_e64 v8, v11, v10, s[0:1]
	v_add_co_u32_e64 v10, s[0:1], 2, v5
	v_subb_co_u32_e32 v4, vcc, v9, v4, vcc
	v_addc_co_u32_e64 v11, s[0:1], 0, v6, s[0:1]
	v_cmp_le_u32_e32 vcc, s39, v4
	v_add_co_u32_e64 v12, s[0:1], 1, v5
	v_cndmask_b32_e64 v9, 0, -1, vcc
	v_cmp_le_u32_e32 vcc, s38, v3
	v_addc_co_u32_e64 v13, s[0:1], 0, v6, s[0:1]
	v_cndmask_b32_e64 v3, 0, -1, vcc
	v_cmp_eq_u32_e32 vcc, s39, v4
	v_cmp_ne_u32_e64 s[0:1], 0, v8
	v_cndmask_b32_e32 v3, v9, v3, vcc
	v_cmp_ne_u32_e32 vcc, 0, v3
	v_cndmask_b32_e64 v4, v12, v10, s[0:1]
	v_cndmask_b32_e64 v8, v13, v11, s[0:1]
	v_cndmask_b32_e32 v4, v5, v4, vcc
	v_xor_b32_e32 v5, s34, v7
	v_cndmask_b32_e32 v3, v6, v8, vcc
	v_xor_b32_e32 v4, v4, v5
	v_xor_b32_e32 v3, v3, v5
	v_sub_co_u32_e32 v4, vcc, v4, v5
	v_subb_co_u32_e32 v5, vcc, v3, v5, vcc
.LBB61_5:                               ;   in Loop: Header=BB61_3 Depth=1
	s_andn2_saveexec_b64 s[0:1], s[36:37]
	s_cbranch_execz .LBB61_7
; %bb.6:                                ;   in Loop: Header=BB61_3 Depth=1
	v_cvt_f32_u32_e32 v3, s33
	s_sub_i32 s15, 0, s33
	v_rcp_iflag_f32_e32 v3, v3
	v_mul_f32_e32 v3, 0x4f7ffffe, v3
	v_cvt_u32_f32_e32 v3, v3
	v_mul_lo_u32 v4, s15, v3
	v_mul_hi_u32 v4, v3, v4
	v_add_u32_e32 v3, v3, v4
	v_mul_hi_u32 v3, v0, v3
	v_mul_lo_u32 v4, v3, s33
	v_add_u32_e32 v5, 1, v3
	v_sub_u32_e32 v4, v0, v4
	v_subrev_u32_e32 v6, s33, v4
	v_cmp_le_u32_e32 vcc, s33, v4
	v_cndmask_b32_e32 v4, v4, v6, vcc
	v_cndmask_b32_e32 v3, v3, v5, vcc
	v_add_u32_e32 v5, 1, v3
	v_cmp_le_u32_e32 vcc, s33, v4
	v_cndmask_b32_e32 v4, v3, v5, vcc
	v_mov_b32_e32 v5, v2
.LBB61_7:                               ;   in Loop: Header=BB61_3 Depth=1
	s_or_b64 exec, exec, s[0:1]
	v_or_b32_e32 v3, s49, v5
	v_cmp_ne_u64_e32 vcc, 0, v[2:3]
                                        ; implicit-def: $vgpr8_vgpr9
	s_and_saveexec_b64 s[0:1], vcc
	s_xor_b64 s[36:37], exec, s[0:1]
	s_cbranch_execz .LBB61_9
; %bb.8:                                ;   in Loop: Header=BB61_3 Depth=1
	s_ashr_i32 s38, s49, 31
	s_add_u32 s0, s6, s38
	s_mov_b32 s39, s38
	s_addc_u32 s1, s49, s38
	s_xor_b64 s[40:41], s[0:1], s[38:39]
	v_cvt_f32_u32_e32 v3, s40
	v_cvt_f32_u32_e32 v6, s41
	s_sub_u32 s15, 0, s40
	s_subb_u32 s17, 0, s41
	v_mac_f32_e32 v3, 0x4f800000, v6
	v_rcp_f32_e32 v3, v3
	v_mul_f32_e32 v3, 0x5f7ffffc, v3
	v_mul_f32_e32 v6, 0x2f800000, v3
	v_trunc_f32_e32 v6, v6
	v_mac_f32_e32 v3, 0xcf800000, v6
	v_cvt_u32_f32_e32 v6, v6
	v_cvt_u32_f32_e32 v3, v3
	v_readfirstlane_b32 s20, v6
	v_readfirstlane_b32 s0, v3
	s_mul_i32 s1, s15, s20
	s_mul_hi_u32 s39, s15, s0
	s_mul_i32 s35, s17, s0
	s_add_i32 s1, s39, s1
	s_add_i32 s1, s1, s35
	s_mul_i32 s42, s15, s0
	s_mul_i32 s39, s0, s1
	s_mul_hi_u32 s43, s0, s42
	s_mul_hi_u32 s35, s0, s1
	s_add_u32 s39, s43, s39
	s_addc_u32 s35, 0, s35
	s_mul_hi_u32 s44, s20, s42
	s_mul_i32 s42, s20, s42
	s_add_u32 s39, s39, s42
	s_mul_hi_u32 s43, s20, s1
	s_addc_u32 s35, s35, s44
	s_addc_u32 s39, s43, 0
	s_mul_i32 s1, s20, s1
	s_add_u32 s1, s35, s1
	s_addc_u32 s35, 0, s39
	s_add_u32 s39, s0, s1
	s_cselect_b64 s[0:1], -1, 0
	s_cmp_lg_u64 s[0:1], 0
	s_addc_u32 s20, s20, s35
	s_mul_i32 s0, s15, s20
	s_mul_hi_u32 s1, s15, s39
	s_add_i32 s0, s1, s0
	s_mul_i32 s17, s17, s39
	s_add_i32 s0, s0, s17
	s_mul_i32 s15, s15, s39
	s_mul_hi_u32 s17, s20, s15
	s_mul_i32 s35, s20, s15
	s_mul_i32 s43, s39, s0
	s_mul_hi_u32 s15, s39, s15
	s_mul_hi_u32 s42, s39, s0
	s_add_u32 s15, s15, s43
	s_addc_u32 s42, 0, s42
	s_add_u32 s15, s15, s35
	s_mul_hi_u32 s1, s20, s0
	s_addc_u32 s15, s42, s17
	s_addc_u32 s1, s1, 0
	s_mul_i32 s0, s20, s0
	s_add_u32 s0, s15, s0
	s_addc_u32 s15, 0, s1
	s_add_u32 s17, s39, s0
	s_cselect_b64 s[0:1], -1, 0
	v_ashrrev_i32_e32 v3, 31, v5
	s_cmp_lg_u64 s[0:1], 0
	v_add_co_u32_e32 v6, vcc, v4, v3
	s_addc_u32 s15, s20, s15
	v_xor_b32_e32 v9, v6, v3
	v_addc_co_u32_e32 v7, vcc, v5, v3, vcc
	v_mad_u64_u32 v[5:6], s[0:1], v9, s15, 0
	v_mul_hi_u32 v8, v9, s17
	v_xor_b32_e32 v10, v7, v3
	v_xor_b32_e32 v3, s38, v3
	v_add_co_u32_e32 v11, vcc, v8, v5
	v_addc_co_u32_e32 v12, vcc, 0, v6, vcc
	v_mad_u64_u32 v[5:6], s[0:1], v10, s17, 0
	v_mad_u64_u32 v[7:8], s[0:1], v10, s15, 0
	v_add_co_u32_e32 v5, vcc, v11, v5
	v_addc_co_u32_e32 v5, vcc, v12, v6, vcc
	v_addc_co_u32_e32 v6, vcc, 0, v8, vcc
	v_add_co_u32_e32 v7, vcc, v5, v7
	v_addc_co_u32_e32 v8, vcc, 0, v6, vcc
	v_mul_lo_u32 v11, s41, v7
	v_mul_lo_u32 v12, s40, v8
	v_mad_u64_u32 v[5:6], s[0:1], s40, v7, 0
	v_add3_u32 v6, v6, v12, v11
	v_sub_u32_e32 v11, v10, v6
	v_mov_b32_e32 v12, s41
	v_sub_co_u32_e32 v5, vcc, v9, v5
	v_subb_co_u32_e64 v9, s[0:1], v11, v12, vcc
	v_subrev_co_u32_e64 v11, s[0:1], s40, v5
	v_subbrev_co_u32_e64 v9, s[0:1], 0, v9, s[0:1]
	v_cmp_le_u32_e64 s[0:1], s41, v9
	v_cndmask_b32_e64 v12, 0, -1, s[0:1]
	v_cmp_le_u32_e64 s[0:1], s40, v11
	v_cndmask_b32_e64 v11, 0, -1, s[0:1]
	v_cmp_eq_u32_e64 s[0:1], s41, v9
	v_cndmask_b32_e64 v9, v12, v11, s[0:1]
	v_add_co_u32_e64 v11, s[0:1], 2, v7
	v_subb_co_u32_e32 v6, vcc, v10, v6, vcc
	v_addc_co_u32_e64 v12, s[0:1], 0, v8, s[0:1]
	v_cmp_le_u32_e32 vcc, s41, v6
	v_add_co_u32_e64 v13, s[0:1], 1, v7
	v_cndmask_b32_e64 v10, 0, -1, vcc
	v_cmp_le_u32_e32 vcc, s40, v5
	v_addc_co_u32_e64 v14, s[0:1], 0, v8, s[0:1]
	v_cndmask_b32_e64 v5, 0, -1, vcc
	v_cmp_eq_u32_e32 vcc, s41, v6
	v_cmp_ne_u32_e64 s[0:1], 0, v9
	v_cndmask_b32_e32 v5, v10, v5, vcc
	v_cmp_ne_u32_e32 vcc, 0, v5
	v_cndmask_b32_e64 v6, v13, v11, s[0:1]
	v_cndmask_b32_e64 v9, v14, v12, s[0:1]
	v_cndmask_b32_e32 v6, v7, v6, vcc
	v_cndmask_b32_e32 v5, v8, v9, vcc
	v_xor_b32_e32 v6, v6, v3
	v_xor_b32_e32 v5, v5, v3
	v_sub_co_u32_e32 v8, vcc, v6, v3
	v_subb_co_u32_e32 v9, vcc, v5, v3, vcc
.LBB61_9:                               ;   in Loop: Header=BB61_3 Depth=1
	s_andn2_saveexec_b64 s[0:1], s[36:37]
	s_cbranch_execz .LBB61_11
; %bb.10:                               ;   in Loop: Header=BB61_3 Depth=1
	v_cvt_f32_u32_e32 v3, s6
	s_sub_i32 s15, 0, s6
	v_mov_b32_e32 v9, v2
	v_rcp_iflag_f32_e32 v3, v3
	v_mul_f32_e32 v3, 0x4f7ffffe, v3
	v_cvt_u32_f32_e32 v3, v3
	v_mul_lo_u32 v5, s15, v3
	v_mul_hi_u32 v5, v3, v5
	v_add_u32_e32 v3, v3, v5
	v_mul_hi_u32 v3, v4, v3
	v_mul_lo_u32 v5, v3, s6
	v_add_u32_e32 v6, 1, v3
	v_sub_u32_e32 v5, v4, v5
	v_subrev_u32_e32 v7, s6, v5
	v_cmp_le_u32_e32 vcc, s6, v5
	v_cndmask_b32_e32 v5, v5, v7, vcc
	v_cndmask_b32_e32 v3, v3, v6, vcc
	v_add_u32_e32 v6, 1, v3
	v_cmp_le_u32_e32 vcc, s6, v5
	v_cndmask_b32_e32 v8, v3, v6, vcc
.LBB61_11:                              ;   in Loop: Header=BB61_3 Depth=1
	s_or_b64 exec, exec, s[0:1]
	v_mad_u64_u32 v[5:6], s[0:1], v4, s33, 0
	v_mad_u64_u32 v[6:7], s[0:1], v8, s6, 0
	v_sub_co_u32_e32 v18, vcc, v0, v5
	v_mul_lo_u32 v3, s26, v18
	v_sub_co_u32_e32 v19, vcc, v4, v6
	v_mul_lo_u32 v4, s28, v18
	s_andn2_b64 vcc, exec, s[12:13]
	v_mad_u64_u32 v[6:7], s[0:1], s14, v19, v[3:4]
	v_mad_u64_u32 v[4:5], s[0:1], s16, v19, v[4:5]
	s_cbranch_vccnz .LBB61_39
; %bb.12:                               ;   in Loop: Header=BB61_3 Depth=1
	s_mov_b32 s15, 1
	s_andn2_b64 vcc, exec, s[22:23]
	s_mov_b32 s20, s50
	s_mov_b32 s0, s50
	s_cbranch_vccnz .LBB61_20
.LBB61_13:                              ;   Parent Loop BB61_3 Depth=1
                                        ; =>  This Inner Loop Header: Depth=2
	s_lshl_b64 s[36:37], s[20:21], 2
	s_add_u32 s38, s46, s36
	s_addc_u32 s39, s47, s37
	s_load_dword s17, s[38:39], 0x8
                                        ; implicit-def: $vgpr10_vgpr11
	s_waitcnt lgkmcnt(0)
	s_ashr_i32 s0, s17, 31
	v_or_b32_e32 v3, s0, v9
	v_cmp_ne_u64_e32 vcc, 0, v[2:3]
	s_and_saveexec_b64 s[40:41], vcc
	s_xor_b64 s[40:41], exec, s[40:41]
	s_cbranch_execz .LBB61_15
; %bb.14:                               ;   in Loop: Header=BB61_13 Depth=2
	s_ashr_i32 s42, s0, 31
	s_add_u32 s44, s17, s42
	s_mov_b32 s43, s42
	s_addc_u32 s45, s0, s42
	s_xor_b64 s[44:45], s[44:45], s[42:43]
	v_cvt_f32_u32_e32 v3, s44
	v_cvt_f32_u32_e32 v5, s45
	s_sub_u32 s35, 0, s44
	s_subb_u32 s43, 0, s45
	v_mac_f32_e32 v3, 0x4f800000, v5
	v_rcp_f32_e32 v3, v3
	v_mul_f32_e32 v3, 0x5f7ffffc, v3
	v_mul_f32_e32 v5, 0x2f800000, v3
	v_trunc_f32_e32 v5, v5
	v_mac_f32_e32 v3, 0xcf800000, v5
	v_cvt_u32_f32_e32 v5, v5
	v_cvt_u32_f32_e32 v3, v3
	v_readfirstlane_b32 s53, v5
	v_readfirstlane_b32 s0, v3
	s_mul_i32 s1, s35, s53
	s_mul_hi_u32 s55, s35, s0
	s_mul_i32 s54, s43, s0
	s_add_i32 s1, s55, s1
	s_add_i32 s1, s1, s54
	s_mul_i32 s56, s35, s0
	s_mul_i32 s55, s0, s1
	s_mul_hi_u32 s57, s0, s56
	s_mul_hi_u32 s54, s0, s1
	s_add_u32 s55, s57, s55
	s_addc_u32 s54, 0, s54
	s_mul_hi_u32 s58, s53, s56
	s_mul_i32 s56, s53, s56
	s_add_u32 s55, s55, s56
	s_mul_hi_u32 s57, s53, s1
	s_addc_u32 s54, s54, s58
	s_addc_u32 s55, s57, 0
	s_mul_i32 s1, s53, s1
	s_add_u32 s1, s54, s1
	s_addc_u32 s54, 0, s55
	s_add_u32 s55, s0, s1
	s_cselect_b64 s[0:1], -1, 0
	s_cmp_lg_u64 s[0:1], 0
	s_addc_u32 s53, s53, s54
	s_mul_i32 s0, s35, s53
	s_mul_hi_u32 s1, s35, s55
	s_add_i32 s0, s1, s0
	s_mul_i32 s43, s43, s55
	s_add_i32 s0, s0, s43
	s_mul_i32 s35, s35, s55
	s_mul_hi_u32 s43, s53, s35
	s_mul_i32 s54, s53, s35
	s_mul_i32 s57, s55, s0
	s_mul_hi_u32 s35, s55, s35
	s_mul_hi_u32 s56, s55, s0
	s_add_u32 s35, s35, s57
	s_addc_u32 s56, 0, s56
	s_add_u32 s35, s35, s54
	s_mul_hi_u32 s1, s53, s0
	s_addc_u32 s35, s56, s43
	s_addc_u32 s1, s1, 0
	s_mul_i32 s0, s53, s0
	s_add_u32 s0, s35, s0
	s_addc_u32 s35, 0, s1
	s_add_u32 s43, s55, s0
	s_cselect_b64 s[0:1], -1, 0
	v_ashrrev_i32_e32 v3, 31, v9
	s_cmp_lg_u64 s[0:1], 0
	v_add_co_u32_e32 v5, vcc, v8, v3
	s_addc_u32 s35, s53, s35
	v_xor_b32_e32 v5, v5, v3
	v_addc_co_u32_e32 v7, vcc, v9, v3, vcc
	v_mad_u64_u32 v[9:10], s[0:1], v5, s35, 0
	v_mul_hi_u32 v11, v5, s43
	v_xor_b32_e32 v7, v7, v3
	v_xor_b32_e32 v3, s42, v3
	v_add_co_u32_e32 v13, vcc, v11, v9
	v_addc_co_u32_e32 v14, vcc, 0, v10, vcc
	v_mad_u64_u32 v[9:10], s[0:1], v7, s43, 0
	v_mad_u64_u32 v[11:12], s[0:1], v7, s35, 0
	v_add_co_u32_e32 v9, vcc, v13, v9
	v_addc_co_u32_e32 v9, vcc, v14, v10, vcc
	v_addc_co_u32_e32 v10, vcc, 0, v12, vcc
	v_add_co_u32_e32 v11, vcc, v9, v11
	v_addc_co_u32_e32 v12, vcc, 0, v10, vcc
	v_mul_lo_u32 v13, s45, v11
	v_mul_lo_u32 v14, s44, v12
	v_mad_u64_u32 v[9:10], s[0:1], s44, v11, 0
	v_add3_u32 v10, v10, v14, v13
	v_sub_u32_e32 v13, v7, v10
	v_mov_b32_e32 v14, s45
	v_sub_co_u32_e32 v5, vcc, v5, v9
	v_subb_co_u32_e64 v9, s[0:1], v13, v14, vcc
	v_subrev_co_u32_e64 v13, s[0:1], s44, v5
	v_subbrev_co_u32_e64 v9, s[0:1], 0, v9, s[0:1]
	v_cmp_le_u32_e64 s[0:1], s45, v9
	v_cndmask_b32_e64 v14, 0, -1, s[0:1]
	v_cmp_le_u32_e64 s[0:1], s44, v13
	v_cndmask_b32_e64 v13, 0, -1, s[0:1]
	v_cmp_eq_u32_e64 s[0:1], s45, v9
	v_cndmask_b32_e64 v9, v14, v13, s[0:1]
	v_add_co_u32_e64 v13, s[0:1], 2, v11
	v_subb_co_u32_e32 v7, vcc, v7, v10, vcc
	v_addc_co_u32_e64 v14, s[0:1], 0, v12, s[0:1]
	v_cmp_le_u32_e32 vcc, s45, v7
	v_add_co_u32_e64 v15, s[0:1], 1, v11
	v_cndmask_b32_e64 v10, 0, -1, vcc
	v_cmp_le_u32_e32 vcc, s44, v5
	v_addc_co_u32_e64 v16, s[0:1], 0, v12, s[0:1]
	v_cndmask_b32_e64 v5, 0, -1, vcc
	v_cmp_eq_u32_e32 vcc, s45, v7
	v_cmp_ne_u32_e64 s[0:1], 0, v9
	v_cndmask_b32_e32 v5, v10, v5, vcc
	v_cmp_ne_u32_e32 vcc, 0, v5
	v_cndmask_b32_e64 v7, v15, v13, s[0:1]
	v_cndmask_b32_e64 v9, v16, v14, s[0:1]
	v_cndmask_b32_e32 v7, v11, v7, vcc
	v_cndmask_b32_e32 v5, v12, v9, vcc
	v_xor_b32_e32 v7, v7, v3
	v_xor_b32_e32 v5, v5, v3
	v_sub_co_u32_e32 v10, vcc, v7, v3
	v_subb_co_u32_e32 v11, vcc, v5, v3, vcc
.LBB61_15:                              ;   in Loop: Header=BB61_13 Depth=2
	s_andn2_saveexec_b64 s[0:1], s[40:41]
	s_cbranch_execz .LBB61_17
; %bb.16:                               ;   in Loop: Header=BB61_13 Depth=2
	v_cvt_f32_u32_e32 v3, s17
	s_sub_i32 s35, 0, s17
	v_mov_b32_e32 v11, v2
	v_rcp_iflag_f32_e32 v3, v3
	v_mul_f32_e32 v3, 0x4f7ffffe, v3
	v_cvt_u32_f32_e32 v3, v3
	v_mul_lo_u32 v5, s35, v3
	v_mul_hi_u32 v5, v3, v5
	v_add_u32_e32 v3, v3, v5
	v_mul_hi_u32 v3, v8, v3
	v_mul_lo_u32 v5, v3, s17
	v_add_u32_e32 v7, 1, v3
	v_sub_u32_e32 v5, v8, v5
	v_subrev_u32_e32 v9, s17, v5
	v_cmp_le_u32_e32 vcc, s17, v5
	v_cndmask_b32_e32 v5, v5, v9, vcc
	v_cndmask_b32_e32 v3, v3, v7, vcc
	v_add_u32_e32 v7, 1, v3
	v_cmp_le_u32_e32 vcc, s17, v5
	v_cndmask_b32_e32 v10, v3, v7, vcc
.LBB61_17:                              ;   in Loop: Header=BB61_13 Depth=2
	s_or_b64 exec, exec, s[0:1]
	s_add_u32 s0, s4, s36
	s_addc_u32 s1, s5, s37
	v_mul_lo_u32 v3, v10, s17
	s_load_dword s17, s[38:39], 0x6c
	s_load_dword s35, s[0:1], 0x6c
	s_add_i32 s20, s20, -1
	v_sub_u32_e32 v3, v8, v3
	s_waitcnt lgkmcnt(0)
	v_mad_u64_u32 v[6:7], s[0:1], s17, v3, v[6:7]
	v_mad_u64_u32 v[4:5], s[0:1], s35, v3, v[4:5]
	s_xor_b32 s0, s52, s15
	s_add_i32 s15, s15, 1
	s_cmp_lg_u32 s0, 2
	s_cbranch_scc0 .LBB61_19
; %bb.18:                               ;   in Loop: Header=BB61_13 Depth=2
	v_mov_b32_e32 v8, v10
	v_mov_b32_e32 v9, v11
	s_branch .LBB61_13
.LBB61_19:                              ;   in Loop: Header=BB61_3 Depth=1
	v_mov_b32_e32 v8, v10
	s_mov_b32 s0, s20
	v_mov_b32_e32 v9, v11
.LBB61_20:                              ;   in Loop: Header=BB61_3 Depth=1
	s_and_b64 vcc, exec, s[24:25]
	s_mov_b32 s20, s0
	s_cbranch_vccz .LBB61_39
.LBB61_21:                              ;   Parent Loop BB61_3 Depth=1
                                        ; =>  This Inner Loop Header: Depth=2
	s_lshl_b64 s[36:37], s[20:21], 2
	s_add_u32 s38, s46, s36
	s_addc_u32 s39, s47, s37
	s_load_dword s15, s[38:39], 0x8
                                        ; implicit-def: $vgpr10_vgpr11
	s_waitcnt lgkmcnt(0)
	s_ashr_i32 s0, s15, 31
	v_or_b32_e32 v3, s0, v9
	v_cmp_ne_u64_e32 vcc, 0, v[2:3]
	s_and_saveexec_b64 s[40:41], vcc
	s_xor_b64 s[40:41], exec, s[40:41]
	s_cbranch_execz .LBB61_23
; %bb.22:                               ;   in Loop: Header=BB61_21 Depth=2
	s_ashr_i32 s42, s0, 31
	s_add_u32 s44, s15, s42
	s_mov_b32 s43, s42
	s_addc_u32 s45, s0, s42
	s_xor_b64 s[44:45], s[44:45], s[42:43]
	v_cvt_f32_u32_e32 v3, s44
	v_cvt_f32_u32_e32 v5, s45
	s_sub_u32 s17, 0, s44
	s_subb_u32 s35, 0, s45
	v_mac_f32_e32 v3, 0x4f800000, v5
	v_rcp_f32_e32 v3, v3
	v_mul_f32_e32 v3, 0x5f7ffffc, v3
	v_mul_f32_e32 v5, 0x2f800000, v3
	v_trunc_f32_e32 v5, v5
	v_mac_f32_e32 v3, 0xcf800000, v5
	v_cvt_u32_f32_e32 v5, v5
	v_cvt_u32_f32_e32 v3, v3
	v_readfirstlane_b32 s43, v5
	v_readfirstlane_b32 s0, v3
	s_mul_i32 s1, s17, s43
	s_mul_hi_u32 s54, s17, s0
	s_mul_i32 s53, s35, s0
	s_add_i32 s1, s54, s1
	s_add_i32 s1, s1, s53
	s_mul_i32 s55, s17, s0
	s_mul_i32 s54, s0, s1
	s_mul_hi_u32 s56, s0, s55
	s_mul_hi_u32 s53, s0, s1
	s_add_u32 s54, s56, s54
	s_addc_u32 s53, 0, s53
	s_mul_hi_u32 s57, s43, s55
	s_mul_i32 s55, s43, s55
	s_add_u32 s54, s54, s55
	s_mul_hi_u32 s56, s43, s1
	s_addc_u32 s53, s53, s57
	s_addc_u32 s54, s56, 0
	s_mul_i32 s1, s43, s1
	s_add_u32 s1, s53, s1
	s_addc_u32 s53, 0, s54
	s_add_u32 s54, s0, s1
	s_cselect_b64 s[0:1], -1, 0
	s_cmp_lg_u64 s[0:1], 0
	s_addc_u32 s43, s43, s53
	s_mul_i32 s0, s17, s43
	s_mul_hi_u32 s1, s17, s54
	s_add_i32 s0, s1, s0
	s_mul_i32 s35, s35, s54
	s_add_i32 s0, s0, s35
	s_mul_i32 s17, s17, s54
	s_mul_hi_u32 s35, s43, s17
	s_mul_i32 s53, s43, s17
	s_mul_i32 s56, s54, s0
	s_mul_hi_u32 s17, s54, s17
	s_mul_hi_u32 s55, s54, s0
	s_add_u32 s17, s17, s56
	s_addc_u32 s55, 0, s55
	s_add_u32 s17, s17, s53
	s_mul_hi_u32 s1, s43, s0
	s_addc_u32 s17, s55, s35
	s_addc_u32 s1, s1, 0
	s_mul_i32 s0, s43, s0
	s_add_u32 s0, s17, s0
	s_addc_u32 s17, 0, s1
	s_add_u32 s35, s54, s0
	s_cselect_b64 s[0:1], -1, 0
	v_ashrrev_i32_e32 v3, 31, v9
	s_cmp_lg_u64 s[0:1], 0
	v_add_co_u32_e32 v5, vcc, v8, v3
	s_addc_u32 s17, s43, s17
	v_xor_b32_e32 v5, v5, v3
	v_addc_co_u32_e32 v7, vcc, v9, v3, vcc
	v_mad_u64_u32 v[9:10], s[0:1], v5, s17, 0
	v_mul_hi_u32 v11, v5, s35
	v_xor_b32_e32 v7, v7, v3
	v_xor_b32_e32 v3, s42, v3
	v_add_co_u32_e32 v13, vcc, v11, v9
	v_addc_co_u32_e32 v14, vcc, 0, v10, vcc
	v_mad_u64_u32 v[9:10], s[0:1], v7, s35, 0
	v_mad_u64_u32 v[11:12], s[0:1], v7, s17, 0
	v_add_co_u32_e32 v9, vcc, v13, v9
	v_addc_co_u32_e32 v9, vcc, v14, v10, vcc
	v_addc_co_u32_e32 v10, vcc, 0, v12, vcc
	v_add_co_u32_e32 v11, vcc, v9, v11
	v_addc_co_u32_e32 v12, vcc, 0, v10, vcc
	v_mul_lo_u32 v13, s45, v11
	v_mul_lo_u32 v14, s44, v12
	v_mad_u64_u32 v[9:10], s[0:1], s44, v11, 0
	v_add3_u32 v10, v10, v14, v13
	v_sub_u32_e32 v13, v7, v10
	v_mov_b32_e32 v14, s45
	v_sub_co_u32_e32 v5, vcc, v5, v9
	v_subb_co_u32_e64 v9, s[0:1], v13, v14, vcc
	v_subrev_co_u32_e64 v13, s[0:1], s44, v5
	v_subbrev_co_u32_e64 v9, s[0:1], 0, v9, s[0:1]
	v_cmp_le_u32_e64 s[0:1], s45, v9
	v_cndmask_b32_e64 v14, 0, -1, s[0:1]
	v_cmp_le_u32_e64 s[0:1], s44, v13
	v_cndmask_b32_e64 v13, 0, -1, s[0:1]
	v_cmp_eq_u32_e64 s[0:1], s45, v9
	v_cndmask_b32_e64 v9, v14, v13, s[0:1]
	v_add_co_u32_e64 v13, s[0:1], 2, v11
	v_subb_co_u32_e32 v7, vcc, v7, v10, vcc
	v_addc_co_u32_e64 v14, s[0:1], 0, v12, s[0:1]
	v_cmp_le_u32_e32 vcc, s45, v7
	v_add_co_u32_e64 v15, s[0:1], 1, v11
	v_cndmask_b32_e64 v10, 0, -1, vcc
	v_cmp_le_u32_e32 vcc, s44, v5
	v_addc_co_u32_e64 v16, s[0:1], 0, v12, s[0:1]
	v_cndmask_b32_e64 v5, 0, -1, vcc
	v_cmp_eq_u32_e32 vcc, s45, v7
	v_cmp_ne_u32_e64 s[0:1], 0, v9
	v_cndmask_b32_e32 v5, v10, v5, vcc
	v_cmp_ne_u32_e32 vcc, 0, v5
	v_cndmask_b32_e64 v7, v15, v13, s[0:1]
	v_cndmask_b32_e64 v9, v16, v14, s[0:1]
	v_cndmask_b32_e32 v7, v11, v7, vcc
	v_cndmask_b32_e32 v5, v12, v9, vcc
	v_xor_b32_e32 v7, v7, v3
	v_xor_b32_e32 v5, v5, v3
	v_sub_co_u32_e32 v10, vcc, v7, v3
	v_subb_co_u32_e32 v11, vcc, v5, v3, vcc
.LBB61_23:                              ;   in Loop: Header=BB61_21 Depth=2
	s_andn2_saveexec_b64 s[0:1], s[40:41]
	s_cbranch_execz .LBB61_25
; %bb.24:                               ;   in Loop: Header=BB61_21 Depth=2
	v_cvt_f32_u32_e32 v3, s15
	s_sub_i32 s17, 0, s15
	v_mov_b32_e32 v11, v2
	v_rcp_iflag_f32_e32 v3, v3
	v_mul_f32_e32 v3, 0x4f7ffffe, v3
	v_cvt_u32_f32_e32 v3, v3
	v_mul_lo_u32 v5, s17, v3
	v_mul_hi_u32 v5, v3, v5
	v_add_u32_e32 v3, v3, v5
	v_mul_hi_u32 v3, v8, v3
	v_mul_lo_u32 v5, v3, s15
	v_add_u32_e32 v7, 1, v3
	v_sub_u32_e32 v5, v8, v5
	v_subrev_u32_e32 v9, s15, v5
	v_cmp_le_u32_e32 vcc, s15, v5
	v_cndmask_b32_e32 v5, v5, v9, vcc
	v_cndmask_b32_e32 v3, v3, v7, vcc
	v_add_u32_e32 v7, 1, v3
	v_cmp_le_u32_e32 vcc, s15, v5
	v_cndmask_b32_e32 v10, v3, v7, vcc
.LBB61_25:                              ;   in Loop: Header=BB61_21 Depth=2
	s_or_b64 exec, exec, s[0:1]
	s_add_u32 s0, s4, s36
	s_addc_u32 s1, s5, s37
	s_add_i32 s36, s20, -1
	s_mov_b32 s37, s21
	s_lshl_b64 s[40:41], s[36:37], 2
	s_add_u32 s36, s46, s40
	s_addc_u32 s37, s47, s41
	s_load_dword s53, s[36:37], 0x8
	s_load_dword s35, s[38:39], 0x6c
	;; [unrolled: 1-line block ×3, first 2 shown]
                                        ; implicit-def: $vgpr12_vgpr13
	s_waitcnt lgkmcnt(0)
	s_ashr_i32 s0, s53, 31
	v_or_b32_e32 v3, s0, v11
	v_cmp_ne_u64_e32 vcc, 0, v[2:3]
	s_and_saveexec_b64 s[38:39], vcc
	s_xor_b64 s[38:39], exec, s[38:39]
	s_cbranch_execz .LBB61_27
; %bb.26:                               ;   in Loop: Header=BB61_21 Depth=2
	s_ashr_i32 s42, s0, 31
	s_add_u32 s44, s53, s42
	s_mov_b32 s43, s42
	s_addc_u32 s45, s0, s42
	s_xor_b64 s[44:45], s[44:45], s[42:43]
	v_cvt_f32_u32_e32 v3, s44
	v_cvt_f32_u32_e32 v5, s45
	s_sub_u32 s43, 0, s44
	s_subb_u32 s54, 0, s45
	v_mac_f32_e32 v3, 0x4f800000, v5
	v_rcp_f32_e32 v3, v3
	v_mul_f32_e32 v3, 0x5f7ffffc, v3
	v_mul_f32_e32 v5, 0x2f800000, v3
	v_trunc_f32_e32 v5, v5
	v_mac_f32_e32 v3, 0xcf800000, v5
	v_cvt_u32_f32_e32 v5, v5
	v_cvt_u32_f32_e32 v3, v3
	v_readfirstlane_b32 s55, v5
	v_readfirstlane_b32 s0, v3
	s_mul_i32 s1, s43, s55
	s_mul_hi_u32 s57, s43, s0
	s_mul_i32 s56, s54, s0
	s_add_i32 s1, s57, s1
	s_add_i32 s1, s1, s56
	s_mul_i32 s58, s43, s0
	s_mul_i32 s57, s0, s1
	s_mul_hi_u32 s59, s0, s58
	s_mul_hi_u32 s56, s0, s1
	s_add_u32 s57, s59, s57
	s_addc_u32 s56, 0, s56
	s_mul_hi_u32 s60, s55, s58
	s_mul_i32 s58, s55, s58
	s_add_u32 s57, s57, s58
	s_mul_hi_u32 s59, s55, s1
	s_addc_u32 s56, s56, s60
	s_addc_u32 s57, s59, 0
	s_mul_i32 s1, s55, s1
	s_add_u32 s1, s56, s1
	s_addc_u32 s56, 0, s57
	s_add_u32 s57, s0, s1
	s_cselect_b64 s[0:1], -1, 0
	s_cmp_lg_u64 s[0:1], 0
	s_addc_u32 s55, s55, s56
	s_mul_i32 s0, s43, s55
	s_mul_hi_u32 s1, s43, s57
	s_add_i32 s0, s1, s0
	s_mul_i32 s54, s54, s57
	s_add_i32 s0, s0, s54
	s_mul_i32 s43, s43, s57
	s_mul_hi_u32 s54, s55, s43
	s_mul_i32 s56, s55, s43
	s_mul_i32 s59, s57, s0
	s_mul_hi_u32 s43, s57, s43
	s_mul_hi_u32 s58, s57, s0
	s_add_u32 s43, s43, s59
	s_addc_u32 s58, 0, s58
	s_add_u32 s43, s43, s56
	s_mul_hi_u32 s1, s55, s0
	s_addc_u32 s43, s58, s54
	s_addc_u32 s1, s1, 0
	s_mul_i32 s0, s55, s0
	s_add_u32 s0, s43, s0
	s_addc_u32 s43, 0, s1
	s_add_u32 s54, s57, s0
	s_cselect_b64 s[0:1], -1, 0
	v_ashrrev_i32_e32 v3, 31, v11
	s_cmp_lg_u64 s[0:1], 0
	v_add_co_u32_e32 v5, vcc, v10, v3
	s_addc_u32 s43, s55, s43
	v_xor_b32_e32 v5, v5, v3
	v_addc_co_u32_e32 v7, vcc, v11, v3, vcc
	v_mad_u64_u32 v[11:12], s[0:1], v5, s43, 0
	v_mul_hi_u32 v9, v5, s54
	v_xor_b32_e32 v7, v7, v3
	v_mad_u64_u32 v[13:14], s[0:1], v7, s43, 0
	v_add_co_u32_e32 v9, vcc, v9, v11
	v_addc_co_u32_e32 v15, vcc, 0, v12, vcc
	v_mad_u64_u32 v[11:12], s[0:1], v7, s54, 0
	v_xor_b32_e32 v3, s42, v3
	v_add_co_u32_e32 v9, vcc, v9, v11
	v_addc_co_u32_e32 v9, vcc, v15, v12, vcc
	v_addc_co_u32_e32 v11, vcc, 0, v14, vcc
	v_add_co_u32_e32 v9, vcc, v9, v13
	v_addc_co_u32_e32 v13, vcc, 0, v11, vcc
	v_mul_lo_u32 v14, s45, v9
	v_mul_lo_u32 v15, s44, v13
	v_mad_u64_u32 v[11:12], s[0:1], s44, v9, 0
	v_add3_u32 v12, v12, v15, v14
	v_sub_u32_e32 v14, v7, v12
	v_mov_b32_e32 v15, s45
	v_sub_co_u32_e32 v5, vcc, v5, v11
	v_subb_co_u32_e64 v11, s[0:1], v14, v15, vcc
	v_subrev_co_u32_e64 v14, s[0:1], s44, v5
	v_subbrev_co_u32_e64 v11, s[0:1], 0, v11, s[0:1]
	v_cmp_le_u32_e64 s[0:1], s45, v11
	v_cndmask_b32_e64 v15, 0, -1, s[0:1]
	v_cmp_le_u32_e64 s[0:1], s44, v14
	v_cndmask_b32_e64 v14, 0, -1, s[0:1]
	v_cmp_eq_u32_e64 s[0:1], s45, v11
	v_cndmask_b32_e64 v11, v15, v14, s[0:1]
	v_add_co_u32_e64 v14, s[0:1], 2, v9
	v_subb_co_u32_e32 v7, vcc, v7, v12, vcc
	v_addc_co_u32_e64 v15, s[0:1], 0, v13, s[0:1]
	v_cmp_le_u32_e32 vcc, s45, v7
	v_add_co_u32_e64 v16, s[0:1], 1, v9
	v_cndmask_b32_e64 v12, 0, -1, vcc
	v_cmp_le_u32_e32 vcc, s44, v5
	v_addc_co_u32_e64 v17, s[0:1], 0, v13, s[0:1]
	v_cndmask_b32_e64 v5, 0, -1, vcc
	v_cmp_eq_u32_e32 vcc, s45, v7
	v_cmp_ne_u32_e64 s[0:1], 0, v11
	v_cndmask_b32_e32 v5, v12, v5, vcc
	v_cmp_ne_u32_e32 vcc, 0, v5
	v_cndmask_b32_e64 v7, v16, v14, s[0:1]
	v_cndmask_b32_e64 v11, v17, v15, s[0:1]
	v_cndmask_b32_e32 v7, v9, v7, vcc
	v_cndmask_b32_e32 v5, v13, v11, vcc
	v_xor_b32_e32 v7, v7, v3
	v_xor_b32_e32 v5, v5, v3
	v_sub_co_u32_e32 v12, vcc, v7, v3
	v_subb_co_u32_e32 v13, vcc, v5, v3, vcc
.LBB61_27:                              ;   in Loop: Header=BB61_21 Depth=2
	s_andn2_saveexec_b64 s[0:1], s[38:39]
	s_cbranch_execz .LBB61_29
; %bb.28:                               ;   in Loop: Header=BB61_21 Depth=2
	v_cvt_f32_u32_e32 v3, s53
	s_sub_i32 s38, 0, s53
	v_mov_b32_e32 v13, v2
	v_rcp_iflag_f32_e32 v3, v3
	v_mul_f32_e32 v3, 0x4f7ffffe, v3
	v_cvt_u32_f32_e32 v3, v3
	v_mul_lo_u32 v5, s38, v3
	v_mul_hi_u32 v5, v3, v5
	v_add_u32_e32 v3, v3, v5
	v_mul_hi_u32 v3, v10, v3
	v_mul_lo_u32 v5, v3, s53
	v_add_u32_e32 v7, 1, v3
	v_sub_u32_e32 v5, v10, v5
	v_subrev_u32_e32 v9, s53, v5
	v_cmp_le_u32_e32 vcc, s53, v5
	v_cndmask_b32_e32 v5, v5, v9, vcc
	v_cndmask_b32_e32 v3, v3, v7, vcc
	v_add_u32_e32 v7, 1, v3
	v_cmp_le_u32_e32 vcc, s53, v5
	v_cndmask_b32_e32 v12, v3, v7, vcc
.LBB61_29:                              ;   in Loop: Header=BB61_21 Depth=2
	s_or_b64 exec, exec, s[0:1]
	s_add_u32 s0, s4, s40
	s_addc_u32 s1, s5, s41
	s_add_i32 s38, s20, -2
	s_mov_b32 s39, s21
	s_lshl_b64 s[38:39], s[38:39], 2
	s_add_u32 s40, s46, s38
	s_addc_u32 s41, s47, s39
	s_load_dword s55, s[40:41], 0x8
	s_load_dword s56, s[36:37], 0x6c
	;; [unrolled: 1-line block ×3, first 2 shown]
                                        ; implicit-def: $vgpr14_vgpr15
	s_waitcnt lgkmcnt(0)
	s_ashr_i32 s0, s55, 31
	v_or_b32_e32 v3, s0, v13
	v_cmp_ne_u64_e32 vcc, 0, v[2:3]
	s_and_saveexec_b64 s[36:37], vcc
	s_xor_b64 s[36:37], exec, s[36:37]
	s_cbranch_execz .LBB61_31
; %bb.30:                               ;   in Loop: Header=BB61_21 Depth=2
	s_ashr_i32 s42, s0, 31
	s_add_u32 s44, s55, s42
	s_mov_b32 s43, s42
	s_addc_u32 s45, s0, s42
	s_xor_b64 s[44:45], s[44:45], s[42:43]
	v_cvt_f32_u32_e32 v3, s44
	v_cvt_f32_u32_e32 v5, s45
	s_sub_u32 s43, 0, s44
	s_subb_u32 s57, 0, s45
	v_mac_f32_e32 v3, 0x4f800000, v5
	v_rcp_f32_e32 v3, v3
	v_mul_f32_e32 v3, 0x5f7ffffc, v3
	v_mul_f32_e32 v5, 0x2f800000, v3
	v_trunc_f32_e32 v5, v5
	v_mac_f32_e32 v3, 0xcf800000, v5
	v_cvt_u32_f32_e32 v5, v5
	v_cvt_u32_f32_e32 v3, v3
	v_readfirstlane_b32 s58, v5
	v_readfirstlane_b32 s0, v3
	s_mul_i32 s1, s43, s58
	s_mul_hi_u32 s60, s43, s0
	s_mul_i32 s59, s57, s0
	s_add_i32 s1, s60, s1
	s_add_i32 s1, s1, s59
	s_mul_i32 s61, s43, s0
	s_mul_i32 s60, s0, s1
	s_mul_hi_u32 s62, s0, s61
	s_mul_hi_u32 s59, s0, s1
	s_add_u32 s60, s62, s60
	s_addc_u32 s59, 0, s59
	s_mul_hi_u32 s63, s58, s61
	s_mul_i32 s61, s58, s61
	s_add_u32 s60, s60, s61
	s_mul_hi_u32 s62, s58, s1
	s_addc_u32 s59, s59, s63
	s_addc_u32 s60, s62, 0
	s_mul_i32 s1, s58, s1
	s_add_u32 s1, s59, s1
	s_addc_u32 s59, 0, s60
	s_add_u32 s60, s0, s1
	s_cselect_b64 s[0:1], -1, 0
	s_cmp_lg_u64 s[0:1], 0
	s_addc_u32 s58, s58, s59
	s_mul_i32 s0, s43, s58
	s_mul_hi_u32 s1, s43, s60
	s_add_i32 s0, s1, s0
	s_mul_i32 s57, s57, s60
	s_add_i32 s0, s0, s57
	s_mul_i32 s43, s43, s60
	s_mul_hi_u32 s57, s58, s43
	s_mul_i32 s59, s58, s43
	s_mul_i32 s62, s60, s0
	s_mul_hi_u32 s43, s60, s43
	s_mul_hi_u32 s61, s60, s0
	s_add_u32 s43, s43, s62
	s_addc_u32 s61, 0, s61
	s_add_u32 s43, s43, s59
	s_mul_hi_u32 s1, s58, s0
	s_addc_u32 s43, s61, s57
	s_addc_u32 s1, s1, 0
	s_mul_i32 s0, s58, s0
	s_add_u32 s0, s43, s0
	s_addc_u32 s43, 0, s1
	s_add_u32 s57, s60, s0
	s_cselect_b64 s[0:1], -1, 0
	v_ashrrev_i32_e32 v3, 31, v13
	s_cmp_lg_u64 s[0:1], 0
	v_add_co_u32_e32 v5, vcc, v12, v3
	s_addc_u32 s43, s58, s43
	v_xor_b32_e32 v5, v5, v3
	v_addc_co_u32_e32 v7, vcc, v13, v3, vcc
	v_mad_u64_u32 v[13:14], s[0:1], v5, s43, 0
	v_mul_hi_u32 v9, v5, s57
	v_xor_b32_e32 v7, v7, v3
	v_mad_u64_u32 v[15:16], s[0:1], v7, s43, 0
	v_add_co_u32_e32 v9, vcc, v9, v13
	v_addc_co_u32_e32 v11, vcc, 0, v14, vcc
	v_mad_u64_u32 v[13:14], s[0:1], v7, s57, 0
	v_xor_b32_e32 v3, s42, v3
	v_add_co_u32_e32 v9, vcc, v9, v13
	v_addc_co_u32_e32 v9, vcc, v11, v14, vcc
	v_addc_co_u32_e32 v11, vcc, 0, v16, vcc
	v_add_co_u32_e32 v9, vcc, v9, v15
	v_addc_co_u32_e32 v11, vcc, 0, v11, vcc
	v_mul_lo_u32 v15, s45, v9
	v_mul_lo_u32 v16, s44, v11
	v_mad_u64_u32 v[13:14], s[0:1], s44, v9, 0
	v_add3_u32 v14, v14, v16, v15
	v_sub_u32_e32 v15, v7, v14
	v_mov_b32_e32 v16, s45
	v_sub_co_u32_e32 v5, vcc, v5, v13
	v_subb_co_u32_e64 v13, s[0:1], v15, v16, vcc
	v_subrev_co_u32_e64 v15, s[0:1], s44, v5
	v_subbrev_co_u32_e64 v13, s[0:1], 0, v13, s[0:1]
	v_cmp_le_u32_e64 s[0:1], s45, v13
	v_cndmask_b32_e64 v16, 0, -1, s[0:1]
	v_cmp_le_u32_e64 s[0:1], s44, v15
	v_cndmask_b32_e64 v15, 0, -1, s[0:1]
	v_cmp_eq_u32_e64 s[0:1], s45, v13
	v_cndmask_b32_e64 v13, v16, v15, s[0:1]
	v_add_co_u32_e64 v15, s[0:1], 2, v9
	v_subb_co_u32_e32 v7, vcc, v7, v14, vcc
	v_addc_co_u32_e64 v16, s[0:1], 0, v11, s[0:1]
	v_cmp_le_u32_e32 vcc, s45, v7
	v_add_co_u32_e64 v17, s[0:1], 1, v9
	v_cndmask_b32_e64 v14, 0, -1, vcc
	v_cmp_le_u32_e32 vcc, s44, v5
	v_addc_co_u32_e64 v20, s[0:1], 0, v11, s[0:1]
	v_cndmask_b32_e64 v5, 0, -1, vcc
	v_cmp_eq_u32_e32 vcc, s45, v7
	v_cmp_ne_u32_e64 s[0:1], 0, v13
	v_cndmask_b32_e32 v5, v14, v5, vcc
	v_cmp_ne_u32_e32 vcc, 0, v5
	v_cndmask_b32_e64 v7, v17, v15, s[0:1]
	v_cndmask_b32_e64 v13, v20, v16, s[0:1]
	v_cndmask_b32_e32 v7, v9, v7, vcc
	v_cndmask_b32_e32 v5, v11, v13, vcc
	v_xor_b32_e32 v7, v7, v3
	v_xor_b32_e32 v5, v5, v3
	v_sub_co_u32_e32 v14, vcc, v7, v3
	v_subb_co_u32_e32 v15, vcc, v5, v3, vcc
.LBB61_31:                              ;   in Loop: Header=BB61_21 Depth=2
	s_andn2_saveexec_b64 s[0:1], s[36:37]
	s_cbranch_execz .LBB61_33
; %bb.32:                               ;   in Loop: Header=BB61_21 Depth=2
	v_cvt_f32_u32_e32 v3, s55
	s_sub_i32 s36, 0, s55
	v_mov_b32_e32 v15, v2
	v_rcp_iflag_f32_e32 v3, v3
	v_mul_f32_e32 v3, 0x4f7ffffe, v3
	v_cvt_u32_f32_e32 v3, v3
	v_mul_lo_u32 v5, s36, v3
	v_mul_hi_u32 v5, v3, v5
	v_add_u32_e32 v3, v3, v5
	v_mul_hi_u32 v3, v12, v3
	v_mul_lo_u32 v5, v3, s55
	v_add_u32_e32 v7, 1, v3
	v_sub_u32_e32 v5, v12, v5
	v_subrev_u32_e32 v9, s55, v5
	v_cmp_le_u32_e32 vcc, s55, v5
	v_cndmask_b32_e32 v5, v5, v9, vcc
	v_cndmask_b32_e32 v3, v3, v7, vcc
	v_add_u32_e32 v7, 1, v3
	v_cmp_le_u32_e32 vcc, s55, v5
	v_cndmask_b32_e32 v14, v3, v7, vcc
.LBB61_33:                              ;   in Loop: Header=BB61_21 Depth=2
	s_or_b64 exec, exec, s[0:1]
	s_add_u32 s0, s4, s38
	s_addc_u32 s1, s5, s39
	s_add_i32 s36, s20, -3
	s_mov_b32 s37, s21
	s_lshl_b64 s[36:37], s[36:37], 2
	s_add_u32 s38, s46, s36
	s_addc_u32 s39, s47, s37
	s_load_dword s58, s[38:39], 0x8
	s_load_dword s59, s[40:41], 0x6c
	;; [unrolled: 1-line block ×3, first 2 shown]
                                        ; implicit-def: $vgpr16_vgpr17
	s_waitcnt lgkmcnt(0)
	s_ashr_i32 s0, s58, 31
	v_or_b32_e32 v3, s0, v15
	v_cmp_ne_u64_e32 vcc, 0, v[2:3]
	s_and_saveexec_b64 s[40:41], vcc
	s_xor_b64 s[40:41], exec, s[40:41]
	s_cbranch_execz .LBB61_35
; %bb.34:                               ;   in Loop: Header=BB61_21 Depth=2
	s_ashr_i32 s42, s0, 31
	s_add_u32 s44, s58, s42
	s_mov_b32 s43, s42
	s_addc_u32 s45, s0, s42
	s_xor_b64 s[44:45], s[44:45], s[42:43]
	v_cvt_f32_u32_e32 v3, s44
	v_cvt_f32_u32_e32 v5, s45
	s_sub_u32 s43, 0, s44
	s_subb_u32 s60, 0, s45
	v_mac_f32_e32 v3, 0x4f800000, v5
	v_rcp_f32_e32 v3, v3
	v_mul_f32_e32 v3, 0x5f7ffffc, v3
	v_mul_f32_e32 v5, 0x2f800000, v3
	v_trunc_f32_e32 v5, v5
	v_mac_f32_e32 v3, 0xcf800000, v5
	v_cvt_u32_f32_e32 v5, v5
	v_cvt_u32_f32_e32 v3, v3
	v_readfirstlane_b32 s61, v5
	v_readfirstlane_b32 s0, v3
	s_mul_i32 s1, s43, s61
	s_mul_hi_u32 s63, s43, s0
	s_mul_i32 s62, s60, s0
	s_add_i32 s1, s63, s1
	s_add_i32 s1, s1, s62
	s_mul_i32 s64, s43, s0
	s_mul_i32 s63, s0, s1
	s_mul_hi_u32 s65, s0, s64
	s_mul_hi_u32 s62, s0, s1
	s_add_u32 s63, s65, s63
	s_addc_u32 s62, 0, s62
	s_mul_hi_u32 s66, s61, s64
	s_mul_i32 s64, s61, s64
	s_add_u32 s63, s63, s64
	s_mul_hi_u32 s65, s61, s1
	s_addc_u32 s62, s62, s66
	s_addc_u32 s63, s65, 0
	s_mul_i32 s1, s61, s1
	s_add_u32 s1, s62, s1
	s_addc_u32 s62, 0, s63
	s_add_u32 s63, s0, s1
	s_cselect_b64 s[0:1], -1, 0
	s_cmp_lg_u64 s[0:1], 0
	s_addc_u32 s61, s61, s62
	s_mul_i32 s0, s43, s61
	s_mul_hi_u32 s1, s43, s63
	s_add_i32 s0, s1, s0
	s_mul_i32 s60, s60, s63
	s_add_i32 s0, s0, s60
	s_mul_i32 s43, s43, s63
	s_mul_hi_u32 s60, s61, s43
	s_mul_i32 s62, s61, s43
	s_mul_i32 s65, s63, s0
	s_mul_hi_u32 s43, s63, s43
	s_mul_hi_u32 s64, s63, s0
	s_add_u32 s43, s43, s65
	s_addc_u32 s64, 0, s64
	s_add_u32 s43, s43, s62
	s_mul_hi_u32 s1, s61, s0
	s_addc_u32 s43, s64, s60
	s_addc_u32 s1, s1, 0
	s_mul_i32 s0, s61, s0
	s_add_u32 s0, s43, s0
	s_addc_u32 s43, 0, s1
	s_add_u32 s60, s63, s0
	s_cselect_b64 s[0:1], -1, 0
	v_ashrrev_i32_e32 v3, 31, v15
	s_cmp_lg_u64 s[0:1], 0
	v_add_co_u32_e32 v5, vcc, v14, v3
	s_addc_u32 s43, s61, s43
	v_xor_b32_e32 v5, v5, v3
	v_addc_co_u32_e32 v7, vcc, v15, v3, vcc
	v_mad_u64_u32 v[15:16], s[0:1], v5, s43, 0
	v_mul_hi_u32 v9, v5, s60
	v_xor_b32_e32 v7, v7, v3
	v_mad_u64_u32 v[20:21], s[0:1], v7, s43, 0
	v_add_co_u32_e32 v9, vcc, v9, v15
	v_addc_co_u32_e32 v11, vcc, 0, v16, vcc
	v_mad_u64_u32 v[15:16], s[0:1], v7, s60, 0
	v_xor_b32_e32 v3, s42, v3
	v_add_co_u32_e32 v9, vcc, v9, v15
	v_addc_co_u32_e32 v9, vcc, v11, v16, vcc
	v_addc_co_u32_e32 v11, vcc, 0, v21, vcc
	v_add_co_u32_e32 v9, vcc, v9, v20
	v_addc_co_u32_e32 v11, vcc, 0, v11, vcc
	v_mul_lo_u32 v13, s45, v9
	v_mul_lo_u32 v17, s44, v11
	v_mad_u64_u32 v[15:16], s[0:1], s44, v9, 0
	v_add3_u32 v13, v16, v17, v13
	v_sub_u32_e32 v16, v7, v13
	v_mov_b32_e32 v17, s45
	v_sub_co_u32_e32 v5, vcc, v5, v15
	v_subb_co_u32_e64 v15, s[0:1], v16, v17, vcc
	v_subrev_co_u32_e64 v16, s[0:1], s44, v5
	v_subbrev_co_u32_e64 v15, s[0:1], 0, v15, s[0:1]
	v_cmp_le_u32_e64 s[0:1], s45, v15
	v_cndmask_b32_e64 v17, 0, -1, s[0:1]
	v_cmp_le_u32_e64 s[0:1], s44, v16
	v_cndmask_b32_e64 v16, 0, -1, s[0:1]
	v_cmp_eq_u32_e64 s[0:1], s45, v15
	v_cndmask_b32_e64 v15, v17, v16, s[0:1]
	v_add_co_u32_e64 v16, s[0:1], 2, v9
	v_subb_co_u32_e32 v7, vcc, v7, v13, vcc
	v_addc_co_u32_e64 v17, s[0:1], 0, v11, s[0:1]
	v_cmp_le_u32_e32 vcc, s45, v7
	v_add_co_u32_e64 v20, s[0:1], 1, v9
	v_cndmask_b32_e64 v13, 0, -1, vcc
	v_cmp_le_u32_e32 vcc, s44, v5
	v_addc_co_u32_e64 v21, s[0:1], 0, v11, s[0:1]
	v_cndmask_b32_e64 v5, 0, -1, vcc
	v_cmp_eq_u32_e32 vcc, s45, v7
	v_cmp_ne_u32_e64 s[0:1], 0, v15
	v_cndmask_b32_e32 v5, v13, v5, vcc
	v_cmp_ne_u32_e32 vcc, 0, v5
	v_cndmask_b32_e64 v7, v20, v16, s[0:1]
	v_cndmask_b32_e64 v15, v21, v17, s[0:1]
	v_cndmask_b32_e32 v7, v9, v7, vcc
	v_cndmask_b32_e32 v5, v11, v15, vcc
	v_xor_b32_e32 v7, v7, v3
	v_xor_b32_e32 v5, v5, v3
	v_sub_co_u32_e32 v16, vcc, v7, v3
	v_subb_co_u32_e32 v17, vcc, v5, v3, vcc
.LBB61_35:                              ;   in Loop: Header=BB61_21 Depth=2
	s_andn2_saveexec_b64 s[0:1], s[40:41]
	s_cbranch_execz .LBB61_37
; %bb.36:                               ;   in Loop: Header=BB61_21 Depth=2
	v_cvt_f32_u32_e32 v3, s58
	s_sub_i32 s40, 0, s58
	v_mov_b32_e32 v17, v2
	v_rcp_iflag_f32_e32 v3, v3
	v_mul_f32_e32 v3, 0x4f7ffffe, v3
	v_cvt_u32_f32_e32 v3, v3
	v_mul_lo_u32 v5, s40, v3
	v_mul_hi_u32 v5, v3, v5
	v_add_u32_e32 v3, v3, v5
	v_mul_hi_u32 v3, v14, v3
	v_mul_lo_u32 v5, v3, s58
	v_add_u32_e32 v7, 1, v3
	v_sub_u32_e32 v5, v14, v5
	v_subrev_u32_e32 v9, s58, v5
	v_cmp_le_u32_e32 vcc, s58, v5
	v_cndmask_b32_e32 v5, v5, v9, vcc
	v_cndmask_b32_e32 v3, v3, v7, vcc
	v_add_u32_e32 v7, 1, v3
	v_cmp_le_u32_e32 vcc, s58, v5
	v_cndmask_b32_e32 v16, v3, v7, vcc
.LBB61_37:                              ;   in Loop: Header=BB61_21 Depth=2
	s_or_b64 exec, exec, s[0:1]
	v_mul_lo_u32 v3, v10, s15
	v_mul_lo_u32 v5, v12, s53
	;; [unrolled: 1-line block ×3, first 2 shown]
	s_add_u32 s0, s4, s36
	v_sub_u32_e32 v3, v8, v3
	v_sub_u32_e32 v5, v10, v5
	v_mul_lo_u32 v7, s35, v3
	v_mul_lo_u32 v8, s56, v5
	s_addc_u32 s1, s5, s37
	s_load_dword s15, s[38:39], 0x6c
	v_mul_lo_u32 v3, s17, v3
	v_add3_u32 v6, v7, v6, v8
	v_sub_u32_e32 v7, v12, v9
	v_mul_lo_u32 v9, v16, s58
	s_load_dword s0, s[0:1], 0x6c
	v_mul_lo_u32 v5, s54, v5
	v_mul_lo_u32 v8, s59, v7
	v_sub_u32_e32 v9, v14, v9
	s_waitcnt lgkmcnt(0)
	v_mul_lo_u32 v10, s15, v9
	v_add3_u32 v3, v3, v4, v5
	v_mul_lo_u32 v4, s57, v7
	v_mul_lo_u32 v5, s0, v9
	s_add_i32 s20, s20, -4
	v_add3_u32 v6, v8, v6, v10
	s_cmp_eq_u32 s20, -1
	v_add3_u32 v4, v4, v3, v5
	s_cbranch_scc1 .LBB61_39
; %bb.38:                               ;   in Loop: Header=BB61_21 Depth=2
	v_mov_b32_e32 v8, v16
	v_mov_b32_e32 v9, v17
	s_branch .LBB61_21
.LBB61_39:                              ;   in Loop: Header=BB61_3 Depth=1
	v_sub_u32_e32 v5, v18, v19
	v_add_u32_e32 v7, 2, v5
	v_ashrrev_i32_e32 v8, 31, v7
	v_cmp_le_i64_e32 vcc, s[8:9], v[7:8]
	v_mov_b32_e32 v7, 0
	v_mov_b32_e32 v8, 0
	s_and_saveexec_b64 s[0:1], vcc
	s_cbranch_execz .LBB61_45
; %bb.40:                               ;   in Loop: Header=BB61_3 Depth=1
	v_cmp_gt_i32_e32 vcc, s7, v18
	v_mov_b32_e32 v3, 0
	v_mov_b32_e32 v9, 0
	s_and_saveexec_b64 s[36:37], vcc
	s_cbranch_execz .LBB61_44
; %bb.41:                               ;   in Loop: Header=BB61_3 Depth=1
	v_ashrrev_i32_e32 v7, 31, v6
	v_lshlrev_b64 v[6:7], 2, v[6:7]
	v_mov_b32_e32 v3, s3
	v_add_co_u32_e32 v6, vcc, s2, v6
	v_addc_co_u32_e32 v7, vcc, v3, v7, vcc
	global_load_dword v3, v[6:7], off
	v_add_u32_e32 v8, 1, v18
	v_cmp_gt_i32_e32 vcc, s7, v8
	v_mov_b32_e32 v9, 0
	s_and_saveexec_b64 s[38:39], vcc
	s_xor_b64 s[38:39], exec, s[38:39]
	s_cbranch_execz .LBB61_43
; %bb.42:                               ;   in Loop: Header=BB61_3 Depth=1
	s_lshl_b64 s[40:41], s[26:27], 2
	v_mov_b32_e32 v8, s41
	v_add_co_u32_e32 v6, vcc, s40, v6
	v_addc_co_u32_e32 v7, vcc, v7, v8, vcc
	global_load_dword v9, v[6:7], off
.LBB61_43:                              ;   in Loop: Header=BB61_3 Depth=1
	s_or_b64 exec, exec, s[38:39]
.LBB61_44:                              ;   in Loop: Header=BB61_3 Depth=1
	s_or_b64 exec, exec, s[36:37]
	v_ashrrev_i32_e32 v6, 31, v5
	v_cmp_le_i64_e32 vcc, s[8:9], v[5:6]
	v_add_u32_e32 v5, 1, v5
	v_ashrrev_i32_e32 v6, 31, v5
	s_waitcnt vmcnt(0)
	v_cndmask_b32_e32 v8, 0, v3, vcc
	v_cmp_le_i64_e32 vcc, s[8:9], v[5:6]
	v_cndmask_b32_e32 v7, 0, v9, vcc
.LBB61_45:                              ;   in Loop: Header=BB61_3 Depth=1
	s_or_b64 exec, exec, s[0:1]
	v_cmp_gt_i32_e32 vcc, s7, v18
	s_and_saveexec_b64 s[0:1], vcc
	s_cbranch_execz .LBB61_2
; %bb.46:                               ;   in Loop: Header=BB61_3 Depth=1
	v_ashrrev_i32_e32 v5, 31, v4
	v_lshlrev_b64 v[3:4], 2, v[4:5]
	v_mov_b32_e32 v5, s19
	v_add_co_u32_e32 v3, vcc, s18, v3
	v_addc_co_u32_e32 v4, vcc, v5, v4, vcc
	v_add_u32_e32 v5, 1, v18
	v_cmp_gt_i32_e32 vcc, s7, v5
	global_store_dword v[3:4], v8, off
	s_and_saveexec_b64 s[36:37], vcc
	s_xor_b64 s[36:37], exec, s[36:37]
	s_cbranch_execz .LBB61_2
; %bb.47:                               ;   in Loop: Header=BB61_3 Depth=1
	s_lshl_b64 s[36:37], s[28:29], 2
	v_mov_b32_e32 v5, s37
	v_add_co_u32_e32 v3, vcc, s36, v3
	v_addc_co_u32_e32 v4, vcc, v4, v5, vcc
	global_store_dword v[3:4], v7, off
	s_branch .LBB61_2
.LBB61_48:
	s_endpgm
	.section	.rodata,"a",@progbits
	.p2align	6, 0x0
	.amdhsa_kernel _ZN2at6native16triu_tril_kernelIiiLb1ELi2ELb0EEEvNS_4cuda6detail10TensorInfoIT_T0_EENS4_IKS5_S6_EEllS6_
		.amdhsa_group_segment_fixed_size 0
		.amdhsa_private_segment_fixed_size 0
		.amdhsa_kernarg_size 712
		.amdhsa_user_sgpr_count 6
		.amdhsa_user_sgpr_private_segment_buffer 1
		.amdhsa_user_sgpr_dispatch_ptr 0
		.amdhsa_user_sgpr_queue_ptr 0
		.amdhsa_user_sgpr_kernarg_segment_ptr 1
		.amdhsa_user_sgpr_dispatch_id 0
		.amdhsa_user_sgpr_flat_scratch_init 0
		.amdhsa_user_sgpr_private_segment_size 0
		.amdhsa_uses_dynamic_stack 0
		.amdhsa_system_sgpr_private_segment_wavefront_offset 0
		.amdhsa_system_sgpr_workgroup_id_x 1
		.amdhsa_system_sgpr_workgroup_id_y 0
		.amdhsa_system_sgpr_workgroup_id_z 0
		.amdhsa_system_sgpr_workgroup_info 0
		.amdhsa_system_vgpr_workitem_id 0
		.amdhsa_next_free_vgpr 22
		.amdhsa_next_free_sgpr 67
		.amdhsa_reserve_vcc 1
		.amdhsa_reserve_flat_scratch 0
		.amdhsa_float_round_mode_32 0
		.amdhsa_float_round_mode_16_64 0
		.amdhsa_float_denorm_mode_32 3
		.amdhsa_float_denorm_mode_16_64 3
		.amdhsa_dx10_clamp 1
		.amdhsa_ieee_mode 1
		.amdhsa_fp16_overflow 0
		.amdhsa_exception_fp_ieee_invalid_op 0
		.amdhsa_exception_fp_denorm_src 0
		.amdhsa_exception_fp_ieee_div_zero 0
		.amdhsa_exception_fp_ieee_overflow 0
		.amdhsa_exception_fp_ieee_underflow 0
		.amdhsa_exception_fp_ieee_inexact 0
		.amdhsa_exception_int_div_zero 0
	.end_amdhsa_kernel
	.section	.text._ZN2at6native16triu_tril_kernelIiiLb1ELi2ELb0EEEvNS_4cuda6detail10TensorInfoIT_T0_EENS4_IKS5_S6_EEllS6_,"axG",@progbits,_ZN2at6native16triu_tril_kernelIiiLb1ELi2ELb0EEEvNS_4cuda6detail10TensorInfoIT_T0_EENS4_IKS5_S6_EEllS6_,comdat
.Lfunc_end61:
	.size	_ZN2at6native16triu_tril_kernelIiiLb1ELi2ELb0EEEvNS_4cuda6detail10TensorInfoIT_T0_EENS4_IKS5_S6_EEllS6_, .Lfunc_end61-_ZN2at6native16triu_tril_kernelIiiLb1ELi2ELb0EEEvNS_4cuda6detail10TensorInfoIT_T0_EENS4_IKS5_S6_EEllS6_
                                        ; -- End function
	.set _ZN2at6native16triu_tril_kernelIiiLb1ELi2ELb0EEEvNS_4cuda6detail10TensorInfoIT_T0_EENS4_IKS5_S6_EEllS6_.num_vgpr, 22
	.set _ZN2at6native16triu_tril_kernelIiiLb1ELi2ELb0EEEvNS_4cuda6detail10TensorInfoIT_T0_EENS4_IKS5_S6_EEllS6_.num_agpr, 0
	.set _ZN2at6native16triu_tril_kernelIiiLb1ELi2ELb0EEEvNS_4cuda6detail10TensorInfoIT_T0_EENS4_IKS5_S6_EEllS6_.numbered_sgpr, 67
	.set _ZN2at6native16triu_tril_kernelIiiLb1ELi2ELb0EEEvNS_4cuda6detail10TensorInfoIT_T0_EENS4_IKS5_S6_EEllS6_.num_named_barrier, 0
	.set _ZN2at6native16triu_tril_kernelIiiLb1ELi2ELb0EEEvNS_4cuda6detail10TensorInfoIT_T0_EENS4_IKS5_S6_EEllS6_.private_seg_size, 0
	.set _ZN2at6native16triu_tril_kernelIiiLb1ELi2ELb0EEEvNS_4cuda6detail10TensorInfoIT_T0_EENS4_IKS5_S6_EEllS6_.uses_vcc, 1
	.set _ZN2at6native16triu_tril_kernelIiiLb1ELi2ELb0EEEvNS_4cuda6detail10TensorInfoIT_T0_EENS4_IKS5_S6_EEllS6_.uses_flat_scratch, 0
	.set _ZN2at6native16triu_tril_kernelIiiLb1ELi2ELb0EEEvNS_4cuda6detail10TensorInfoIT_T0_EENS4_IKS5_S6_EEllS6_.has_dyn_sized_stack, 0
	.set _ZN2at6native16triu_tril_kernelIiiLb1ELi2ELb0EEEvNS_4cuda6detail10TensorInfoIT_T0_EENS4_IKS5_S6_EEllS6_.has_recursion, 0
	.set _ZN2at6native16triu_tril_kernelIiiLb1ELi2ELb0EEEvNS_4cuda6detail10TensorInfoIT_T0_EENS4_IKS5_S6_EEllS6_.has_indirect_call, 0
	.section	.AMDGPU.csdata,"",@progbits
; Kernel info:
; codeLenInByte = 6348
; TotalNumSgprs: 71
; NumVgprs: 22
; ScratchSize: 0
; MemoryBound: 0
; FloatMode: 240
; IeeeMode: 1
; LDSByteSize: 0 bytes/workgroup (compile time only)
; SGPRBlocks: 8
; VGPRBlocks: 5
; NumSGPRsForWavesPerEU: 71
; NumVGPRsForWavesPerEU: 22
; Occupancy: 10
; WaveLimiterHint : 1
; COMPUTE_PGM_RSRC2:SCRATCH_EN: 0
; COMPUTE_PGM_RSRC2:USER_SGPR: 6
; COMPUTE_PGM_RSRC2:TRAP_HANDLER: 0
; COMPUTE_PGM_RSRC2:TGID_X_EN: 1
; COMPUTE_PGM_RSRC2:TGID_Y_EN: 0
; COMPUTE_PGM_RSRC2:TGID_Z_EN: 0
; COMPUTE_PGM_RSRC2:TIDIG_COMP_CNT: 0
	.section	.text._ZN2at6native16triu_tril_kernelIilLb1ELi2ELb1EEEvNS_4cuda6detail10TensorInfoIT_T0_EENS4_IKS5_S6_EEllS6_,"axG",@progbits,_ZN2at6native16triu_tril_kernelIilLb1ELi2ELb1EEEvNS_4cuda6detail10TensorInfoIT_T0_EENS4_IKS5_S6_EEllS6_,comdat
	.protected	_ZN2at6native16triu_tril_kernelIilLb1ELi2ELb1EEEvNS_4cuda6detail10TensorInfoIT_T0_EENS4_IKS5_S6_EEllS6_ ; -- Begin function _ZN2at6native16triu_tril_kernelIilLb1ELi2ELb1EEEvNS_4cuda6detail10TensorInfoIT_T0_EENS4_IKS5_S6_EEllS6_
	.globl	_ZN2at6native16triu_tril_kernelIilLb1ELi2ELb1EEEvNS_4cuda6detail10TensorInfoIT_T0_EENS4_IKS5_S6_EEllS6_
	.p2align	8
	.type	_ZN2at6native16triu_tril_kernelIilLb1ELi2ELb1EEEvNS_4cuda6detail10TensorInfoIT_T0_EENS4_IKS5_S6_EEllS6_,@function
_ZN2at6native16triu_tril_kernelIilLb1ELi2ELb1EEEvNS_4cuda6detail10TensorInfoIT_T0_EENS4_IKS5_S6_EEllS6_: ; @_ZN2at6native16triu_tril_kernelIilLb1ELi2ELb1EEEvNS_4cuda6detail10TensorInfoIT_T0_EENS4_IKS5_S6_EEllS6_
; %bb.0:
	s_load_dword s2, s[4:5], 0x364
	s_load_dwordx4 s[8:11], s[4:5], 0x340
	s_add_u32 s0, s4, 0x358
	v_mov_b32_e32 v2, 0
	s_addc_u32 s1, s5, 0
	s_waitcnt lgkmcnt(0)
	s_and_b32 s2, s2, 0xffff
	v_mov_b32_e32 v1, v2
	v_mov_b32_e32 v3, s6
	v_mad_u64_u32 v[0:1], s[6:7], s2, v3, v[0:1]
	v_lshlrev_b64 v[0:1], 1, v[0:1]
	v_cmp_gt_i64_e32 vcc, s[10:11], v[0:1]
	s_and_saveexec_b64 s[6:7], vcc
	s_cbranch_execz .LBB62_41
; %bb.1:
	s_load_dword s1, s[0:1], 0x0
	s_add_u32 s34, s4, 0x1a0
	s_load_dword s0, s[4:5], 0x338
	s_addc_u32 s35, s5, 0
	s_load_dwordx2 s[6:7], s[4:5], 0x350
	s_load_dwordx2 s[12:13], s[4:5], 0x0
	s_waitcnt lgkmcnt(0)
	s_mul_i32 s24, s1, s2
	s_mov_b32 s25, 0
	s_add_i32 s2, s0, -2
	s_ashr_i32 s3, s2, 31
	s_ashr_i32 s1, s0, 31
	s_lshl_b64 s[16:17], s[2:3], 3
	s_add_u32 s16, s34, s16
	s_addc_u32 s17, s35, s17
	s_lshl_b64 s[22:23], s[0:1], 3
	s_add_u32 s18, s4, s22
	s_addc_u32 s19, s5, s23
	s_add_i32 s20, s0, -3
	s_ashr_i32 s21, s20, 31
	s_add_u32 s22, s34, s22
	v_cmp_gt_i64_e64 s[14:15], s[0:1], 2
	s_addc_u32 s23, s35, s23
	s_lshl_b32 s33, s24, 1
	s_and_b32 s24, s2, 3
	s_and_b32 s0, s20, 3
	s_cmp_lg_u32 s0, 3
	s_cselect_b64 s[26:27], -1, 0
	s_cmp_gt_u32 s20, 2
	s_cselect_b64 s[28:29], -1, 0
	s_lshl_b64 s[0:1], s[20:21], 3
	s_add_u32 s2, s4, s0
	s_addc_u32 s3, s5, s1
	s_add_u32 s30, s2, 0xd0
	s_addc_u32 s31, s3, 0
	;; [unrolled: 2-line block ×3, first 2 shown]
	s_add_u32 s34, s0, 8
	s_load_dwordx2 s[16:17], s[16:17], 0x8
	s_addc_u32 s35, s1, 0
	s_add_u32 s64, s4, 0xb8
	s_addc_u32 s65, s5, 0
	s_add_u32 s66, s4, 0x190
	s_addc_u32 s67, s5, 0
	s_mov_b64 s[4:5], 0
	s_branch .LBB62_3
.LBB62_2:                               ;   in Loop: Header=BB62_3 Depth=1
	s_or_b64 exec, exec, s[36:37]
	v_add_co_u32_e32 v0, vcc, s33, v0
	v_addc_co_u32_e32 v1, vcc, 0, v1, vcc
	v_cmp_le_i64_e32 vcc, s[10:11], v[0:1]
	s_or_b64 s[4:5], vcc, s[4:5]
	s_andn2_b64 exec, exec, s[4:5]
	s_cbranch_execz .LBB62_41
.LBB62_3:                               ; =>This Loop Header: Depth=1
                                        ;     Child Loop BB62_17 Depth 2
                                        ;     Child Loop BB62_22 Depth 2
	v_or_b32_e32 v3, s7, v1
	v_cmp_ne_u64_e32 vcc, 0, v[2:3]
                                        ; implicit-def: $vgpr6_vgpr7
	s_and_saveexec_b64 s[0:1], vcc
	s_xor_b64 s[2:3], exec, s[0:1]
	s_cbranch_execz .LBB62_5
; %bb.4:                                ;   in Loop: Header=BB62_3 Depth=1
	s_ashr_i32 s36, s7, 31
	s_add_u32 s0, s6, s36
	s_mov_b32 s37, s36
	s_addc_u32 s1, s7, s36
	s_xor_b64 s[38:39], s[0:1], s[36:37]
	v_cvt_f32_u32_e32 v3, s38
	v_cvt_f32_u32_e32 v4, s39
	s_sub_u32 s37, 0, s38
	s_subb_u32 s40, 0, s39
	v_ashrrev_i32_e32 v7, 31, v1
	v_mac_f32_e32 v3, 0x4f800000, v4
	v_rcp_f32_e32 v3, v3
	v_mul_f32_e32 v3, 0x5f7ffffc, v3
	v_mul_f32_e32 v4, 0x2f800000, v3
	v_trunc_f32_e32 v4, v4
	v_mac_f32_e32 v3, 0xcf800000, v4
	v_cvt_u32_f32_e32 v4, v4
	v_cvt_u32_f32_e32 v3, v3
	v_readfirstlane_b32 s41, v4
	v_readfirstlane_b32 s0, v3
	s_mul_i32 s1, s37, s41
	s_mul_hi_u32 s43, s37, s0
	s_mul_i32 s42, s40, s0
	s_add_i32 s1, s43, s1
	s_add_i32 s1, s1, s42
	s_mul_i32 s44, s37, s0
	s_mul_i32 s43, s0, s1
	s_mul_hi_u32 s45, s0, s44
	s_mul_hi_u32 s42, s0, s1
	s_add_u32 s43, s45, s43
	s_addc_u32 s42, 0, s42
	s_mul_hi_u32 s46, s41, s44
	s_mul_i32 s44, s41, s44
	s_add_u32 s43, s43, s44
	s_mul_hi_u32 s45, s41, s1
	s_addc_u32 s42, s42, s46
	s_addc_u32 s43, s45, 0
	s_mul_i32 s1, s41, s1
	s_add_u32 s1, s42, s1
	s_addc_u32 s42, 0, s43
	s_add_u32 s43, s0, s1
	s_cselect_b64 s[0:1], -1, 0
	s_cmp_lg_u64 s[0:1], 0
	s_addc_u32 s41, s41, s42
	s_mul_i32 s0, s37, s41
	s_mul_hi_u32 s1, s37, s43
	s_add_i32 s0, s1, s0
	s_mul_i32 s40, s40, s43
	s_add_i32 s0, s0, s40
	s_mul_i32 s37, s37, s43
	s_mul_hi_u32 s40, s41, s37
	s_mul_i32 s42, s41, s37
	s_mul_i32 s45, s43, s0
	s_mul_hi_u32 s37, s43, s37
	s_mul_hi_u32 s44, s43, s0
	s_add_u32 s37, s37, s45
	s_addc_u32 s44, 0, s44
	s_add_u32 s37, s37, s42
	s_mul_hi_u32 s1, s41, s0
	s_addc_u32 s37, s44, s40
	s_addc_u32 s1, s1, 0
	s_mul_i32 s0, s41, s0
	s_add_u32 s0, s37, s0
	s_addc_u32 s37, 0, s1
	s_add_u32 s40, s43, s0
	s_cselect_b64 s[0:1], -1, 0
	s_cmp_lg_u64 s[0:1], 0
	v_add_co_u32_e32 v3, vcc, v0, v7
	s_addc_u32 s37, s41, s37
	v_xor_b32_e32 v8, v3, v7
	v_mad_u64_u32 v[3:4], s[0:1], v8, s37, 0
	v_mul_hi_u32 v6, v8, s40
	v_addc_co_u32_e32 v5, vcc, v1, v7, vcc
	v_xor_b32_e32 v9, v5, v7
	v_add_co_u32_e32 v10, vcc, v6, v3
	v_addc_co_u32_e32 v11, vcc, 0, v4, vcc
	v_mad_u64_u32 v[3:4], s[0:1], v9, s40, 0
	v_mad_u64_u32 v[5:6], s[0:1], v9, s37, 0
	v_add_co_u32_e32 v3, vcc, v10, v3
	v_addc_co_u32_e32 v3, vcc, v11, v4, vcc
	v_addc_co_u32_e32 v4, vcc, 0, v6, vcc
	v_add_co_u32_e32 v5, vcc, v3, v5
	v_addc_co_u32_e32 v6, vcc, 0, v4, vcc
	v_mul_lo_u32 v10, s39, v5
	v_mul_lo_u32 v11, s38, v6
	v_mad_u64_u32 v[3:4], s[0:1], s38, v5, 0
	v_add3_u32 v4, v4, v11, v10
	v_sub_u32_e32 v10, v9, v4
	v_mov_b32_e32 v11, s39
	v_sub_co_u32_e32 v3, vcc, v8, v3
	v_subb_co_u32_e64 v8, s[0:1], v10, v11, vcc
	v_subrev_co_u32_e64 v10, s[0:1], s38, v3
	v_subbrev_co_u32_e64 v8, s[0:1], 0, v8, s[0:1]
	v_cmp_le_u32_e64 s[0:1], s39, v8
	v_cndmask_b32_e64 v11, 0, -1, s[0:1]
	v_cmp_le_u32_e64 s[0:1], s38, v10
	v_cndmask_b32_e64 v10, 0, -1, s[0:1]
	v_cmp_eq_u32_e64 s[0:1], s39, v8
	v_cndmask_b32_e64 v8, v11, v10, s[0:1]
	v_add_co_u32_e64 v10, s[0:1], 2, v5
	v_subb_co_u32_e32 v4, vcc, v9, v4, vcc
	v_addc_co_u32_e64 v11, s[0:1], 0, v6, s[0:1]
	v_cmp_le_u32_e32 vcc, s39, v4
	v_add_co_u32_e64 v12, s[0:1], 1, v5
	v_cndmask_b32_e64 v9, 0, -1, vcc
	v_cmp_le_u32_e32 vcc, s38, v3
	v_addc_co_u32_e64 v13, s[0:1], 0, v6, s[0:1]
	v_cndmask_b32_e64 v3, 0, -1, vcc
	v_cmp_eq_u32_e32 vcc, s39, v4
	v_cmp_ne_u32_e64 s[0:1], 0, v8
	v_cndmask_b32_e32 v3, v9, v3, vcc
	v_cmp_ne_u32_e32 vcc, 0, v3
	v_cndmask_b32_e64 v4, v12, v10, s[0:1]
	v_cndmask_b32_e64 v8, v13, v11, s[0:1]
	v_cndmask_b32_e32 v4, v5, v4, vcc
	v_xor_b32_e32 v5, s36, v7
	v_cndmask_b32_e32 v3, v6, v8, vcc
	v_xor_b32_e32 v4, v4, v5
	v_xor_b32_e32 v3, v3, v5
	v_sub_co_u32_e32 v6, vcc, v4, v5
	v_subb_co_u32_e32 v7, vcc, v3, v5, vcc
.LBB62_5:                               ;   in Loop: Header=BB62_3 Depth=1
	s_andn2_saveexec_b64 s[0:1], s[2:3]
	s_cbranch_execz .LBB62_7
; %bb.6:                                ;   in Loop: Header=BB62_3 Depth=1
	v_cvt_f32_u32_e32 v3, s6
	s_sub_i32 s2, 0, s6
	v_mov_b32_e32 v7, v2
	v_rcp_iflag_f32_e32 v3, v3
	v_mul_f32_e32 v3, 0x4f7ffffe, v3
	v_cvt_u32_f32_e32 v3, v3
	v_mul_lo_u32 v4, s2, v3
	v_mul_hi_u32 v4, v3, v4
	v_add_u32_e32 v3, v3, v4
	v_mul_hi_u32 v3, v0, v3
	v_mul_lo_u32 v4, v3, s6
	v_add_u32_e32 v5, 1, v3
	v_sub_u32_e32 v4, v0, v4
	v_subrev_u32_e32 v6, s6, v4
	v_cmp_le_u32_e32 vcc, s6, v4
	v_cndmask_b32_e32 v4, v4, v6, vcc
	v_cndmask_b32_e32 v3, v3, v5, vcc
	v_add_u32_e32 v5, 1, v3
	v_cmp_le_u32_e32 vcc, s6, v4
	v_cndmask_b32_e32 v6, v3, v5, vcc
.LBB62_7:                               ;   in Loop: Header=BB62_3 Depth=1
	s_or_b64 exec, exec, s[0:1]
	s_waitcnt lgkmcnt(0)
	v_or_b32_e32 v3, s17, v7
	v_cmp_ne_u64_e32 vcc, 0, v[2:3]
                                        ; implicit-def: $vgpr8_vgpr9
	s_and_saveexec_b64 s[0:1], vcc
	s_xor_b64 s[2:3], exec, s[0:1]
	s_cbranch_execz .LBB62_9
; %bb.8:                                ;   in Loop: Header=BB62_3 Depth=1
	s_ashr_i32 s36, s17, 31
	s_add_u32 s0, s16, s36
	s_mov_b32 s37, s36
	s_addc_u32 s1, s17, s36
	s_xor_b64 s[38:39], s[0:1], s[36:37]
	v_cvt_f32_u32_e32 v3, s38
	v_cvt_f32_u32_e32 v4, s39
	s_sub_u32 s37, 0, s38
	s_subb_u32 s40, 0, s39
	v_ashrrev_i32_e32 v5, 31, v7
	v_mac_f32_e32 v3, 0x4f800000, v4
	v_rcp_f32_e32 v3, v3
	v_mul_f32_e32 v3, 0x5f7ffffc, v3
	v_mul_f32_e32 v4, 0x2f800000, v3
	v_trunc_f32_e32 v4, v4
	v_mac_f32_e32 v3, 0xcf800000, v4
	v_cvt_u32_f32_e32 v4, v4
	v_cvt_u32_f32_e32 v3, v3
	v_readfirstlane_b32 s41, v4
	v_readfirstlane_b32 s0, v3
	s_mul_i32 s1, s37, s41
	s_mul_hi_u32 s43, s37, s0
	s_mul_i32 s42, s40, s0
	s_add_i32 s1, s43, s1
	s_add_i32 s1, s1, s42
	s_mul_i32 s44, s37, s0
	s_mul_i32 s43, s0, s1
	s_mul_hi_u32 s45, s0, s44
	s_mul_hi_u32 s42, s0, s1
	s_add_u32 s43, s45, s43
	s_addc_u32 s42, 0, s42
	s_mul_hi_u32 s46, s41, s44
	s_mul_i32 s44, s41, s44
	s_add_u32 s43, s43, s44
	s_mul_hi_u32 s45, s41, s1
	s_addc_u32 s42, s42, s46
	s_addc_u32 s43, s45, 0
	s_mul_i32 s1, s41, s1
	s_add_u32 s1, s42, s1
	s_addc_u32 s42, 0, s43
	s_add_u32 s43, s0, s1
	s_cselect_b64 s[0:1], -1, 0
	s_cmp_lg_u64 s[0:1], 0
	s_addc_u32 s41, s41, s42
	s_mul_i32 s0, s37, s41
	s_mul_hi_u32 s1, s37, s43
	s_add_i32 s0, s1, s0
	s_mul_i32 s40, s40, s43
	s_add_i32 s0, s0, s40
	s_mul_i32 s37, s37, s43
	s_mul_hi_u32 s40, s41, s37
	s_mul_i32 s42, s41, s37
	s_mul_i32 s45, s43, s0
	s_mul_hi_u32 s37, s43, s37
	s_mul_hi_u32 s44, s43, s0
	s_add_u32 s37, s37, s45
	s_addc_u32 s44, 0, s44
	s_add_u32 s37, s37, s42
	s_mul_hi_u32 s1, s41, s0
	s_addc_u32 s37, s44, s40
	s_addc_u32 s1, s1, 0
	s_mul_i32 s0, s41, s0
	s_add_u32 s0, s37, s0
	s_addc_u32 s37, 0, s1
	s_add_u32 s40, s43, s0
	s_cselect_b64 s[0:1], -1, 0
	s_cmp_lg_u64 s[0:1], 0
	v_add_co_u32_e32 v3, vcc, v6, v5
	s_addc_u32 s37, s41, s37
	v_xor_b32_e32 v10, v3, v5
	v_mad_u64_u32 v[3:4], s[0:1], v10, s37, 0
	v_mul_hi_u32 v9, v10, s40
	v_addc_co_u32_e32 v8, vcc, v7, v5, vcc
	v_xor_b32_e32 v11, v8, v5
	v_add_co_u32_e32 v12, vcc, v9, v3
	v_addc_co_u32_e32 v13, vcc, 0, v4, vcc
	v_mad_u64_u32 v[3:4], s[0:1], v11, s40, 0
	v_mad_u64_u32 v[8:9], s[0:1], v11, s37, 0
	v_add_co_u32_e32 v3, vcc, v12, v3
	v_addc_co_u32_e32 v3, vcc, v13, v4, vcc
	v_addc_co_u32_e32 v4, vcc, 0, v9, vcc
	v_add_co_u32_e32 v8, vcc, v3, v8
	v_addc_co_u32_e32 v9, vcc, 0, v4, vcc
	v_mul_lo_u32 v12, s39, v8
	v_mul_lo_u32 v13, s38, v9
	v_mad_u64_u32 v[3:4], s[0:1], s38, v8, 0
	v_xor_b32_e32 v5, s36, v5
	v_add3_u32 v4, v4, v13, v12
	v_sub_u32_e32 v12, v11, v4
	v_mov_b32_e32 v13, s39
	v_sub_co_u32_e32 v3, vcc, v10, v3
	v_subb_co_u32_e64 v10, s[0:1], v12, v13, vcc
	v_subrev_co_u32_e64 v12, s[0:1], s38, v3
	v_subbrev_co_u32_e64 v10, s[0:1], 0, v10, s[0:1]
	v_cmp_le_u32_e64 s[0:1], s39, v10
	v_cndmask_b32_e64 v13, 0, -1, s[0:1]
	v_cmp_le_u32_e64 s[0:1], s38, v12
	v_cndmask_b32_e64 v12, 0, -1, s[0:1]
	v_cmp_eq_u32_e64 s[0:1], s39, v10
	v_cndmask_b32_e64 v10, v13, v12, s[0:1]
	v_add_co_u32_e64 v12, s[0:1], 2, v8
	v_subb_co_u32_e32 v4, vcc, v11, v4, vcc
	v_addc_co_u32_e64 v13, s[0:1], 0, v9, s[0:1]
	v_cmp_le_u32_e32 vcc, s39, v4
	v_add_co_u32_e64 v14, s[0:1], 1, v8
	v_cndmask_b32_e64 v11, 0, -1, vcc
	v_cmp_le_u32_e32 vcc, s38, v3
	v_addc_co_u32_e64 v15, s[0:1], 0, v9, s[0:1]
	v_cndmask_b32_e64 v3, 0, -1, vcc
	v_cmp_eq_u32_e32 vcc, s39, v4
	v_cmp_ne_u32_e64 s[0:1], 0, v10
	v_cndmask_b32_e32 v3, v11, v3, vcc
	v_cmp_ne_u32_e32 vcc, 0, v3
	v_cndmask_b32_e64 v4, v14, v12, s[0:1]
	v_cndmask_b32_e64 v10, v15, v13, s[0:1]
	v_cndmask_b32_e32 v4, v8, v4, vcc
	v_cndmask_b32_e32 v3, v9, v10, vcc
	v_xor_b32_e32 v4, v4, v5
	v_xor_b32_e32 v3, v3, v5
	v_sub_co_u32_e32 v8, vcc, v4, v5
	v_subb_co_u32_e32 v9, vcc, v3, v5, vcc
.LBB62_9:                               ;   in Loop: Header=BB62_3 Depth=1
	s_andn2_saveexec_b64 s[0:1], s[2:3]
	s_cbranch_execz .LBB62_11
; %bb.10:                               ;   in Loop: Header=BB62_3 Depth=1
	v_cvt_f32_u32_e32 v3, s16
	s_sub_i32 s2, 0, s16
	v_mov_b32_e32 v9, v2
	v_rcp_iflag_f32_e32 v3, v3
	v_mul_f32_e32 v3, 0x4f7ffffe, v3
	v_cvt_u32_f32_e32 v3, v3
	v_mul_lo_u32 v4, s2, v3
	v_mul_hi_u32 v4, v3, v4
	v_add_u32_e32 v3, v3, v4
	v_mul_hi_u32 v3, v6, v3
	v_mul_lo_u32 v4, v3, s16
	v_add_u32_e32 v5, 1, v3
	v_sub_u32_e32 v4, v6, v4
	v_subrev_u32_e32 v8, s16, v4
	v_cmp_le_u32_e32 vcc, s16, v4
	v_cndmask_b32_e32 v4, v4, v8, vcc
	v_cndmask_b32_e32 v3, v3, v5, vcc
	v_add_u32_e32 v5, 1, v3
	v_cmp_le_u32_e32 vcc, s16, v4
	v_cndmask_b32_e32 v8, v3, v5, vcc
.LBB62_11:                              ;   in Loop: Header=BB62_3 Depth=1
	s_or_b64 exec, exec, s[0:1]
	v_mul_lo_u32 v5, v7, s6
	v_mul_lo_u32 v10, v6, s7
	v_mad_u64_u32 v[3:4], s[0:1], v6, s6, 0
	v_mul_lo_u32 v12, v9, s16
	v_mul_lo_u32 v13, v8, s17
	v_add3_u32 v5, v4, v10, v5
	v_mad_u64_u32 v[10:11], s[0:1], v8, s16, 0
	v_sub_co_u32_e32 v4, vcc, v0, v3
	v_subb_co_u32_e32 v5, vcc, v1, v5, vcc
	v_add3_u32 v3, v11, v13, v12
	v_sub_co_u32_e32 v18, vcc, v6, v10
	v_subb_co_u32_e32 v19, vcc, v7, v3, vcc
	v_sub_co_u32_e32 v6, vcc, v4, v18
	v_subb_co_u32_e32 v7, vcc, v5, v19, vcc
	v_cmp_gt_i64_e32 vcc, s[8:9], v[6:7]
	s_and_saveexec_b64 s[36:37], vcc
	s_cbranch_execz .LBB62_2
; %bb.12:                               ;   in Loop: Header=BB62_3 Depth=1
	s_load_dwordx4 s[0:3], s[18:19], 0xc0
	s_andn2_b64 vcc, exec, s[14:15]
	s_waitcnt lgkmcnt(0)
	v_mul_lo_u32 v3, s3, v4
	v_mul_lo_u32 v10, s2, v5
	v_mad_u64_u32 v[6:7], s[38:39], s2, v4, 0
	v_mul_lo_u32 v11, s0, v19
	v_add3_u32 v7, v7, v10, v3
	v_mad_u64_u32 v[6:7], s[38:39], s0, v18, v[6:7]
	v_mul_lo_u32 v3, s1, v18
	v_add3_u32 v7, v3, v7, v11
	s_cbranch_vccnz .LBB62_38
; %bb.13:                               ;   in Loop: Header=BB62_3 Depth=1
	s_andn2_b64 vcc, exec, s[26:27]
	s_mov_b64 s[38:39], s[24:25]
	s_mov_b64 s[40:41], s[34:35]
	;; [unrolled: 1-line block ×4, first 2 shown]
	s_cbranch_vccz .LBB62_17
.LBB62_14:                              ;   in Loop: Header=BB62_3 Depth=1
	s_andn2_b64 vcc, exec, s[28:29]
	s_cbranch_vccnz .LBB62_38
; %bb.15:                               ;   in Loop: Header=BB62_3 Depth=1
	s_lshl_b64 s[0:1], s[42:43], 3
	s_add_u32 s38, s64, s0
	s_addc_u32 s39, s65, s1
	s_add_u32 s40, s66, s0
	s_addc_u32 s41, s67, s1
	;; [unrolled: 2-line block ×3, first 2 shown]
	s_branch .LBB62_22
.LBB62_16:                              ;   in Loop: Header=BB62_17 Depth=2
	s_or_b64 exec, exec, s[0:1]
	v_mul_lo_u32 v3, v11, s46
	v_mul_lo_u32 v14, v10, s47
	v_mad_u64_u32 v[12:13], s[0:1], v10, s46, 0
	s_load_dwordx2 s[0:1], s[44:45], 0x0
	s_add_u32 s42, s42, -1
	v_add3_u32 v3, v13, v14, v3
	v_sub_co_u32_e32 v8, vcc, v8, v12
	s_addc_u32 s43, s43, -1
	v_subb_co_u32_e32 v3, vcc, v9, v3, vcc
	s_add_u32 s44, s44, -8
	s_waitcnt lgkmcnt(0)
	v_mul_lo_u32 v3, s0, v3
	v_mul_lo_u32 v9, s1, v8
	v_mad_u64_u32 v[6:7], s[0:1], s0, v8, v[6:7]
	s_addc_u32 s45, s45, -1
	s_add_u32 s40, s40, -8
	s_addc_u32 s41, s41, -1
	s_add_u32 s38, s38, -1
	s_addc_u32 s39, s39, -1
	v_add3_u32 v7, v9, v7, v3
	v_mov_b32_e32 v8, v10
	s_cmp_lg_u64 s[38:39], 0
	v_mov_b32_e32 v9, v11
	s_cbranch_scc0 .LBB62_14
.LBB62_17:                              ;   Parent Loop BB62_3 Depth=1
                                        ; =>  This Inner Loop Header: Depth=2
	s_load_dwordx2 s[46:47], s[40:41], 0x0
                                        ; implicit-def: $vgpr10_vgpr11
	s_waitcnt lgkmcnt(0)
	v_or_b32_e32 v3, s47, v9
	v_cmp_ne_u64_e32 vcc, 0, v[2:3]
	s_and_saveexec_b64 s[0:1], vcc
	s_xor_b64 s[48:49], exec, s[0:1]
	s_cbranch_execz .LBB62_19
; %bb.18:                               ;   in Loop: Header=BB62_17 Depth=2
	s_ashr_i32 s50, s47, 31
	s_add_u32 s0, s46, s50
	s_mov_b32 s51, s50
	s_addc_u32 s1, s47, s50
	s_xor_b64 s[52:53], s[0:1], s[50:51]
	v_cvt_f32_u32_e32 v3, s52
	v_cvt_f32_u32_e32 v10, s53
	s_sub_u32 s51, 0, s52
	s_subb_u32 s54, 0, s53
	v_mac_f32_e32 v3, 0x4f800000, v10
	v_rcp_f32_e32 v3, v3
	v_mul_f32_e32 v3, 0x5f7ffffc, v3
	v_mul_f32_e32 v10, 0x2f800000, v3
	v_trunc_f32_e32 v10, v10
	v_mac_f32_e32 v3, 0xcf800000, v10
	v_cvt_u32_f32_e32 v10, v10
	v_cvt_u32_f32_e32 v3, v3
	v_readfirstlane_b32 s55, v10
	v_readfirstlane_b32 s0, v3
	s_mul_i32 s1, s51, s55
	s_mul_hi_u32 s57, s51, s0
	s_mul_i32 s56, s54, s0
	s_add_i32 s1, s57, s1
	s_add_i32 s1, s1, s56
	s_mul_i32 s58, s51, s0
	s_mul_i32 s57, s0, s1
	s_mul_hi_u32 s59, s0, s58
	s_mul_hi_u32 s56, s0, s1
	s_add_u32 s57, s59, s57
	s_addc_u32 s56, 0, s56
	s_mul_hi_u32 s60, s55, s58
	s_mul_i32 s58, s55, s58
	s_add_u32 s57, s57, s58
	s_mul_hi_u32 s59, s55, s1
	s_addc_u32 s56, s56, s60
	s_addc_u32 s57, s59, 0
	s_mul_i32 s1, s55, s1
	s_add_u32 s1, s56, s1
	s_addc_u32 s56, 0, s57
	s_add_u32 s57, s0, s1
	s_cselect_b64 s[0:1], -1, 0
	s_cmp_lg_u64 s[0:1], 0
	s_addc_u32 s55, s55, s56
	s_mul_i32 s0, s51, s55
	s_mul_hi_u32 s1, s51, s57
	s_add_i32 s0, s1, s0
	s_mul_i32 s54, s54, s57
	s_add_i32 s0, s0, s54
	s_mul_i32 s51, s51, s57
	s_mul_hi_u32 s54, s55, s51
	s_mul_i32 s56, s55, s51
	s_mul_i32 s59, s57, s0
	s_mul_hi_u32 s51, s57, s51
	s_mul_hi_u32 s58, s57, s0
	s_add_u32 s51, s51, s59
	s_addc_u32 s58, 0, s58
	s_add_u32 s51, s51, s56
	s_mul_hi_u32 s1, s55, s0
	s_addc_u32 s51, s58, s54
	s_addc_u32 s1, s1, 0
	s_mul_i32 s0, s55, s0
	s_add_u32 s0, s51, s0
	s_addc_u32 s51, 0, s1
	s_add_u32 s54, s57, s0
	s_cselect_b64 s[0:1], -1, 0
	v_ashrrev_i32_e32 v3, 31, v9
	s_cmp_lg_u64 s[0:1], 0
	v_add_co_u32_e32 v10, vcc, v8, v3
	s_addc_u32 s51, s55, s51
	v_xor_b32_e32 v14, v10, v3
	v_mad_u64_u32 v[10:11], s[0:1], v14, s51, 0
	v_mul_hi_u32 v13, v14, s54
	v_addc_co_u32_e32 v12, vcc, v9, v3, vcc
	v_xor_b32_e32 v15, v12, v3
	v_add_co_u32_e32 v16, vcc, v13, v10
	v_addc_co_u32_e32 v17, vcc, 0, v11, vcc
	v_mad_u64_u32 v[10:11], s[0:1], v15, s54, 0
	v_mad_u64_u32 v[12:13], s[0:1], v15, s51, 0
	v_add_co_u32_e32 v10, vcc, v16, v10
	v_addc_co_u32_e32 v10, vcc, v17, v11, vcc
	v_addc_co_u32_e32 v11, vcc, 0, v13, vcc
	v_add_co_u32_e32 v12, vcc, v10, v12
	v_addc_co_u32_e32 v13, vcc, 0, v11, vcc
	v_mul_lo_u32 v16, s53, v12
	v_mul_lo_u32 v17, s52, v13
	v_mad_u64_u32 v[10:11], s[0:1], s52, v12, 0
	v_xor_b32_e32 v3, s50, v3
	v_add3_u32 v11, v11, v17, v16
	v_sub_u32_e32 v16, v15, v11
	v_mov_b32_e32 v17, s53
	v_sub_co_u32_e32 v10, vcc, v14, v10
	v_subb_co_u32_e64 v14, s[0:1], v16, v17, vcc
	v_subrev_co_u32_e64 v16, s[0:1], s52, v10
	v_subbrev_co_u32_e64 v14, s[0:1], 0, v14, s[0:1]
	v_cmp_le_u32_e64 s[0:1], s53, v14
	v_cndmask_b32_e64 v17, 0, -1, s[0:1]
	v_cmp_le_u32_e64 s[0:1], s52, v16
	v_cndmask_b32_e64 v16, 0, -1, s[0:1]
	v_cmp_eq_u32_e64 s[0:1], s53, v14
	v_cndmask_b32_e64 v14, v17, v16, s[0:1]
	v_add_co_u32_e64 v16, s[0:1], 2, v12
	v_subb_co_u32_e32 v11, vcc, v15, v11, vcc
	v_addc_co_u32_e64 v17, s[0:1], 0, v13, s[0:1]
	v_cmp_le_u32_e32 vcc, s53, v11
	v_add_co_u32_e64 v20, s[0:1], 1, v12
	v_cndmask_b32_e64 v15, 0, -1, vcc
	v_cmp_le_u32_e32 vcc, s52, v10
	v_addc_co_u32_e64 v21, s[0:1], 0, v13, s[0:1]
	v_cndmask_b32_e64 v10, 0, -1, vcc
	v_cmp_eq_u32_e32 vcc, s53, v11
	v_cmp_ne_u32_e64 s[0:1], 0, v14
	v_cndmask_b32_e32 v10, v15, v10, vcc
	v_cndmask_b32_e64 v14, v21, v17, s[0:1]
	v_cmp_ne_u32_e32 vcc, 0, v10
	v_cndmask_b32_e64 v11, v20, v16, s[0:1]
	v_cndmask_b32_e32 v10, v13, v14, vcc
	v_cndmask_b32_e32 v11, v12, v11, vcc
	v_xor_b32_e32 v12, v10, v3
	v_xor_b32_e32 v10, v11, v3
	v_sub_co_u32_e32 v10, vcc, v10, v3
	v_subb_co_u32_e32 v11, vcc, v12, v3, vcc
.LBB62_19:                              ;   in Loop: Header=BB62_17 Depth=2
	s_andn2_saveexec_b64 s[0:1], s[48:49]
	s_cbranch_execz .LBB62_16
; %bb.20:                               ;   in Loop: Header=BB62_17 Depth=2
	v_cvt_f32_u32_e32 v3, s46
	s_sub_i32 s48, 0, s46
	v_rcp_iflag_f32_e32 v3, v3
	v_mul_f32_e32 v3, 0x4f7ffffe, v3
	v_cvt_u32_f32_e32 v3, v3
	v_mul_lo_u32 v10, s48, v3
	v_mul_hi_u32 v10, v3, v10
	v_add_u32_e32 v3, v3, v10
	v_mul_hi_u32 v3, v8, v3
	v_mul_lo_u32 v10, v3, s46
	v_add_u32_e32 v11, 1, v3
	v_sub_u32_e32 v10, v8, v10
	v_subrev_u32_e32 v12, s46, v10
	v_cmp_le_u32_e32 vcc, s46, v10
	v_cndmask_b32_e32 v10, v10, v12, vcc
	v_cndmask_b32_e32 v3, v3, v11, vcc
	v_add_u32_e32 v11, 1, v3
	v_cmp_le_u32_e32 vcc, s46, v10
	v_cndmask_b32_e32 v10, v3, v11, vcc
	v_mov_b32_e32 v11, v2
	s_branch .LBB62_16
.LBB62_21:                              ;   in Loop: Header=BB62_22 Depth=2
	s_or_b64 exec, exec, s[0:1]
	v_mul_lo_u32 v3, v11, s44
	v_mul_lo_u32 v22, v10, s45
	v_mad_u64_u32 v[20:21], s[0:1], v10, s44, 0
	v_add3_u32 v3, v21, v22, v3
	v_sub_co_u32_e32 v8, vcc, v8, v20
	v_subb_co_u32_e32 v3, vcc, v9, v3, vcc
	v_mul_lo_u32 v3, s48, v3
	v_mul_lo_u32 v20, s49, v8
	v_mad_u64_u32 v[6:7], s[0:1], s48, v8, v[6:7]
	v_mul_lo_u32 v21, v13, s46
	v_mul_lo_u32 v22, v12, s47
	v_mad_u64_u32 v[8:9], s[0:1], v12, s46, 0
	v_add3_u32 v7, v20, v7, v3
	v_mul_lo_u32 v20, v14, s51
	v_add3_u32 v3, v9, v22, v21
	v_sub_co_u32_e32 v8, vcc, v10, v8
	v_subb_co_u32_e32 v3, vcc, v11, v3, vcc
	v_mad_u64_u32 v[6:7], s[0:1], s52, v8, v[6:7]
	v_mul_lo_u32 v3, s52, v3
	v_mul_lo_u32 v10, s53, v8
	;; [unrolled: 1-line block ×3, first 2 shown]
	v_mad_u64_u32 v[8:9], s[0:1], v14, s50, 0
	v_add3_u32 v7, v10, v7, v3
	v_add3_u32 v3, v9, v20, v11
	v_sub_co_u32_e32 v8, vcc, v12, v8
	v_subb_co_u32_e32 v3, vcc, v13, v3, vcc
	v_mad_u64_u32 v[6:7], s[0:1], s56, v8, v[6:7]
	v_mul_lo_u32 v3, s56, v3
	v_mul_lo_u32 v10, s57, v8
	;; [unrolled: 1-line block ×4, first 2 shown]
	v_mad_u64_u32 v[8:9], s[0:1], v16, s54, 0
	s_load_dwordx2 s[0:1], s[38:39], 0x0
	v_add3_u32 v7, v10, v7, v3
	v_add3_u32 v3, v9, v12, v11
	v_sub_co_u32_e32 v8, vcc, v14, v8
	v_subb_co_u32_e32 v3, vcc, v15, v3, vcc
	s_add_u32 s38, s38, 0xffffffe0
	s_waitcnt lgkmcnt(0)
	v_mad_u64_u32 v[6:7], s[44:45], s0, v8, v[6:7]
	v_mul_lo_u32 v3, s0, v3
	v_mul_lo_u32 v8, s1, v8
	s_addc_u32 s39, s39, -1
	s_add_u32 s40, s40, 0xffffffe0
	s_addc_u32 s41, s41, -1
	s_add_u32 s42, s42, -4
	v_add3_u32 v7, v8, v7, v3
	s_addc_u32 s43, s43, -1
	v_mov_b32_e32 v8, v16
	s_cmp_eq_u64 s[42:43], 0
	v_mov_b32_e32 v9, v17
	s_cbranch_scc1 .LBB62_38
.LBB62_22:                              ;   Parent Loop BB62_3 Depth=1
                                        ; =>  This Inner Loop Header: Depth=2
	s_load_dwordx2 s[44:45], s[40:41], 0x18
                                        ; implicit-def: $vgpr10_vgpr11
	s_waitcnt lgkmcnt(0)
	v_or_b32_e32 v3, s45, v9
	v_cmp_ne_u64_e32 vcc, 0, v[2:3]
	s_and_saveexec_b64 s[0:1], vcc
	s_xor_b64 s[46:47], exec, s[0:1]
	s_cbranch_execz .LBB62_24
; %bb.23:                               ;   in Loop: Header=BB62_22 Depth=2
	s_ashr_i32 s48, s45, 31
	s_add_u32 s0, s44, s48
	s_mov_b32 s49, s48
	s_addc_u32 s1, s45, s48
	s_xor_b64 s[50:51], s[0:1], s[48:49]
	v_cvt_f32_u32_e32 v3, s50
	v_cvt_f32_u32_e32 v10, s51
	s_sub_u32 s49, 0, s50
	s_subb_u32 s52, 0, s51
	v_mac_f32_e32 v3, 0x4f800000, v10
	v_rcp_f32_e32 v3, v3
	v_mul_f32_e32 v3, 0x5f7ffffc, v3
	v_mul_f32_e32 v10, 0x2f800000, v3
	v_trunc_f32_e32 v10, v10
	v_mac_f32_e32 v3, 0xcf800000, v10
	v_cvt_u32_f32_e32 v10, v10
	v_cvt_u32_f32_e32 v3, v3
	v_readfirstlane_b32 s53, v10
	v_readfirstlane_b32 s0, v3
	s_mul_i32 s1, s49, s53
	s_mul_hi_u32 s55, s49, s0
	s_mul_i32 s54, s52, s0
	s_add_i32 s1, s55, s1
	s_add_i32 s1, s1, s54
	s_mul_i32 s56, s49, s0
	s_mul_i32 s55, s0, s1
	s_mul_hi_u32 s57, s0, s56
	s_mul_hi_u32 s54, s0, s1
	s_add_u32 s55, s57, s55
	s_addc_u32 s54, 0, s54
	s_mul_hi_u32 s58, s53, s56
	s_mul_i32 s56, s53, s56
	s_add_u32 s55, s55, s56
	s_mul_hi_u32 s57, s53, s1
	s_addc_u32 s54, s54, s58
	s_addc_u32 s55, s57, 0
	s_mul_i32 s1, s53, s1
	s_add_u32 s1, s54, s1
	s_addc_u32 s54, 0, s55
	s_add_u32 s55, s0, s1
	s_cselect_b64 s[0:1], -1, 0
	s_cmp_lg_u64 s[0:1], 0
	s_addc_u32 s53, s53, s54
	s_mul_i32 s0, s49, s53
	s_mul_hi_u32 s1, s49, s55
	s_add_i32 s0, s1, s0
	s_mul_i32 s52, s52, s55
	s_add_i32 s0, s0, s52
	s_mul_i32 s49, s49, s55
	s_mul_hi_u32 s52, s53, s49
	s_mul_i32 s54, s53, s49
	s_mul_i32 s57, s55, s0
	s_mul_hi_u32 s49, s55, s49
	s_mul_hi_u32 s56, s55, s0
	s_add_u32 s49, s49, s57
	s_addc_u32 s56, 0, s56
	s_add_u32 s49, s49, s54
	s_mul_hi_u32 s1, s53, s0
	s_addc_u32 s49, s56, s52
	s_addc_u32 s1, s1, 0
	s_mul_i32 s0, s53, s0
	s_add_u32 s0, s49, s0
	s_addc_u32 s49, 0, s1
	s_add_u32 s52, s55, s0
	s_cselect_b64 s[0:1], -1, 0
	v_ashrrev_i32_e32 v3, 31, v9
	s_cmp_lg_u64 s[0:1], 0
	v_add_co_u32_e32 v10, vcc, v8, v3
	s_addc_u32 s49, s53, s49
	v_xor_b32_e32 v14, v10, v3
	v_mad_u64_u32 v[10:11], s[0:1], v14, s49, 0
	v_mul_hi_u32 v13, v14, s52
	v_addc_co_u32_e32 v12, vcc, v9, v3, vcc
	v_xor_b32_e32 v15, v12, v3
	v_add_co_u32_e32 v16, vcc, v13, v10
	v_addc_co_u32_e32 v17, vcc, 0, v11, vcc
	v_mad_u64_u32 v[10:11], s[0:1], v15, s52, 0
	v_mad_u64_u32 v[12:13], s[0:1], v15, s49, 0
	v_add_co_u32_e32 v10, vcc, v16, v10
	v_addc_co_u32_e32 v10, vcc, v17, v11, vcc
	v_addc_co_u32_e32 v11, vcc, 0, v13, vcc
	v_add_co_u32_e32 v12, vcc, v10, v12
	v_addc_co_u32_e32 v13, vcc, 0, v11, vcc
	v_mul_lo_u32 v16, s51, v12
	v_mul_lo_u32 v17, s50, v13
	v_mad_u64_u32 v[10:11], s[0:1], s50, v12, 0
	v_xor_b32_e32 v3, s48, v3
	v_add3_u32 v11, v11, v17, v16
	v_sub_u32_e32 v16, v15, v11
	v_mov_b32_e32 v17, s51
	v_sub_co_u32_e32 v10, vcc, v14, v10
	v_subb_co_u32_e64 v14, s[0:1], v16, v17, vcc
	v_subrev_co_u32_e64 v16, s[0:1], s50, v10
	v_subbrev_co_u32_e64 v14, s[0:1], 0, v14, s[0:1]
	v_cmp_le_u32_e64 s[0:1], s51, v14
	v_cndmask_b32_e64 v17, 0, -1, s[0:1]
	v_cmp_le_u32_e64 s[0:1], s50, v16
	v_cndmask_b32_e64 v16, 0, -1, s[0:1]
	v_cmp_eq_u32_e64 s[0:1], s51, v14
	v_cndmask_b32_e64 v14, v17, v16, s[0:1]
	v_add_co_u32_e64 v16, s[0:1], 2, v12
	v_subb_co_u32_e32 v11, vcc, v15, v11, vcc
	v_addc_co_u32_e64 v17, s[0:1], 0, v13, s[0:1]
	v_cmp_le_u32_e32 vcc, s51, v11
	v_add_co_u32_e64 v20, s[0:1], 1, v12
	v_cndmask_b32_e64 v15, 0, -1, vcc
	v_cmp_le_u32_e32 vcc, s50, v10
	v_addc_co_u32_e64 v21, s[0:1], 0, v13, s[0:1]
	v_cndmask_b32_e64 v10, 0, -1, vcc
	v_cmp_eq_u32_e32 vcc, s51, v11
	v_cmp_ne_u32_e64 s[0:1], 0, v14
	v_cndmask_b32_e32 v10, v15, v10, vcc
	v_cndmask_b32_e64 v14, v21, v17, s[0:1]
	v_cmp_ne_u32_e32 vcc, 0, v10
	v_cndmask_b32_e64 v11, v20, v16, s[0:1]
	v_cndmask_b32_e32 v10, v13, v14, vcc
	v_cndmask_b32_e32 v11, v12, v11, vcc
	v_xor_b32_e32 v12, v10, v3
	v_xor_b32_e32 v10, v11, v3
	v_sub_co_u32_e32 v10, vcc, v10, v3
	v_subb_co_u32_e32 v11, vcc, v12, v3, vcc
.LBB62_24:                              ;   in Loop: Header=BB62_22 Depth=2
	s_andn2_saveexec_b64 s[0:1], s[46:47]
	s_cbranch_execz .LBB62_26
; %bb.25:                               ;   in Loop: Header=BB62_22 Depth=2
	v_cvt_f32_u32_e32 v3, s44
	s_sub_i32 s46, 0, s44
	v_rcp_iflag_f32_e32 v3, v3
	v_mul_f32_e32 v3, 0x4f7ffffe, v3
	v_cvt_u32_f32_e32 v3, v3
	v_mul_lo_u32 v10, s46, v3
	v_mul_hi_u32 v10, v3, v10
	v_add_u32_e32 v3, v3, v10
	v_mul_hi_u32 v3, v8, v3
	v_mul_lo_u32 v10, v3, s44
	v_add_u32_e32 v11, 1, v3
	v_sub_u32_e32 v10, v8, v10
	v_subrev_u32_e32 v12, s44, v10
	v_cmp_le_u32_e32 vcc, s44, v10
	v_cndmask_b32_e32 v10, v10, v12, vcc
	v_cndmask_b32_e32 v3, v3, v11, vcc
	v_add_u32_e32 v11, 1, v3
	v_cmp_le_u32_e32 vcc, s44, v10
	v_cndmask_b32_e32 v10, v3, v11, vcc
	v_mov_b32_e32 v11, v2
.LBB62_26:                              ;   in Loop: Header=BB62_22 Depth=2
	s_or_b64 exec, exec, s[0:1]
	s_load_dwordx2 s[46:47], s[40:41], 0x10
	s_load_dwordx2 s[48:49], s[38:39], 0x18
                                        ; implicit-def: $vgpr12_vgpr13
	s_waitcnt lgkmcnt(0)
	v_or_b32_e32 v3, s47, v11
	v_cmp_ne_u64_e32 vcc, 0, v[2:3]
	s_and_saveexec_b64 s[0:1], vcc
	s_xor_b64 s[50:51], exec, s[0:1]
	s_cbranch_execz .LBB62_28
; %bb.27:                               ;   in Loop: Header=BB62_22 Depth=2
	s_ashr_i32 s52, s47, 31
	s_add_u32 s0, s46, s52
	s_mov_b32 s53, s52
	s_addc_u32 s1, s47, s52
	s_xor_b64 s[54:55], s[0:1], s[52:53]
	v_cvt_f32_u32_e32 v3, s54
	v_cvt_f32_u32_e32 v12, s55
	s_sub_u32 s53, 0, s54
	s_subb_u32 s56, 0, s55
	v_mac_f32_e32 v3, 0x4f800000, v12
	v_rcp_f32_e32 v3, v3
	v_mul_f32_e32 v3, 0x5f7ffffc, v3
	v_mul_f32_e32 v12, 0x2f800000, v3
	v_trunc_f32_e32 v12, v12
	v_mac_f32_e32 v3, 0xcf800000, v12
	v_cvt_u32_f32_e32 v12, v12
	v_cvt_u32_f32_e32 v3, v3
	v_readfirstlane_b32 s57, v12
	v_readfirstlane_b32 s0, v3
	s_mul_i32 s1, s53, s57
	s_mul_hi_u32 s59, s53, s0
	s_mul_i32 s58, s56, s0
	s_add_i32 s1, s59, s1
	s_add_i32 s1, s1, s58
	s_mul_i32 s60, s53, s0
	s_mul_i32 s59, s0, s1
	s_mul_hi_u32 s61, s0, s60
	s_mul_hi_u32 s58, s0, s1
	s_add_u32 s59, s61, s59
	s_addc_u32 s58, 0, s58
	s_mul_hi_u32 s62, s57, s60
	s_mul_i32 s60, s57, s60
	s_add_u32 s59, s59, s60
	s_mul_hi_u32 s61, s57, s1
	s_addc_u32 s58, s58, s62
	s_addc_u32 s59, s61, 0
	s_mul_i32 s1, s57, s1
	s_add_u32 s1, s58, s1
	s_addc_u32 s58, 0, s59
	s_add_u32 s59, s0, s1
	s_cselect_b64 s[0:1], -1, 0
	s_cmp_lg_u64 s[0:1], 0
	s_addc_u32 s57, s57, s58
	s_mul_i32 s0, s53, s57
	s_mul_hi_u32 s1, s53, s59
	s_add_i32 s0, s1, s0
	s_mul_i32 s56, s56, s59
	s_add_i32 s0, s0, s56
	s_mul_i32 s53, s53, s59
	s_mul_hi_u32 s56, s57, s53
	s_mul_i32 s58, s57, s53
	s_mul_i32 s61, s59, s0
	s_mul_hi_u32 s53, s59, s53
	s_mul_hi_u32 s60, s59, s0
	s_add_u32 s53, s53, s61
	s_addc_u32 s60, 0, s60
	s_add_u32 s53, s53, s58
	s_mul_hi_u32 s1, s57, s0
	s_addc_u32 s53, s60, s56
	s_addc_u32 s1, s1, 0
	s_mul_i32 s0, s57, s0
	s_add_u32 s0, s53, s0
	s_addc_u32 s53, 0, s1
	s_add_u32 s56, s59, s0
	s_cselect_b64 s[0:1], -1, 0
	v_ashrrev_i32_e32 v3, 31, v11
	s_cmp_lg_u64 s[0:1], 0
	v_add_co_u32_e32 v12, vcc, v10, v3
	s_addc_u32 s53, s57, s53
	v_xor_b32_e32 v16, v12, v3
	v_mad_u64_u32 v[12:13], s[0:1], v16, s53, 0
	v_mul_hi_u32 v15, v16, s56
	v_addc_co_u32_e32 v14, vcc, v11, v3, vcc
	v_xor_b32_e32 v17, v14, v3
	v_add_co_u32_e32 v20, vcc, v15, v12
	v_addc_co_u32_e32 v21, vcc, 0, v13, vcc
	v_mad_u64_u32 v[12:13], s[0:1], v17, s56, 0
	v_mad_u64_u32 v[14:15], s[0:1], v17, s53, 0
	v_add_co_u32_e32 v12, vcc, v20, v12
	v_addc_co_u32_e32 v12, vcc, v21, v13, vcc
	v_addc_co_u32_e32 v13, vcc, 0, v15, vcc
	v_add_co_u32_e32 v14, vcc, v12, v14
	v_addc_co_u32_e32 v15, vcc, 0, v13, vcc
	v_mul_lo_u32 v20, s55, v14
	v_mul_lo_u32 v21, s54, v15
	v_mad_u64_u32 v[12:13], s[0:1], s54, v14, 0
	v_xor_b32_e32 v3, s52, v3
	v_add3_u32 v13, v13, v21, v20
	v_sub_u32_e32 v20, v17, v13
	v_mov_b32_e32 v21, s55
	v_sub_co_u32_e32 v12, vcc, v16, v12
	v_subb_co_u32_e64 v16, s[0:1], v20, v21, vcc
	v_subrev_co_u32_e64 v20, s[0:1], s54, v12
	v_subbrev_co_u32_e64 v16, s[0:1], 0, v16, s[0:1]
	v_cmp_le_u32_e64 s[0:1], s55, v16
	v_cndmask_b32_e64 v21, 0, -1, s[0:1]
	v_cmp_le_u32_e64 s[0:1], s54, v20
	v_cndmask_b32_e64 v20, 0, -1, s[0:1]
	v_cmp_eq_u32_e64 s[0:1], s55, v16
	v_cndmask_b32_e64 v16, v21, v20, s[0:1]
	v_add_co_u32_e64 v20, s[0:1], 2, v14
	v_subb_co_u32_e32 v13, vcc, v17, v13, vcc
	v_addc_co_u32_e64 v21, s[0:1], 0, v15, s[0:1]
	v_cmp_le_u32_e32 vcc, s55, v13
	v_add_co_u32_e64 v22, s[0:1], 1, v14
	v_cndmask_b32_e64 v17, 0, -1, vcc
	v_cmp_le_u32_e32 vcc, s54, v12
	v_addc_co_u32_e64 v23, s[0:1], 0, v15, s[0:1]
	v_cndmask_b32_e64 v12, 0, -1, vcc
	v_cmp_eq_u32_e32 vcc, s55, v13
	v_cmp_ne_u32_e64 s[0:1], 0, v16
	v_cndmask_b32_e32 v12, v17, v12, vcc
	v_cndmask_b32_e64 v16, v23, v21, s[0:1]
	v_cmp_ne_u32_e32 vcc, 0, v12
	v_cndmask_b32_e64 v13, v22, v20, s[0:1]
	v_cndmask_b32_e32 v12, v15, v16, vcc
	v_cndmask_b32_e32 v13, v14, v13, vcc
	v_xor_b32_e32 v14, v12, v3
	v_xor_b32_e32 v12, v13, v3
	v_sub_co_u32_e32 v12, vcc, v12, v3
	v_subb_co_u32_e32 v13, vcc, v14, v3, vcc
.LBB62_28:                              ;   in Loop: Header=BB62_22 Depth=2
	s_andn2_saveexec_b64 s[0:1], s[50:51]
	s_cbranch_execz .LBB62_30
; %bb.29:                               ;   in Loop: Header=BB62_22 Depth=2
	v_cvt_f32_u32_e32 v3, s46
	s_sub_i32 s50, 0, s46
	v_rcp_iflag_f32_e32 v3, v3
	v_mul_f32_e32 v3, 0x4f7ffffe, v3
	v_cvt_u32_f32_e32 v3, v3
	v_mul_lo_u32 v12, s50, v3
	v_mul_hi_u32 v12, v3, v12
	v_add_u32_e32 v3, v3, v12
	v_mul_hi_u32 v3, v10, v3
	v_mul_lo_u32 v12, v3, s46
	v_add_u32_e32 v13, 1, v3
	v_sub_u32_e32 v12, v10, v12
	v_subrev_u32_e32 v14, s46, v12
	v_cmp_le_u32_e32 vcc, s46, v12
	v_cndmask_b32_e32 v12, v12, v14, vcc
	v_cndmask_b32_e32 v3, v3, v13, vcc
	v_add_u32_e32 v13, 1, v3
	v_cmp_le_u32_e32 vcc, s46, v12
	v_cndmask_b32_e32 v12, v3, v13, vcc
	v_mov_b32_e32 v13, v2
.LBB62_30:                              ;   in Loop: Header=BB62_22 Depth=2
	s_or_b64 exec, exec, s[0:1]
	s_load_dwordx2 s[50:51], s[40:41], 0x8
	s_load_dwordx2 s[52:53], s[38:39], 0x10
                                        ; implicit-def: $vgpr14_vgpr15
	s_waitcnt lgkmcnt(0)
	v_or_b32_e32 v3, s51, v13
	v_cmp_ne_u64_e32 vcc, 0, v[2:3]
	s_and_saveexec_b64 s[0:1], vcc
	s_xor_b64 s[54:55], exec, s[0:1]
	s_cbranch_execz .LBB62_32
; %bb.31:                               ;   in Loop: Header=BB62_22 Depth=2
	s_ashr_i32 s56, s51, 31
	s_add_u32 s0, s50, s56
	s_mov_b32 s57, s56
	s_addc_u32 s1, s51, s56
	s_xor_b64 s[58:59], s[0:1], s[56:57]
	v_cvt_f32_u32_e32 v3, s58
	v_cvt_f32_u32_e32 v14, s59
	s_sub_u32 s57, 0, s58
	s_subb_u32 s60, 0, s59
	v_mac_f32_e32 v3, 0x4f800000, v14
	v_rcp_f32_e32 v3, v3
	v_mul_f32_e32 v3, 0x5f7ffffc, v3
	v_mul_f32_e32 v14, 0x2f800000, v3
	v_trunc_f32_e32 v14, v14
	v_mac_f32_e32 v3, 0xcf800000, v14
	v_cvt_u32_f32_e32 v14, v14
	v_cvt_u32_f32_e32 v3, v3
	v_readfirstlane_b32 s61, v14
	v_readfirstlane_b32 s0, v3
	s_mul_i32 s1, s57, s61
	s_mul_hi_u32 s63, s57, s0
	s_mul_i32 s62, s60, s0
	s_add_i32 s1, s63, s1
	s_add_i32 s1, s1, s62
	s_mul_i32 s68, s57, s0
	s_mul_i32 s63, s0, s1
	s_mul_hi_u32 s69, s0, s68
	s_mul_hi_u32 s62, s0, s1
	s_add_u32 s63, s69, s63
	s_addc_u32 s62, 0, s62
	s_mul_hi_u32 s70, s61, s68
	s_mul_i32 s68, s61, s68
	s_add_u32 s63, s63, s68
	s_mul_hi_u32 s69, s61, s1
	s_addc_u32 s62, s62, s70
	s_addc_u32 s63, s69, 0
	s_mul_i32 s1, s61, s1
	s_add_u32 s1, s62, s1
	s_addc_u32 s62, 0, s63
	s_add_u32 s63, s0, s1
	s_cselect_b64 s[0:1], -1, 0
	s_cmp_lg_u64 s[0:1], 0
	s_addc_u32 s61, s61, s62
	s_mul_i32 s0, s57, s61
	s_mul_hi_u32 s1, s57, s63
	s_add_i32 s0, s1, s0
	s_mul_i32 s60, s60, s63
	s_add_i32 s0, s0, s60
	s_mul_i32 s57, s57, s63
	s_mul_hi_u32 s60, s61, s57
	s_mul_i32 s62, s61, s57
	s_mul_i32 s69, s63, s0
	s_mul_hi_u32 s57, s63, s57
	s_mul_hi_u32 s68, s63, s0
	s_add_u32 s57, s57, s69
	s_addc_u32 s68, 0, s68
	s_add_u32 s57, s57, s62
	s_mul_hi_u32 s1, s61, s0
	s_addc_u32 s57, s68, s60
	s_addc_u32 s1, s1, 0
	s_mul_i32 s0, s61, s0
	s_add_u32 s0, s57, s0
	s_addc_u32 s57, 0, s1
	s_add_u32 s60, s63, s0
	s_cselect_b64 s[0:1], -1, 0
	v_ashrrev_i32_e32 v3, 31, v13
	s_cmp_lg_u64 s[0:1], 0
	v_add_co_u32_e32 v14, vcc, v12, v3
	s_addc_u32 s57, s61, s57
	v_xor_b32_e32 v20, v14, v3
	v_mad_u64_u32 v[14:15], s[0:1], v20, s57, 0
	v_mul_hi_u32 v17, v20, s60
	v_addc_co_u32_e32 v16, vcc, v13, v3, vcc
	v_xor_b32_e32 v21, v16, v3
	v_add_co_u32_e32 v22, vcc, v17, v14
	v_addc_co_u32_e32 v23, vcc, 0, v15, vcc
	v_mad_u64_u32 v[14:15], s[0:1], v21, s60, 0
	v_mad_u64_u32 v[16:17], s[0:1], v21, s57, 0
	v_add_co_u32_e32 v14, vcc, v22, v14
	v_addc_co_u32_e32 v14, vcc, v23, v15, vcc
	v_addc_co_u32_e32 v15, vcc, 0, v17, vcc
	v_add_co_u32_e32 v16, vcc, v14, v16
	v_addc_co_u32_e32 v17, vcc, 0, v15, vcc
	v_mul_lo_u32 v22, s59, v16
	v_mul_lo_u32 v23, s58, v17
	v_mad_u64_u32 v[14:15], s[0:1], s58, v16, 0
	v_xor_b32_e32 v3, s56, v3
	v_add3_u32 v15, v15, v23, v22
	v_sub_u32_e32 v22, v21, v15
	v_mov_b32_e32 v23, s59
	v_sub_co_u32_e32 v14, vcc, v20, v14
	v_subb_co_u32_e64 v20, s[0:1], v22, v23, vcc
	v_subrev_co_u32_e64 v22, s[0:1], s58, v14
	v_subbrev_co_u32_e64 v20, s[0:1], 0, v20, s[0:1]
	v_cmp_le_u32_e64 s[0:1], s59, v20
	v_cndmask_b32_e64 v23, 0, -1, s[0:1]
	v_cmp_le_u32_e64 s[0:1], s58, v22
	v_cndmask_b32_e64 v22, 0, -1, s[0:1]
	v_cmp_eq_u32_e64 s[0:1], s59, v20
	v_cndmask_b32_e64 v20, v23, v22, s[0:1]
	v_add_co_u32_e64 v22, s[0:1], 2, v16
	v_subb_co_u32_e32 v15, vcc, v21, v15, vcc
	v_addc_co_u32_e64 v23, s[0:1], 0, v17, s[0:1]
	v_cmp_le_u32_e32 vcc, s59, v15
	v_add_co_u32_e64 v24, s[0:1], 1, v16
	v_cndmask_b32_e64 v21, 0, -1, vcc
	v_cmp_le_u32_e32 vcc, s58, v14
	v_addc_co_u32_e64 v25, s[0:1], 0, v17, s[0:1]
	v_cndmask_b32_e64 v14, 0, -1, vcc
	v_cmp_eq_u32_e32 vcc, s59, v15
	v_cmp_ne_u32_e64 s[0:1], 0, v20
	v_cndmask_b32_e32 v14, v21, v14, vcc
	v_cndmask_b32_e64 v20, v25, v23, s[0:1]
	v_cmp_ne_u32_e32 vcc, 0, v14
	v_cndmask_b32_e64 v15, v24, v22, s[0:1]
	v_cndmask_b32_e32 v14, v17, v20, vcc
	v_cndmask_b32_e32 v15, v16, v15, vcc
	v_xor_b32_e32 v16, v14, v3
	v_xor_b32_e32 v14, v15, v3
	v_sub_co_u32_e32 v14, vcc, v14, v3
	v_subb_co_u32_e32 v15, vcc, v16, v3, vcc
.LBB62_32:                              ;   in Loop: Header=BB62_22 Depth=2
	s_andn2_saveexec_b64 s[0:1], s[54:55]
	s_cbranch_execz .LBB62_34
; %bb.33:                               ;   in Loop: Header=BB62_22 Depth=2
	v_cvt_f32_u32_e32 v3, s50
	s_sub_i32 s54, 0, s50
	v_rcp_iflag_f32_e32 v3, v3
	v_mul_f32_e32 v3, 0x4f7ffffe, v3
	v_cvt_u32_f32_e32 v3, v3
	v_mul_lo_u32 v14, s54, v3
	v_mul_hi_u32 v14, v3, v14
	v_add_u32_e32 v3, v3, v14
	v_mul_hi_u32 v3, v12, v3
	v_mul_lo_u32 v14, v3, s50
	v_add_u32_e32 v15, 1, v3
	v_sub_u32_e32 v14, v12, v14
	v_subrev_u32_e32 v16, s50, v14
	v_cmp_le_u32_e32 vcc, s50, v14
	v_cndmask_b32_e32 v14, v14, v16, vcc
	v_cndmask_b32_e32 v3, v3, v15, vcc
	v_add_u32_e32 v15, 1, v3
	v_cmp_le_u32_e32 vcc, s50, v14
	v_cndmask_b32_e32 v14, v3, v15, vcc
	v_mov_b32_e32 v15, v2
.LBB62_34:                              ;   in Loop: Header=BB62_22 Depth=2
	s_or_b64 exec, exec, s[0:1]
	s_load_dwordx2 s[54:55], s[40:41], 0x0
	s_load_dwordx2 s[56:57], s[38:39], 0x8
                                        ; implicit-def: $vgpr16_vgpr17
	s_waitcnt lgkmcnt(0)
	v_or_b32_e32 v3, s55, v15
	v_cmp_ne_u64_e32 vcc, 0, v[2:3]
	s_and_saveexec_b64 s[0:1], vcc
	s_xor_b64 s[58:59], exec, s[0:1]
	s_cbranch_execz .LBB62_36
; %bb.35:                               ;   in Loop: Header=BB62_22 Depth=2
	s_ashr_i32 s60, s55, 31
	s_add_u32 s0, s54, s60
	s_mov_b32 s61, s60
	s_addc_u32 s1, s55, s60
	s_xor_b64 s[62:63], s[0:1], s[60:61]
	v_cvt_f32_u32_e32 v3, s62
	v_cvt_f32_u32_e32 v16, s63
	s_sub_u32 s61, 0, s62
	s_subb_u32 s68, 0, s63
	v_mac_f32_e32 v3, 0x4f800000, v16
	v_rcp_f32_e32 v3, v3
	v_mul_f32_e32 v3, 0x5f7ffffc, v3
	v_mul_f32_e32 v16, 0x2f800000, v3
	v_trunc_f32_e32 v16, v16
	v_mac_f32_e32 v3, 0xcf800000, v16
	v_cvt_u32_f32_e32 v16, v16
	v_cvt_u32_f32_e32 v3, v3
	v_readfirstlane_b32 s69, v16
	v_readfirstlane_b32 s0, v3
	s_mul_i32 s1, s61, s69
	s_mul_hi_u32 s71, s61, s0
	s_mul_i32 s70, s68, s0
	s_add_i32 s1, s71, s1
	s_add_i32 s1, s1, s70
	s_mul_i32 s72, s61, s0
	s_mul_i32 s71, s0, s1
	s_mul_hi_u32 s73, s0, s72
	s_mul_hi_u32 s70, s0, s1
	s_add_u32 s71, s73, s71
	s_addc_u32 s70, 0, s70
	s_mul_hi_u32 s74, s69, s72
	s_mul_i32 s72, s69, s72
	s_add_u32 s71, s71, s72
	s_mul_hi_u32 s73, s69, s1
	s_addc_u32 s70, s70, s74
	s_addc_u32 s71, s73, 0
	s_mul_i32 s1, s69, s1
	s_add_u32 s1, s70, s1
	s_addc_u32 s70, 0, s71
	s_add_u32 s71, s0, s1
	s_cselect_b64 s[0:1], -1, 0
	s_cmp_lg_u64 s[0:1], 0
	s_addc_u32 s69, s69, s70
	s_mul_i32 s0, s61, s69
	s_mul_hi_u32 s1, s61, s71
	s_add_i32 s0, s1, s0
	s_mul_i32 s68, s68, s71
	s_add_i32 s0, s0, s68
	s_mul_i32 s61, s61, s71
	s_mul_hi_u32 s68, s69, s61
	s_mul_i32 s70, s69, s61
	s_mul_i32 s73, s71, s0
	s_mul_hi_u32 s61, s71, s61
	s_mul_hi_u32 s72, s71, s0
	s_add_u32 s61, s61, s73
	s_addc_u32 s72, 0, s72
	s_add_u32 s61, s61, s70
	s_mul_hi_u32 s1, s69, s0
	s_addc_u32 s61, s72, s68
	s_addc_u32 s1, s1, 0
	s_mul_i32 s0, s69, s0
	s_add_u32 s0, s61, s0
	s_addc_u32 s61, 0, s1
	s_add_u32 s68, s71, s0
	s_cselect_b64 s[0:1], -1, 0
	v_ashrrev_i32_e32 v3, 31, v15
	s_cmp_lg_u64 s[0:1], 0
	v_add_co_u32_e32 v16, vcc, v14, v3
	s_addc_u32 s61, s69, s61
	v_xor_b32_e32 v22, v16, v3
	v_mad_u64_u32 v[16:17], s[0:1], v22, s61, 0
	v_mul_hi_u32 v21, v22, s68
	v_addc_co_u32_e32 v20, vcc, v15, v3, vcc
	v_xor_b32_e32 v23, v20, v3
	v_add_co_u32_e32 v24, vcc, v21, v16
	v_addc_co_u32_e32 v25, vcc, 0, v17, vcc
	v_mad_u64_u32 v[16:17], s[0:1], v23, s68, 0
	v_mad_u64_u32 v[20:21], s[0:1], v23, s61, 0
	v_add_co_u32_e32 v16, vcc, v24, v16
	v_addc_co_u32_e32 v16, vcc, v25, v17, vcc
	v_addc_co_u32_e32 v17, vcc, 0, v21, vcc
	v_add_co_u32_e32 v20, vcc, v16, v20
	v_addc_co_u32_e32 v21, vcc, 0, v17, vcc
	v_mul_lo_u32 v24, s63, v20
	v_mul_lo_u32 v25, s62, v21
	v_mad_u64_u32 v[16:17], s[0:1], s62, v20, 0
	v_xor_b32_e32 v3, s60, v3
	v_add3_u32 v17, v17, v25, v24
	v_sub_u32_e32 v24, v23, v17
	v_mov_b32_e32 v25, s63
	v_sub_co_u32_e32 v16, vcc, v22, v16
	v_subb_co_u32_e64 v22, s[0:1], v24, v25, vcc
	v_subrev_co_u32_e64 v24, s[0:1], s62, v16
	v_subbrev_co_u32_e64 v22, s[0:1], 0, v22, s[0:1]
	v_cmp_le_u32_e64 s[0:1], s63, v22
	v_cndmask_b32_e64 v25, 0, -1, s[0:1]
	v_cmp_le_u32_e64 s[0:1], s62, v24
	v_cndmask_b32_e64 v24, 0, -1, s[0:1]
	v_cmp_eq_u32_e64 s[0:1], s63, v22
	v_cndmask_b32_e64 v22, v25, v24, s[0:1]
	v_add_co_u32_e64 v24, s[0:1], 2, v20
	v_subb_co_u32_e32 v17, vcc, v23, v17, vcc
	v_addc_co_u32_e64 v25, s[0:1], 0, v21, s[0:1]
	v_cmp_le_u32_e32 vcc, s63, v17
	v_add_co_u32_e64 v26, s[0:1], 1, v20
	v_cndmask_b32_e64 v23, 0, -1, vcc
	v_cmp_le_u32_e32 vcc, s62, v16
	v_addc_co_u32_e64 v27, s[0:1], 0, v21, s[0:1]
	v_cndmask_b32_e64 v16, 0, -1, vcc
	v_cmp_eq_u32_e32 vcc, s63, v17
	v_cmp_ne_u32_e64 s[0:1], 0, v22
	v_cndmask_b32_e32 v16, v23, v16, vcc
	v_cndmask_b32_e64 v22, v27, v25, s[0:1]
	v_cmp_ne_u32_e32 vcc, 0, v16
	v_cndmask_b32_e64 v17, v26, v24, s[0:1]
	v_cndmask_b32_e32 v16, v21, v22, vcc
	v_cndmask_b32_e32 v17, v20, v17, vcc
	v_xor_b32_e32 v20, v16, v3
	v_xor_b32_e32 v16, v17, v3
	v_sub_co_u32_e32 v16, vcc, v16, v3
	v_subb_co_u32_e32 v17, vcc, v20, v3, vcc
.LBB62_36:                              ;   in Loop: Header=BB62_22 Depth=2
	s_andn2_saveexec_b64 s[0:1], s[58:59]
	s_cbranch_execz .LBB62_21
; %bb.37:                               ;   in Loop: Header=BB62_22 Depth=2
	v_cvt_f32_u32_e32 v3, s54
	s_sub_i32 s58, 0, s54
	v_rcp_iflag_f32_e32 v3, v3
	v_mul_f32_e32 v3, 0x4f7ffffe, v3
	v_cvt_u32_f32_e32 v3, v3
	v_mul_lo_u32 v16, s58, v3
	v_mul_hi_u32 v16, v3, v16
	v_add_u32_e32 v3, v3, v16
	v_mul_hi_u32 v3, v14, v3
	v_mul_lo_u32 v16, v3, s54
	v_add_u32_e32 v17, 1, v3
	v_sub_u32_e32 v16, v14, v16
	v_subrev_u32_e32 v20, s54, v16
	v_cmp_le_u32_e32 vcc, s54, v16
	v_cndmask_b32_e32 v16, v16, v20, vcc
	v_cndmask_b32_e32 v3, v3, v17, vcc
	v_add_u32_e32 v17, 1, v3
	v_cmp_le_u32_e32 vcc, s54, v16
	v_cndmask_b32_e32 v16, v3, v17, vcc
	v_mov_b32_e32 v17, v2
	s_branch .LBB62_21
.LBB62_38:                              ;   in Loop: Header=BB62_3 Depth=1
	s_load_dwordx2 s[0:1], s[22:23], 0x0
	s_waitcnt lgkmcnt(0)
	v_cmp_gt_i64_e32 vcc, s[0:1], v[4:5]
	s_and_b64 exec, exec, vcc
	s_cbranch_execz .LBB62_2
; %bb.39:                               ;   in Loop: Header=BB62_3 Depth=1
	v_lshlrev_b64 v[6:7], 2, v[6:7]
	v_mov_b32_e32 v3, s13
	v_add_co_u32_e32 v6, vcc, s12, v6
	v_addc_co_u32_e32 v7, vcc, v3, v7, vcc
	v_add_co_u32_e32 v3, vcc, 1, v4
	v_addc_co_u32_e32 v4, vcc, 0, v5, vcc
	v_cmp_gt_i64_e32 vcc, s[0:1], v[3:4]
	v_sub_co_u32_e64 v3, s[0:1], v3, v18
	v_subb_co_u32_e64 v4, s[0:1], v4, v19, s[0:1]
	v_cmp_gt_i64_e64 s[0:1], s[8:9], v[3:4]
	global_store_dword v[6:7], v2, off
	s_and_b64 s[0:1], vcc, s[0:1]
	s_and_b64 exec, exec, s[0:1]
	s_cbranch_execz .LBB62_2
; %bb.40:                               ;   in Loop: Header=BB62_3 Depth=1
	s_lshl_b64 s[0:1], s[2:3], 2
	v_mov_b32_e32 v4, s1
	v_add_co_u32_e32 v3, vcc, s0, v6
	v_addc_co_u32_e32 v4, vcc, v7, v4, vcc
	global_store_dword v[3:4], v2, off
	s_branch .LBB62_2
.LBB62_41:
	s_endpgm
	.section	.rodata,"a",@progbits
	.p2align	6, 0x0
	.amdhsa_kernel _ZN2at6native16triu_tril_kernelIilLb1ELi2ELb1EEEvNS_4cuda6detail10TensorInfoIT_T0_EENS4_IKS5_S6_EEllS6_
		.amdhsa_group_segment_fixed_size 0
		.amdhsa_private_segment_fixed_size 0
		.amdhsa_kernarg_size 1112
		.amdhsa_user_sgpr_count 6
		.amdhsa_user_sgpr_private_segment_buffer 1
		.amdhsa_user_sgpr_dispatch_ptr 0
		.amdhsa_user_sgpr_queue_ptr 0
		.amdhsa_user_sgpr_kernarg_segment_ptr 1
		.amdhsa_user_sgpr_dispatch_id 0
		.amdhsa_user_sgpr_flat_scratch_init 0
		.amdhsa_user_sgpr_private_segment_size 0
		.amdhsa_uses_dynamic_stack 0
		.amdhsa_system_sgpr_private_segment_wavefront_offset 0
		.amdhsa_system_sgpr_workgroup_id_x 1
		.amdhsa_system_sgpr_workgroup_id_y 0
		.amdhsa_system_sgpr_workgroup_id_z 0
		.amdhsa_system_sgpr_workgroup_info 0
		.amdhsa_system_vgpr_workitem_id 0
		.amdhsa_next_free_vgpr 28
		.amdhsa_next_free_sgpr 75
		.amdhsa_reserve_vcc 1
		.amdhsa_reserve_flat_scratch 0
		.amdhsa_float_round_mode_32 0
		.amdhsa_float_round_mode_16_64 0
		.amdhsa_float_denorm_mode_32 3
		.amdhsa_float_denorm_mode_16_64 3
		.amdhsa_dx10_clamp 1
		.amdhsa_ieee_mode 1
		.amdhsa_fp16_overflow 0
		.amdhsa_exception_fp_ieee_invalid_op 0
		.amdhsa_exception_fp_denorm_src 0
		.amdhsa_exception_fp_ieee_div_zero 0
		.amdhsa_exception_fp_ieee_overflow 0
		.amdhsa_exception_fp_ieee_underflow 0
		.amdhsa_exception_fp_ieee_inexact 0
		.amdhsa_exception_int_div_zero 0
	.end_amdhsa_kernel
	.section	.text._ZN2at6native16triu_tril_kernelIilLb1ELi2ELb1EEEvNS_4cuda6detail10TensorInfoIT_T0_EENS4_IKS5_S6_EEllS6_,"axG",@progbits,_ZN2at6native16triu_tril_kernelIilLb1ELi2ELb1EEEvNS_4cuda6detail10TensorInfoIT_T0_EENS4_IKS5_S6_EEllS6_,comdat
.Lfunc_end62:
	.size	_ZN2at6native16triu_tril_kernelIilLb1ELi2ELb1EEEvNS_4cuda6detail10TensorInfoIT_T0_EENS4_IKS5_S6_EEllS6_, .Lfunc_end62-_ZN2at6native16triu_tril_kernelIilLb1ELi2ELb1EEEvNS_4cuda6detail10TensorInfoIT_T0_EENS4_IKS5_S6_EEllS6_
                                        ; -- End function
	.set _ZN2at6native16triu_tril_kernelIilLb1ELi2ELb1EEEvNS_4cuda6detail10TensorInfoIT_T0_EENS4_IKS5_S6_EEllS6_.num_vgpr, 28
	.set _ZN2at6native16triu_tril_kernelIilLb1ELi2ELb1EEEvNS_4cuda6detail10TensorInfoIT_T0_EENS4_IKS5_S6_EEllS6_.num_agpr, 0
	.set _ZN2at6native16triu_tril_kernelIilLb1ELi2ELb1EEEvNS_4cuda6detail10TensorInfoIT_T0_EENS4_IKS5_S6_EEllS6_.numbered_sgpr, 75
	.set _ZN2at6native16triu_tril_kernelIilLb1ELi2ELb1EEEvNS_4cuda6detail10TensorInfoIT_T0_EENS4_IKS5_S6_EEllS6_.num_named_barrier, 0
	.set _ZN2at6native16triu_tril_kernelIilLb1ELi2ELb1EEEvNS_4cuda6detail10TensorInfoIT_T0_EENS4_IKS5_S6_EEllS6_.private_seg_size, 0
	.set _ZN2at6native16triu_tril_kernelIilLb1ELi2ELb1EEEvNS_4cuda6detail10TensorInfoIT_T0_EENS4_IKS5_S6_EEllS6_.uses_vcc, 1
	.set _ZN2at6native16triu_tril_kernelIilLb1ELi2ELb1EEEvNS_4cuda6detail10TensorInfoIT_T0_EENS4_IKS5_S6_EEllS6_.uses_flat_scratch, 0
	.set _ZN2at6native16triu_tril_kernelIilLb1ELi2ELb1EEEvNS_4cuda6detail10TensorInfoIT_T0_EENS4_IKS5_S6_EEllS6_.has_dyn_sized_stack, 0
	.set _ZN2at6native16triu_tril_kernelIilLb1ELi2ELb1EEEvNS_4cuda6detail10TensorInfoIT_T0_EENS4_IKS5_S6_EEllS6_.has_recursion, 0
	.set _ZN2at6native16triu_tril_kernelIilLb1ELi2ELb1EEEvNS_4cuda6detail10TensorInfoIT_T0_EENS4_IKS5_S6_EEllS6_.has_indirect_call, 0
	.section	.AMDGPU.csdata,"",@progbits
; Kernel info:
; codeLenInByte = 6440
; TotalNumSgprs: 79
; NumVgprs: 28
; ScratchSize: 0
; MemoryBound: 0
; FloatMode: 240
; IeeeMode: 1
; LDSByteSize: 0 bytes/workgroup (compile time only)
; SGPRBlocks: 9
; VGPRBlocks: 6
; NumSGPRsForWavesPerEU: 79
; NumVGPRsForWavesPerEU: 28
; Occupancy: 9
; WaveLimiterHint : 0
; COMPUTE_PGM_RSRC2:SCRATCH_EN: 0
; COMPUTE_PGM_RSRC2:USER_SGPR: 6
; COMPUTE_PGM_RSRC2:TRAP_HANDLER: 0
; COMPUTE_PGM_RSRC2:TGID_X_EN: 1
; COMPUTE_PGM_RSRC2:TGID_Y_EN: 0
; COMPUTE_PGM_RSRC2:TGID_Z_EN: 0
; COMPUTE_PGM_RSRC2:TIDIG_COMP_CNT: 0
	.section	.text._ZN2at6native16triu_tril_kernelIilLb1ELi2ELb0EEEvNS_4cuda6detail10TensorInfoIT_T0_EENS4_IKS5_S6_EEllS6_,"axG",@progbits,_ZN2at6native16triu_tril_kernelIilLb1ELi2ELb0EEEvNS_4cuda6detail10TensorInfoIT_T0_EENS4_IKS5_S6_EEllS6_,comdat
	.protected	_ZN2at6native16triu_tril_kernelIilLb1ELi2ELb0EEEvNS_4cuda6detail10TensorInfoIT_T0_EENS4_IKS5_S6_EEllS6_ ; -- Begin function _ZN2at6native16triu_tril_kernelIilLb1ELi2ELb0EEEvNS_4cuda6detail10TensorInfoIT_T0_EENS4_IKS5_S6_EEllS6_
	.globl	_ZN2at6native16triu_tril_kernelIilLb1ELi2ELb0EEEvNS_4cuda6detail10TensorInfoIT_T0_EENS4_IKS5_S6_EEllS6_
	.p2align	8
	.type	_ZN2at6native16triu_tril_kernelIilLb1ELi2ELb0EEEvNS_4cuda6detail10TensorInfoIT_T0_EENS4_IKS5_S6_EEllS6_,@function
_ZN2at6native16triu_tril_kernelIilLb1ELi2ELb0EEEvNS_4cuda6detail10TensorInfoIT_T0_EENS4_IKS5_S6_EEllS6_: ; @_ZN2at6native16triu_tril_kernelIilLb1ELi2ELb0EEEvNS_4cuda6detail10TensorInfoIT_T0_EENS4_IKS5_S6_EEllS6_
; %bb.0:
	s_load_dword s2, s[4:5], 0x364
	s_load_dwordx4 s[8:11], s[4:5], 0x340
	s_add_u32 s0, s4, 0x358
	v_mov_b32_e32 v2, 0
	s_addc_u32 s1, s5, 0
	s_waitcnt lgkmcnt(0)
	s_and_b32 s7, s2, 0xffff
	v_mov_b32_e32 v1, v2
	v_mov_b32_e32 v3, s6
	v_mad_u64_u32 v[0:1], s[2:3], s7, v3, v[0:1]
	v_lshlrev_b64 v[0:1], 1, v[0:1]
	v_cmp_gt_i64_e32 vcc, s[10:11], v[0:1]
	s_and_saveexec_b64 s[2:3], vcc
	s_cbranch_execz .LBB63_38
; %bb.1:
	s_load_dword s6, s[0:1], 0x0
	s_load_dword s24, s[4:5], 0x338
	s_add_u32 s33, s4, 0x1a0
	s_addc_u32 s62, s5, 0
	s_load_dwordx2 s[2:3], s[4:5], 0x1a0
	s_waitcnt lgkmcnt(0)
	s_mul_i32 s30, s6, s7
	s_ashr_i32 s25, s24, 31
	s_lshl_b64 s[0:1], s[24:25], 3
	s_add_u32 s20, s33, s0
	s_addc_u32 s21, s62, s1
	s_add_u32 s22, s20, -8
	s_addc_u32 s23, s21, -1
	s_add_u32 s0, s4, s0
	v_cmp_gt_i64_e64 s[6:7], s[24:25], 2
	s_addc_u32 s1, s5, s1
	s_add_i32 s24, s24, -3
	s_ashr_i32 s25, s24, 31
	s_lshl_b32 s63, s30, 1
	s_bitcmp0_b32 s24, 0
	s_load_dwordx4 s[12:15], s[22:23], 0x0
	s_load_dwordx4 s[16:19], s[20:21], 0xc0
	s_cselect_b64 s[30:31], -1, 0
	s_load_dwordx4 s[20:23], s[0:1], 0xc0
	s_lshl_b64 s[0:1], s[24:25], 3
	s_add_u32 s34, s33, s0
	s_addc_u32 s35, s62, s1
	s_add_u32 s36, s4, s0
	s_addc_u32 s37, s5, s1
	s_load_dwordx2 s[26:27], s[4:5], 0x350
	s_load_dwordx2 s[28:29], s[4:5], 0x0
	s_add_u32 s38, s24, -1
	s_addc_u32 s39, s25, -1
	s_cmp_lg_u32 s24, 0
	s_cselect_b64 s[40:41], -1, 0
	s_add_u32 s64, s4, 0xc8
	s_addc_u32 s65, s5, 0
	s_mov_b64 s[4:5], 0
	s_branch .LBB63_3
.LBB63_2:                               ;   in Loop: Header=BB63_3 Depth=1
	s_or_b64 exec, exec, s[0:1]
	v_add_co_u32_e32 v0, vcc, s63, v0
	v_addc_co_u32_e32 v1, vcc, 0, v1, vcc
	v_cmp_le_i64_e32 vcc, s[10:11], v[0:1]
	s_or_b64 s[4:5], vcc, s[4:5]
	s_andn2_b64 exec, exec, s[4:5]
	s_cbranch_execz .LBB63_38
.LBB63_3:                               ; =>This Loop Header: Depth=1
                                        ;     Child Loop BB63_21 Depth 2
	s_waitcnt lgkmcnt(0)
	v_or_b32_e32 v3, s27, v1
	v_cmp_ne_u64_e32 vcc, 0, v[2:3]
                                        ; implicit-def: $vgpr6_vgpr7
	s_and_saveexec_b64 s[0:1], vcc
	s_xor_b64 s[42:43], exec, s[0:1]
	s_cbranch_execz .LBB63_5
; %bb.4:                                ;   in Loop: Header=BB63_3 Depth=1
	s_ashr_i32 s44, s27, 31
	s_add_u32 s0, s26, s44
	s_mov_b32 s45, s44
	s_addc_u32 s1, s27, s44
	s_xor_b64 s[46:47], s[0:1], s[44:45]
	v_cvt_f32_u32_e32 v3, s46
	v_cvt_f32_u32_e32 v4, s47
	s_sub_u32 s45, 0, s46
	s_subb_u32 s48, 0, s47
	v_ashrrev_i32_e32 v7, 31, v1
	v_mac_f32_e32 v3, 0x4f800000, v4
	v_rcp_f32_e32 v3, v3
	v_mul_f32_e32 v3, 0x5f7ffffc, v3
	v_mul_f32_e32 v4, 0x2f800000, v3
	v_trunc_f32_e32 v4, v4
	v_mac_f32_e32 v3, 0xcf800000, v4
	v_cvt_u32_f32_e32 v4, v4
	v_cvt_u32_f32_e32 v3, v3
	v_readfirstlane_b32 s49, v4
	v_readfirstlane_b32 s0, v3
	s_mul_i32 s1, s45, s49
	s_mul_hi_u32 s51, s45, s0
	s_mul_i32 s50, s48, s0
	s_add_i32 s1, s51, s1
	s_add_i32 s1, s1, s50
	s_mul_i32 s52, s45, s0
	s_mul_i32 s51, s0, s1
	s_mul_hi_u32 s53, s0, s52
	s_mul_hi_u32 s50, s0, s1
	s_add_u32 s51, s53, s51
	s_addc_u32 s50, 0, s50
	s_mul_hi_u32 s54, s49, s52
	s_mul_i32 s52, s49, s52
	s_add_u32 s51, s51, s52
	s_mul_hi_u32 s53, s49, s1
	s_addc_u32 s50, s50, s54
	s_addc_u32 s51, s53, 0
	s_mul_i32 s1, s49, s1
	s_add_u32 s1, s50, s1
	s_addc_u32 s50, 0, s51
	s_add_u32 s51, s0, s1
	s_cselect_b64 s[0:1], -1, 0
	s_cmp_lg_u64 s[0:1], 0
	s_addc_u32 s49, s49, s50
	s_mul_i32 s0, s45, s49
	s_mul_hi_u32 s1, s45, s51
	s_add_i32 s0, s1, s0
	s_mul_i32 s48, s48, s51
	s_add_i32 s0, s0, s48
	s_mul_i32 s45, s45, s51
	s_mul_hi_u32 s48, s49, s45
	s_mul_i32 s50, s49, s45
	s_mul_i32 s53, s51, s0
	s_mul_hi_u32 s45, s51, s45
	s_mul_hi_u32 s52, s51, s0
	s_add_u32 s45, s45, s53
	s_addc_u32 s52, 0, s52
	s_add_u32 s45, s45, s50
	s_mul_hi_u32 s1, s49, s0
	s_addc_u32 s45, s52, s48
	s_addc_u32 s1, s1, 0
	s_mul_i32 s0, s49, s0
	s_add_u32 s0, s45, s0
	s_addc_u32 s45, 0, s1
	s_add_u32 s48, s51, s0
	s_cselect_b64 s[0:1], -1, 0
	s_cmp_lg_u64 s[0:1], 0
	v_add_co_u32_e32 v3, vcc, v0, v7
	s_addc_u32 s45, s49, s45
	v_xor_b32_e32 v8, v3, v7
	v_mad_u64_u32 v[3:4], s[0:1], v8, s45, 0
	v_mul_hi_u32 v6, v8, s48
	v_addc_co_u32_e32 v5, vcc, v1, v7, vcc
	v_xor_b32_e32 v9, v5, v7
	v_add_co_u32_e32 v10, vcc, v6, v3
	v_addc_co_u32_e32 v11, vcc, 0, v4, vcc
	v_mad_u64_u32 v[3:4], s[0:1], v9, s48, 0
	v_mad_u64_u32 v[5:6], s[0:1], v9, s45, 0
	v_add_co_u32_e32 v3, vcc, v10, v3
	v_addc_co_u32_e32 v3, vcc, v11, v4, vcc
	v_addc_co_u32_e32 v4, vcc, 0, v6, vcc
	v_add_co_u32_e32 v5, vcc, v3, v5
	v_addc_co_u32_e32 v6, vcc, 0, v4, vcc
	v_mul_lo_u32 v10, s47, v5
	v_mul_lo_u32 v11, s46, v6
	v_mad_u64_u32 v[3:4], s[0:1], s46, v5, 0
	v_add3_u32 v4, v4, v11, v10
	v_sub_u32_e32 v10, v9, v4
	v_mov_b32_e32 v11, s47
	v_sub_co_u32_e32 v3, vcc, v8, v3
	v_subb_co_u32_e64 v8, s[0:1], v10, v11, vcc
	v_subrev_co_u32_e64 v10, s[0:1], s46, v3
	v_subbrev_co_u32_e64 v8, s[0:1], 0, v8, s[0:1]
	v_cmp_le_u32_e64 s[0:1], s47, v8
	v_cndmask_b32_e64 v11, 0, -1, s[0:1]
	v_cmp_le_u32_e64 s[0:1], s46, v10
	v_cndmask_b32_e64 v10, 0, -1, s[0:1]
	v_cmp_eq_u32_e64 s[0:1], s47, v8
	v_cndmask_b32_e64 v8, v11, v10, s[0:1]
	v_add_co_u32_e64 v10, s[0:1], 2, v5
	v_subb_co_u32_e32 v4, vcc, v9, v4, vcc
	v_addc_co_u32_e64 v11, s[0:1], 0, v6, s[0:1]
	v_cmp_le_u32_e32 vcc, s47, v4
	v_add_co_u32_e64 v12, s[0:1], 1, v5
	v_cndmask_b32_e64 v9, 0, -1, vcc
	v_cmp_le_u32_e32 vcc, s46, v3
	v_addc_co_u32_e64 v13, s[0:1], 0, v6, s[0:1]
	v_cndmask_b32_e64 v3, 0, -1, vcc
	v_cmp_eq_u32_e32 vcc, s47, v4
	v_cmp_ne_u32_e64 s[0:1], 0, v8
	v_cndmask_b32_e32 v3, v9, v3, vcc
	v_cmp_ne_u32_e32 vcc, 0, v3
	v_cndmask_b32_e64 v4, v12, v10, s[0:1]
	v_cndmask_b32_e64 v8, v13, v11, s[0:1]
	v_cndmask_b32_e32 v4, v5, v4, vcc
	v_xor_b32_e32 v5, s44, v7
	v_cndmask_b32_e32 v3, v6, v8, vcc
	v_xor_b32_e32 v4, v4, v5
	v_xor_b32_e32 v3, v3, v5
	v_sub_co_u32_e32 v6, vcc, v4, v5
	v_subb_co_u32_e32 v7, vcc, v3, v5, vcc
.LBB63_5:                               ;   in Loop: Header=BB63_3 Depth=1
	s_andn2_saveexec_b64 s[0:1], s[42:43]
	s_cbranch_execz .LBB63_7
; %bb.6:                                ;   in Loop: Header=BB63_3 Depth=1
	v_cvt_f32_u32_e32 v3, s26
	s_sub_i32 s42, 0, s26
	v_mov_b32_e32 v7, v2
	v_rcp_iflag_f32_e32 v3, v3
	v_mul_f32_e32 v3, 0x4f7ffffe, v3
	v_cvt_u32_f32_e32 v3, v3
	v_mul_lo_u32 v4, s42, v3
	v_mul_hi_u32 v4, v3, v4
	v_add_u32_e32 v3, v3, v4
	v_mul_hi_u32 v3, v0, v3
	v_mul_lo_u32 v4, v3, s26
	v_add_u32_e32 v5, 1, v3
	v_sub_u32_e32 v4, v0, v4
	v_subrev_u32_e32 v6, s26, v4
	v_cmp_le_u32_e32 vcc, s26, v4
	v_cndmask_b32_e32 v4, v4, v6, vcc
	v_cndmask_b32_e32 v3, v3, v5, vcc
	v_add_u32_e32 v5, 1, v3
	v_cmp_le_u32_e32 vcc, s26, v4
	v_cndmask_b32_e32 v6, v3, v5, vcc
.LBB63_7:                               ;   in Loop: Header=BB63_3 Depth=1
	s_or_b64 exec, exec, s[0:1]
	v_or_b32_e32 v3, s13, v7
	v_cmp_ne_u64_e32 vcc, 0, v[2:3]
                                        ; implicit-def: $vgpr10_vgpr11
	s_and_saveexec_b64 s[0:1], vcc
	s_xor_b64 s[42:43], exec, s[0:1]
	s_cbranch_execz .LBB63_9
; %bb.8:                                ;   in Loop: Header=BB63_3 Depth=1
	s_ashr_i32 s44, s13, 31
	s_add_u32 s0, s12, s44
	s_mov_b32 s45, s44
	s_addc_u32 s1, s13, s44
	s_xor_b64 s[46:47], s[0:1], s[44:45]
	v_cvt_f32_u32_e32 v3, s46
	v_cvt_f32_u32_e32 v4, s47
	s_sub_u32 s45, 0, s46
	s_subb_u32 s48, 0, s47
	v_ashrrev_i32_e32 v5, 31, v7
	v_mac_f32_e32 v3, 0x4f800000, v4
	v_rcp_f32_e32 v3, v3
	v_mul_f32_e32 v3, 0x5f7ffffc, v3
	v_mul_f32_e32 v4, 0x2f800000, v3
	v_trunc_f32_e32 v4, v4
	v_mac_f32_e32 v3, 0xcf800000, v4
	v_cvt_u32_f32_e32 v4, v4
	v_cvt_u32_f32_e32 v3, v3
	v_readfirstlane_b32 s49, v4
	v_readfirstlane_b32 s0, v3
	s_mul_i32 s1, s45, s49
	s_mul_hi_u32 s51, s45, s0
	s_mul_i32 s50, s48, s0
	s_add_i32 s1, s51, s1
	s_add_i32 s1, s1, s50
	s_mul_i32 s52, s45, s0
	s_mul_i32 s51, s0, s1
	s_mul_hi_u32 s53, s0, s52
	s_mul_hi_u32 s50, s0, s1
	s_add_u32 s51, s53, s51
	s_addc_u32 s50, 0, s50
	s_mul_hi_u32 s54, s49, s52
	s_mul_i32 s52, s49, s52
	s_add_u32 s51, s51, s52
	s_mul_hi_u32 s53, s49, s1
	s_addc_u32 s50, s50, s54
	s_addc_u32 s51, s53, 0
	s_mul_i32 s1, s49, s1
	s_add_u32 s1, s50, s1
	s_addc_u32 s50, 0, s51
	s_add_u32 s51, s0, s1
	s_cselect_b64 s[0:1], -1, 0
	s_cmp_lg_u64 s[0:1], 0
	s_addc_u32 s49, s49, s50
	s_mul_i32 s0, s45, s49
	s_mul_hi_u32 s1, s45, s51
	s_add_i32 s0, s1, s0
	s_mul_i32 s48, s48, s51
	s_add_i32 s0, s0, s48
	s_mul_i32 s45, s45, s51
	s_mul_hi_u32 s48, s49, s45
	s_mul_i32 s50, s49, s45
	s_mul_i32 s53, s51, s0
	s_mul_hi_u32 s45, s51, s45
	s_mul_hi_u32 s52, s51, s0
	s_add_u32 s45, s45, s53
	s_addc_u32 s52, 0, s52
	s_add_u32 s45, s45, s50
	s_mul_hi_u32 s1, s49, s0
	s_addc_u32 s45, s52, s48
	s_addc_u32 s1, s1, 0
	s_mul_i32 s0, s49, s0
	s_add_u32 s0, s45, s0
	s_addc_u32 s45, 0, s1
	s_add_u32 s48, s51, s0
	s_cselect_b64 s[0:1], -1, 0
	s_cmp_lg_u64 s[0:1], 0
	v_add_co_u32_e32 v3, vcc, v6, v5
	s_addc_u32 s45, s49, s45
	v_xor_b32_e32 v10, v3, v5
	v_mad_u64_u32 v[3:4], s[0:1], v10, s45, 0
	v_mul_hi_u32 v9, v10, s48
	v_addc_co_u32_e32 v8, vcc, v7, v5, vcc
	v_xor_b32_e32 v11, v8, v5
	v_add_co_u32_e32 v12, vcc, v9, v3
	v_addc_co_u32_e32 v13, vcc, 0, v4, vcc
	v_mad_u64_u32 v[3:4], s[0:1], v11, s48, 0
	v_mad_u64_u32 v[8:9], s[0:1], v11, s45, 0
	v_add_co_u32_e32 v3, vcc, v12, v3
	v_addc_co_u32_e32 v3, vcc, v13, v4, vcc
	v_addc_co_u32_e32 v4, vcc, 0, v9, vcc
	v_add_co_u32_e32 v8, vcc, v3, v8
	v_addc_co_u32_e32 v9, vcc, 0, v4, vcc
	v_mul_lo_u32 v12, s47, v8
	v_mul_lo_u32 v13, s46, v9
	v_mad_u64_u32 v[3:4], s[0:1], s46, v8, 0
	v_xor_b32_e32 v5, s44, v5
	v_add3_u32 v4, v4, v13, v12
	v_sub_u32_e32 v12, v11, v4
	v_mov_b32_e32 v13, s47
	v_sub_co_u32_e32 v3, vcc, v10, v3
	v_subb_co_u32_e64 v10, s[0:1], v12, v13, vcc
	v_subrev_co_u32_e64 v12, s[0:1], s46, v3
	v_subbrev_co_u32_e64 v10, s[0:1], 0, v10, s[0:1]
	v_cmp_le_u32_e64 s[0:1], s47, v10
	v_cndmask_b32_e64 v13, 0, -1, s[0:1]
	v_cmp_le_u32_e64 s[0:1], s46, v12
	v_cndmask_b32_e64 v12, 0, -1, s[0:1]
	v_cmp_eq_u32_e64 s[0:1], s47, v10
	v_cndmask_b32_e64 v10, v13, v12, s[0:1]
	v_add_co_u32_e64 v12, s[0:1], 2, v8
	v_subb_co_u32_e32 v4, vcc, v11, v4, vcc
	v_addc_co_u32_e64 v13, s[0:1], 0, v9, s[0:1]
	v_cmp_le_u32_e32 vcc, s47, v4
	v_add_co_u32_e64 v14, s[0:1], 1, v8
	v_cndmask_b32_e64 v11, 0, -1, vcc
	v_cmp_le_u32_e32 vcc, s46, v3
	v_addc_co_u32_e64 v15, s[0:1], 0, v9, s[0:1]
	v_cndmask_b32_e64 v3, 0, -1, vcc
	v_cmp_eq_u32_e32 vcc, s47, v4
	v_cmp_ne_u32_e64 s[0:1], 0, v10
	v_cndmask_b32_e32 v3, v11, v3, vcc
	v_cmp_ne_u32_e32 vcc, 0, v3
	v_cndmask_b32_e64 v4, v14, v12, s[0:1]
	v_cndmask_b32_e64 v10, v15, v13, s[0:1]
	v_cndmask_b32_e32 v4, v8, v4, vcc
	v_cndmask_b32_e32 v3, v9, v10, vcc
	v_xor_b32_e32 v4, v4, v5
	v_xor_b32_e32 v3, v3, v5
	v_sub_co_u32_e32 v10, vcc, v4, v5
	v_subb_co_u32_e32 v11, vcc, v3, v5, vcc
.LBB63_9:                               ;   in Loop: Header=BB63_3 Depth=1
	s_andn2_saveexec_b64 s[0:1], s[42:43]
	s_cbranch_execz .LBB63_11
; %bb.10:                               ;   in Loop: Header=BB63_3 Depth=1
	v_cvt_f32_u32_e32 v3, s12
	s_sub_i32 s42, 0, s12
	v_mov_b32_e32 v11, v2
	v_rcp_iflag_f32_e32 v3, v3
	v_mul_f32_e32 v3, 0x4f7ffffe, v3
	v_cvt_u32_f32_e32 v3, v3
	v_mul_lo_u32 v4, s42, v3
	v_mul_hi_u32 v4, v3, v4
	v_add_u32_e32 v3, v3, v4
	v_mul_hi_u32 v3, v6, v3
	v_mul_lo_u32 v4, v3, s12
	v_add_u32_e32 v5, 1, v3
	v_sub_u32_e32 v4, v6, v4
	v_subrev_u32_e32 v8, s12, v4
	v_cmp_le_u32_e32 vcc, s12, v4
	v_cndmask_b32_e32 v4, v4, v8, vcc
	v_cndmask_b32_e32 v3, v3, v5, vcc
	v_add_u32_e32 v5, 1, v3
	v_cmp_le_u32_e32 vcc, s12, v4
	v_cndmask_b32_e32 v10, v3, v5, vcc
.LBB63_11:                              ;   in Loop: Header=BB63_3 Depth=1
	s_or_b64 exec, exec, s[0:1]
	v_mul_lo_u32 v5, v7, s26
	v_mul_lo_u32 v8, v6, s27
	v_mad_u64_u32 v[3:4], s[0:1], v6, s26, 0
	v_mul_lo_u32 v12, v11, s12
	v_mul_lo_u32 v13, v10, s13
	v_add3_u32 v5, v4, v8, v5
	v_mad_u64_u32 v[8:9], s[0:1], v10, s12, 0
	v_sub_co_u32_e32 v4, vcc, v0, v3
	v_subb_co_u32_e32 v5, vcc, v1, v5, vcc
	v_add3_u32 v3, v9, v13, v12
	v_mul_lo_u32 v9, s19, v4
	v_mul_lo_u32 v14, s18, v5
	v_mad_u64_u32 v[12:13], s[0:1], s18, v4, 0
	v_sub_co_u32_e32 v16, vcc, v6, v8
	v_subb_co_u32_e32 v17, vcc, v7, v3, vcc
	v_add3_u32 v13, v13, v14, v9
	v_mul_lo_u32 v3, s23, v4
	v_mul_lo_u32 v14, s22, v5
	v_mad_u64_u32 v[6:7], s[0:1], s22, v4, 0
	v_mad_u64_u32 v[8:9], s[0:1], s16, v16, v[12:13]
	v_mul_lo_u32 v12, s16, v17
	v_mul_lo_u32 v13, s17, v16
	v_add3_u32 v7, v7, v14, v3
	v_mad_u64_u32 v[6:7], s[0:1], s20, v16, v[6:7]
	v_add3_u32 v9, v13, v9, v12
	v_mul_lo_u32 v3, s20, v17
	v_mul_lo_u32 v12, s21, v16
	s_andn2_b64 vcc, exec, s[6:7]
	v_add3_u32 v7, v12, v7, v3
	s_cbranch_vccnz .LBB63_29
; %bb.12:                               ;   in Loop: Header=BB63_3 Depth=1
	s_andn2_b64 vcc, exec, s[30:31]
	s_cbranch_vccnz .LBB63_18
; %bb.13:                               ;   in Loop: Header=BB63_3 Depth=1
	s_load_dwordx2 s[42:43], s[34:35], 0x8
                                        ; implicit-def: $vgpr12_vgpr13
	s_waitcnt lgkmcnt(0)
	v_or_b32_e32 v3, s43, v11
	v_cmp_ne_u64_e32 vcc, 0, v[2:3]
	s_and_saveexec_b64 s[0:1], vcc
	s_xor_b64 s[44:45], exec, s[0:1]
	s_cbranch_execz .LBB63_15
; %bb.14:                               ;   in Loop: Header=BB63_3 Depth=1
	s_ashr_i32 s46, s43, 31
	s_add_u32 s0, s42, s46
	s_mov_b32 s47, s46
	s_addc_u32 s1, s43, s46
	s_xor_b64 s[48:49], s[0:1], s[46:47]
	v_cvt_f32_u32_e32 v3, s48
	v_cvt_f32_u32_e32 v12, s49
	s_sub_u32 s47, 0, s48
	s_subb_u32 s50, 0, s49
	v_mac_f32_e32 v3, 0x4f800000, v12
	v_rcp_f32_e32 v3, v3
	v_mul_f32_e32 v3, 0x5f7ffffc, v3
	v_mul_f32_e32 v12, 0x2f800000, v3
	v_trunc_f32_e32 v12, v12
	v_mac_f32_e32 v3, 0xcf800000, v12
	v_cvt_u32_f32_e32 v12, v12
	v_cvt_u32_f32_e32 v3, v3
	v_readfirstlane_b32 s51, v12
	v_readfirstlane_b32 s0, v3
	s_mul_i32 s1, s47, s51
	s_mul_hi_u32 s53, s47, s0
	s_mul_i32 s52, s50, s0
	s_add_i32 s1, s53, s1
	s_add_i32 s1, s1, s52
	s_mul_i32 s54, s47, s0
	s_mul_i32 s53, s0, s1
	s_mul_hi_u32 s55, s0, s54
	s_mul_hi_u32 s52, s0, s1
	s_add_u32 s53, s55, s53
	s_addc_u32 s52, 0, s52
	s_mul_hi_u32 s56, s51, s54
	s_mul_i32 s54, s51, s54
	s_add_u32 s53, s53, s54
	s_mul_hi_u32 s55, s51, s1
	s_addc_u32 s52, s52, s56
	s_addc_u32 s53, s55, 0
	s_mul_i32 s1, s51, s1
	s_add_u32 s1, s52, s1
	s_addc_u32 s52, 0, s53
	s_add_u32 s53, s0, s1
	s_cselect_b64 s[0:1], -1, 0
	s_cmp_lg_u64 s[0:1], 0
	s_addc_u32 s51, s51, s52
	s_mul_i32 s0, s47, s51
	s_mul_hi_u32 s1, s47, s53
	s_add_i32 s0, s1, s0
	s_mul_i32 s50, s50, s53
	s_add_i32 s0, s0, s50
	s_mul_i32 s47, s47, s53
	s_mul_hi_u32 s50, s51, s47
	s_mul_i32 s52, s51, s47
	s_mul_i32 s55, s53, s0
	s_mul_hi_u32 s47, s53, s47
	s_mul_hi_u32 s54, s53, s0
	s_add_u32 s47, s47, s55
	s_addc_u32 s54, 0, s54
	s_add_u32 s47, s47, s52
	s_mul_hi_u32 s1, s51, s0
	s_addc_u32 s47, s54, s50
	s_addc_u32 s1, s1, 0
	s_mul_i32 s0, s51, s0
	s_add_u32 s0, s47, s0
	s_addc_u32 s47, 0, s1
	s_add_u32 s50, s53, s0
	s_cselect_b64 s[0:1], -1, 0
	v_ashrrev_i32_e32 v3, 31, v11
	s_cmp_lg_u64 s[0:1], 0
	v_add_co_u32_e32 v12, vcc, v10, v3
	s_addc_u32 s47, s51, s47
	v_xor_b32_e32 v18, v12, v3
	v_mad_u64_u32 v[12:13], s[0:1], v18, s47, 0
	v_mul_hi_u32 v15, v18, s50
	v_addc_co_u32_e32 v14, vcc, v11, v3, vcc
	v_xor_b32_e32 v19, v14, v3
	v_add_co_u32_e32 v20, vcc, v15, v12
	v_addc_co_u32_e32 v21, vcc, 0, v13, vcc
	v_mad_u64_u32 v[12:13], s[0:1], v19, s50, 0
	v_mad_u64_u32 v[14:15], s[0:1], v19, s47, 0
	v_add_co_u32_e32 v12, vcc, v20, v12
	v_addc_co_u32_e32 v12, vcc, v21, v13, vcc
	v_addc_co_u32_e32 v13, vcc, 0, v15, vcc
	v_add_co_u32_e32 v14, vcc, v12, v14
	v_addc_co_u32_e32 v15, vcc, 0, v13, vcc
	v_mul_lo_u32 v20, s49, v14
	v_mul_lo_u32 v21, s48, v15
	v_mad_u64_u32 v[12:13], s[0:1], s48, v14, 0
	v_xor_b32_e32 v3, s46, v3
	v_add3_u32 v13, v13, v21, v20
	v_sub_u32_e32 v20, v19, v13
	v_mov_b32_e32 v21, s49
	v_sub_co_u32_e32 v12, vcc, v18, v12
	v_subb_co_u32_e64 v18, s[0:1], v20, v21, vcc
	v_subrev_co_u32_e64 v20, s[0:1], s48, v12
	v_subbrev_co_u32_e64 v18, s[0:1], 0, v18, s[0:1]
	v_cmp_le_u32_e64 s[0:1], s49, v18
	v_cndmask_b32_e64 v21, 0, -1, s[0:1]
	v_cmp_le_u32_e64 s[0:1], s48, v20
	v_cndmask_b32_e64 v20, 0, -1, s[0:1]
	v_cmp_eq_u32_e64 s[0:1], s49, v18
	v_cndmask_b32_e64 v18, v21, v20, s[0:1]
	v_add_co_u32_e64 v20, s[0:1], 2, v14
	v_subb_co_u32_e32 v13, vcc, v19, v13, vcc
	v_addc_co_u32_e64 v21, s[0:1], 0, v15, s[0:1]
	v_cmp_le_u32_e32 vcc, s49, v13
	v_add_co_u32_e64 v22, s[0:1], 1, v14
	v_cndmask_b32_e64 v19, 0, -1, vcc
	v_cmp_le_u32_e32 vcc, s48, v12
	v_addc_co_u32_e64 v23, s[0:1], 0, v15, s[0:1]
	v_cndmask_b32_e64 v12, 0, -1, vcc
	v_cmp_eq_u32_e32 vcc, s49, v13
	v_cmp_ne_u32_e64 s[0:1], 0, v18
	v_cndmask_b32_e32 v12, v19, v12, vcc
	v_cndmask_b32_e64 v18, v23, v21, s[0:1]
	v_cmp_ne_u32_e32 vcc, 0, v12
	v_cndmask_b32_e64 v13, v22, v20, s[0:1]
	v_cndmask_b32_e32 v12, v15, v18, vcc
	v_cndmask_b32_e32 v13, v14, v13, vcc
	v_xor_b32_e32 v14, v12, v3
	v_xor_b32_e32 v12, v13, v3
	v_sub_co_u32_e32 v12, vcc, v12, v3
	v_subb_co_u32_e32 v13, vcc, v14, v3, vcc
.LBB63_15:                              ;   in Loop: Header=BB63_3 Depth=1
	s_andn2_saveexec_b64 s[0:1], s[44:45]
	s_cbranch_execz .LBB63_17
; %bb.16:                               ;   in Loop: Header=BB63_3 Depth=1
	v_cvt_f32_u32_e32 v3, s42
	s_sub_i32 s44, 0, s42
	v_rcp_iflag_f32_e32 v3, v3
	v_mul_f32_e32 v3, 0x4f7ffffe, v3
	v_cvt_u32_f32_e32 v3, v3
	v_mul_lo_u32 v12, s44, v3
	v_mul_hi_u32 v12, v3, v12
	v_add_u32_e32 v3, v3, v12
	v_mul_hi_u32 v3, v10, v3
	v_mul_lo_u32 v12, v3, s42
	v_add_u32_e32 v13, 1, v3
	v_sub_u32_e32 v12, v10, v12
	v_subrev_u32_e32 v14, s42, v12
	v_cmp_le_u32_e32 vcc, s42, v12
	v_cndmask_b32_e32 v12, v12, v14, vcc
	v_cndmask_b32_e32 v3, v3, v13, vcc
	v_add_u32_e32 v13, 1, v3
	v_cmp_le_u32_e32 vcc, s42, v12
	v_cndmask_b32_e32 v12, v3, v13, vcc
	v_mov_b32_e32 v13, v2
.LBB63_17:                              ;   in Loop: Header=BB63_3 Depth=1
	s_or_b64 exec, exec, s[0:1]
	v_mul_lo_u32 v3, v13, s42
	v_mul_lo_u32 v18, v12, s43
	v_mad_u64_u32 v[14:15], s[0:1], v12, s42, 0
	s_load_dwordx2 s[0:1], s[34:35], 0xd0
	s_load_dwordx2 s[42:43], s[36:37], 0xd0
	v_add3_u32 v3, v15, v18, v3
	v_sub_co_u32_e32 v10, vcc, v10, v14
	v_subb_co_u32_e32 v3, vcc, v11, v3, vcc
	s_waitcnt lgkmcnt(0)
	v_mul_lo_u32 v11, s0, v3
	v_mul_lo_u32 v14, s1, v10
	v_mad_u64_u32 v[8:9], s[0:1], s0, v10, v[8:9]
	v_mul_lo_u32 v3, s42, v3
	v_mul_lo_u32 v15, s43, v10
	v_mad_u64_u32 v[6:7], s[0:1], s42, v10, v[6:7]
	v_add3_u32 v9, v14, v9, v11
	v_mov_b32_e32 v10, v12
	v_add3_u32 v7, v15, v7, v3
	v_mov_b32_e32 v11, v13
	s_mov_b64 s[0:1], s[38:39]
	s_andn2_b64 vcc, exec, s[40:41]
	s_cbranch_vccz .LBB63_19
	s_branch .LBB63_29
.LBB63_18:                              ;   in Loop: Header=BB63_3 Depth=1
	s_mov_b64 s[0:1], s[24:25]
	s_andn2_b64 vcc, exec, s[40:41]
	s_cbranch_vccnz .LBB63_29
.LBB63_19:                              ;   in Loop: Header=BB63_3 Depth=1
	s_lshl_b64 s[44:45], s[0:1], 3
	s_add_u32 s42, s64, s44
	s_addc_u32 s43, s65, s45
	s_add_u32 s44, s33, s44
	s_addc_u32 s45, s62, s45
	;; [unrolled: 2-line block ×3, first 2 shown]
	s_branch .LBB63_21
.LBB63_20:                              ;   in Loop: Header=BB63_21 Depth=2
	s_or_b64 exec, exec, s[0:1]
	v_mul_lo_u32 v3, v13, s48
	v_mul_lo_u32 v20, v12, s49
	v_mad_u64_u32 v[18:19], s[0:1], v12, s48, 0
	v_mul_lo_u32 v21, v15, s50
	v_mul_lo_u32 v22, v14, s51
	v_add3_u32 v3, v19, v20, v3
	v_sub_co_u32_e32 v10, vcc, v10, v18
	v_subb_co_u32_e32 v3, vcc, v11, v3, vcc
	v_mul_lo_u32 v18, s54, v3
	v_mul_lo_u32 v19, s55, v10
	v_mad_u64_u32 v[8:9], s[0:1], s54, v10, v[8:9]
	v_mul_lo_u32 v3, s52, v3
	v_mul_lo_u32 v20, s53, v10
	v_mad_u64_u32 v[6:7], s[0:1], s52, v10, v[6:7]
	v_mad_u64_u32 v[10:11], s[0:1], v14, s50, 0
	s_load_dwordx2 s[0:1], s[44:45], 0xc8
	s_load_dwordx2 s[48:49], s[42:43], 0x0
	v_add3_u32 v7, v20, v7, v3
	v_add3_u32 v3, v11, v22, v21
	v_sub_co_u32_e32 v10, vcc, v12, v10
	v_add3_u32 v9, v19, v9, v18
	v_subb_co_u32_e32 v3, vcc, v13, v3, vcc
	s_add_u32 s42, s42, -16
	s_waitcnt lgkmcnt(0)
	v_mad_u64_u32 v[8:9], s[50:51], s0, v10, v[8:9]
	v_mul_lo_u32 v11, s0, v3
	v_mul_lo_u32 v12, s1, v10
	v_mad_u64_u32 v[6:7], s[0:1], s48, v10, v[6:7]
	v_mul_lo_u32 v3, s48, v3
	v_mul_lo_u32 v10, s49, v10
	s_addc_u32 s43, s43, -1
	s_add_u32 s44, s44, -16
	s_addc_u32 s45, s45, -1
	s_add_u32 s46, s46, -2
	v_add3_u32 v9, v12, v9, v11
	v_add3_u32 v7, v10, v7, v3
	s_addc_u32 s47, s47, -1
	v_mov_b32_e32 v10, v14
	s_cmp_eq_u64 s[46:47], 0
	v_mov_b32_e32 v11, v15
	s_cbranch_scc1 .LBB63_29
.LBB63_21:                              ;   Parent Loop BB63_3 Depth=1
                                        ; =>  This Inner Loop Header: Depth=2
	s_load_dwordx2 s[48:49], s[44:45], 0x8
                                        ; implicit-def: $vgpr12_vgpr13
	s_waitcnt lgkmcnt(0)
	v_or_b32_e32 v3, s49, v11
	v_cmp_ne_u64_e32 vcc, 0, v[2:3]
	s_and_saveexec_b64 s[0:1], vcc
	s_xor_b64 s[50:51], exec, s[0:1]
	s_cbranch_execz .LBB63_23
; %bb.22:                               ;   in Loop: Header=BB63_21 Depth=2
	s_ashr_i32 s52, s49, 31
	s_add_u32 s0, s48, s52
	s_mov_b32 s53, s52
	s_addc_u32 s1, s49, s52
	s_xor_b64 s[54:55], s[0:1], s[52:53]
	v_cvt_f32_u32_e32 v3, s54
	v_cvt_f32_u32_e32 v12, s55
	s_sub_u32 s53, 0, s54
	s_subb_u32 s56, 0, s55
	v_mac_f32_e32 v3, 0x4f800000, v12
	v_rcp_f32_e32 v3, v3
	v_mul_f32_e32 v3, 0x5f7ffffc, v3
	v_mul_f32_e32 v12, 0x2f800000, v3
	v_trunc_f32_e32 v12, v12
	v_mac_f32_e32 v3, 0xcf800000, v12
	v_cvt_u32_f32_e32 v12, v12
	v_cvt_u32_f32_e32 v3, v3
	v_readfirstlane_b32 s57, v12
	v_readfirstlane_b32 s0, v3
	s_mul_i32 s1, s53, s57
	s_mul_hi_u32 s59, s53, s0
	s_mul_i32 s58, s56, s0
	s_add_i32 s1, s59, s1
	s_add_i32 s1, s1, s58
	s_mul_i32 s60, s53, s0
	s_mul_i32 s59, s0, s1
	s_mul_hi_u32 s61, s0, s60
	s_mul_hi_u32 s58, s0, s1
	s_add_u32 s59, s61, s59
	s_addc_u32 s58, 0, s58
	s_mul_hi_u32 s66, s57, s60
	s_mul_i32 s60, s57, s60
	s_add_u32 s59, s59, s60
	s_mul_hi_u32 s61, s57, s1
	s_addc_u32 s58, s58, s66
	s_addc_u32 s59, s61, 0
	s_mul_i32 s1, s57, s1
	s_add_u32 s1, s58, s1
	s_addc_u32 s58, 0, s59
	s_add_u32 s59, s0, s1
	s_cselect_b64 s[0:1], -1, 0
	s_cmp_lg_u64 s[0:1], 0
	s_addc_u32 s57, s57, s58
	s_mul_i32 s0, s53, s57
	s_mul_hi_u32 s1, s53, s59
	s_add_i32 s0, s1, s0
	s_mul_i32 s56, s56, s59
	s_add_i32 s0, s0, s56
	s_mul_i32 s53, s53, s59
	s_mul_hi_u32 s56, s57, s53
	s_mul_i32 s58, s57, s53
	s_mul_i32 s61, s59, s0
	s_mul_hi_u32 s53, s59, s53
	s_mul_hi_u32 s60, s59, s0
	s_add_u32 s53, s53, s61
	s_addc_u32 s60, 0, s60
	s_add_u32 s53, s53, s58
	s_mul_hi_u32 s1, s57, s0
	s_addc_u32 s53, s60, s56
	s_addc_u32 s1, s1, 0
	s_mul_i32 s0, s57, s0
	s_add_u32 s0, s53, s0
	s_addc_u32 s53, 0, s1
	s_add_u32 s56, s59, s0
	s_cselect_b64 s[0:1], -1, 0
	v_ashrrev_i32_e32 v3, 31, v11
	s_cmp_lg_u64 s[0:1], 0
	v_add_co_u32_e32 v12, vcc, v10, v3
	s_addc_u32 s53, s57, s53
	v_xor_b32_e32 v18, v12, v3
	v_mad_u64_u32 v[12:13], s[0:1], v18, s53, 0
	v_mul_hi_u32 v15, v18, s56
	v_addc_co_u32_e32 v14, vcc, v11, v3, vcc
	v_xor_b32_e32 v19, v14, v3
	v_add_co_u32_e32 v20, vcc, v15, v12
	v_addc_co_u32_e32 v21, vcc, 0, v13, vcc
	v_mad_u64_u32 v[12:13], s[0:1], v19, s56, 0
	v_mad_u64_u32 v[14:15], s[0:1], v19, s53, 0
	v_add_co_u32_e32 v12, vcc, v20, v12
	v_addc_co_u32_e32 v12, vcc, v21, v13, vcc
	v_addc_co_u32_e32 v13, vcc, 0, v15, vcc
	v_add_co_u32_e32 v14, vcc, v12, v14
	v_addc_co_u32_e32 v15, vcc, 0, v13, vcc
	v_mul_lo_u32 v20, s55, v14
	v_mul_lo_u32 v21, s54, v15
	v_mad_u64_u32 v[12:13], s[0:1], s54, v14, 0
	v_xor_b32_e32 v3, s52, v3
	v_add3_u32 v13, v13, v21, v20
	v_sub_u32_e32 v20, v19, v13
	v_mov_b32_e32 v21, s55
	v_sub_co_u32_e32 v12, vcc, v18, v12
	v_subb_co_u32_e64 v18, s[0:1], v20, v21, vcc
	v_subrev_co_u32_e64 v20, s[0:1], s54, v12
	v_subbrev_co_u32_e64 v18, s[0:1], 0, v18, s[0:1]
	v_cmp_le_u32_e64 s[0:1], s55, v18
	v_cndmask_b32_e64 v21, 0, -1, s[0:1]
	v_cmp_le_u32_e64 s[0:1], s54, v20
	v_cndmask_b32_e64 v20, 0, -1, s[0:1]
	v_cmp_eq_u32_e64 s[0:1], s55, v18
	v_cndmask_b32_e64 v18, v21, v20, s[0:1]
	v_add_co_u32_e64 v20, s[0:1], 2, v14
	v_subb_co_u32_e32 v13, vcc, v19, v13, vcc
	v_addc_co_u32_e64 v21, s[0:1], 0, v15, s[0:1]
	v_cmp_le_u32_e32 vcc, s55, v13
	v_add_co_u32_e64 v22, s[0:1], 1, v14
	v_cndmask_b32_e64 v19, 0, -1, vcc
	v_cmp_le_u32_e32 vcc, s54, v12
	v_addc_co_u32_e64 v23, s[0:1], 0, v15, s[0:1]
	v_cndmask_b32_e64 v12, 0, -1, vcc
	v_cmp_eq_u32_e32 vcc, s55, v13
	v_cmp_ne_u32_e64 s[0:1], 0, v18
	v_cndmask_b32_e32 v12, v19, v12, vcc
	v_cndmask_b32_e64 v18, v23, v21, s[0:1]
	v_cmp_ne_u32_e32 vcc, 0, v12
	v_cndmask_b32_e64 v13, v22, v20, s[0:1]
	v_cndmask_b32_e32 v12, v15, v18, vcc
	v_cndmask_b32_e32 v13, v14, v13, vcc
	v_xor_b32_e32 v14, v12, v3
	v_xor_b32_e32 v12, v13, v3
	v_sub_co_u32_e32 v12, vcc, v12, v3
	v_subb_co_u32_e32 v13, vcc, v14, v3, vcc
.LBB63_23:                              ;   in Loop: Header=BB63_21 Depth=2
	s_andn2_saveexec_b64 s[0:1], s[50:51]
	s_cbranch_execz .LBB63_25
; %bb.24:                               ;   in Loop: Header=BB63_21 Depth=2
	v_cvt_f32_u32_e32 v3, s48
	s_sub_i32 s50, 0, s48
	v_rcp_iflag_f32_e32 v3, v3
	v_mul_f32_e32 v3, 0x4f7ffffe, v3
	v_cvt_u32_f32_e32 v3, v3
	v_mul_lo_u32 v12, s50, v3
	v_mul_hi_u32 v12, v3, v12
	v_add_u32_e32 v3, v3, v12
	v_mul_hi_u32 v3, v10, v3
	v_mul_lo_u32 v12, v3, s48
	v_add_u32_e32 v13, 1, v3
	v_sub_u32_e32 v12, v10, v12
	v_subrev_u32_e32 v14, s48, v12
	v_cmp_le_u32_e32 vcc, s48, v12
	v_cndmask_b32_e32 v12, v12, v14, vcc
	v_cndmask_b32_e32 v3, v3, v13, vcc
	v_add_u32_e32 v13, 1, v3
	v_cmp_le_u32_e32 vcc, s48, v12
	v_cndmask_b32_e32 v12, v3, v13, vcc
	v_mov_b32_e32 v13, v2
.LBB63_25:                              ;   in Loop: Header=BB63_21 Depth=2
	s_or_b64 exec, exec, s[0:1]
	s_load_dwordx2 s[50:51], s[44:45], 0x0
	s_load_dwordx2 s[54:55], s[44:45], 0xd0
	;; [unrolled: 1-line block ×3, first 2 shown]
                                        ; implicit-def: $vgpr14_vgpr15
	s_waitcnt lgkmcnt(0)
	v_or_b32_e32 v3, s51, v13
	v_cmp_ne_u64_e32 vcc, 0, v[2:3]
	s_and_saveexec_b64 s[0:1], vcc
	s_xor_b64 s[56:57], exec, s[0:1]
	s_cbranch_execz .LBB63_27
; %bb.26:                               ;   in Loop: Header=BB63_21 Depth=2
	s_ashr_i32 s58, s51, 31
	s_add_u32 s0, s50, s58
	s_mov_b32 s59, s58
	s_addc_u32 s1, s51, s58
	s_xor_b64 s[60:61], s[0:1], s[58:59]
	v_cvt_f32_u32_e32 v3, s60
	v_cvt_f32_u32_e32 v14, s61
	s_sub_u32 s59, 0, s60
	s_subb_u32 s66, 0, s61
	v_mac_f32_e32 v3, 0x4f800000, v14
	v_rcp_f32_e32 v3, v3
	v_mul_f32_e32 v3, 0x5f7ffffc, v3
	v_mul_f32_e32 v14, 0x2f800000, v3
	v_trunc_f32_e32 v14, v14
	v_mac_f32_e32 v3, 0xcf800000, v14
	v_cvt_u32_f32_e32 v14, v14
	v_cvt_u32_f32_e32 v3, v3
	v_readfirstlane_b32 s67, v14
	v_readfirstlane_b32 s0, v3
	s_mul_i32 s1, s59, s67
	s_mul_hi_u32 s69, s59, s0
	s_mul_i32 s68, s66, s0
	s_add_i32 s1, s69, s1
	s_add_i32 s1, s1, s68
	s_mul_i32 s70, s59, s0
	s_mul_i32 s69, s0, s1
	s_mul_hi_u32 s71, s0, s70
	s_mul_hi_u32 s68, s0, s1
	s_add_u32 s69, s71, s69
	s_addc_u32 s68, 0, s68
	s_mul_hi_u32 s72, s67, s70
	s_mul_i32 s70, s67, s70
	s_add_u32 s69, s69, s70
	s_mul_hi_u32 s71, s67, s1
	s_addc_u32 s68, s68, s72
	s_addc_u32 s69, s71, 0
	s_mul_i32 s1, s67, s1
	s_add_u32 s1, s68, s1
	s_addc_u32 s68, 0, s69
	s_add_u32 s69, s0, s1
	s_cselect_b64 s[0:1], -1, 0
	s_cmp_lg_u64 s[0:1], 0
	s_addc_u32 s67, s67, s68
	s_mul_i32 s0, s59, s67
	s_mul_hi_u32 s1, s59, s69
	s_add_i32 s0, s1, s0
	s_mul_i32 s66, s66, s69
	s_add_i32 s0, s0, s66
	s_mul_i32 s59, s59, s69
	s_mul_hi_u32 s66, s67, s59
	s_mul_i32 s68, s67, s59
	s_mul_i32 s71, s69, s0
	s_mul_hi_u32 s59, s69, s59
	s_mul_hi_u32 s70, s69, s0
	s_add_u32 s59, s59, s71
	s_addc_u32 s70, 0, s70
	s_add_u32 s59, s59, s68
	s_mul_hi_u32 s1, s67, s0
	s_addc_u32 s59, s70, s66
	s_addc_u32 s1, s1, 0
	s_mul_i32 s0, s67, s0
	s_add_u32 s0, s59, s0
	s_addc_u32 s59, 0, s1
	s_add_u32 s66, s69, s0
	s_cselect_b64 s[0:1], -1, 0
	v_ashrrev_i32_e32 v3, 31, v13
	s_cmp_lg_u64 s[0:1], 0
	v_add_co_u32_e32 v14, vcc, v12, v3
	s_addc_u32 s59, s67, s59
	v_xor_b32_e32 v20, v14, v3
	v_mad_u64_u32 v[14:15], s[0:1], v20, s59, 0
	v_mul_hi_u32 v19, v20, s66
	v_addc_co_u32_e32 v18, vcc, v13, v3, vcc
	v_xor_b32_e32 v21, v18, v3
	v_add_co_u32_e32 v22, vcc, v19, v14
	v_addc_co_u32_e32 v23, vcc, 0, v15, vcc
	v_mad_u64_u32 v[14:15], s[0:1], v21, s66, 0
	v_mad_u64_u32 v[18:19], s[0:1], v21, s59, 0
	v_add_co_u32_e32 v14, vcc, v22, v14
	v_addc_co_u32_e32 v14, vcc, v23, v15, vcc
	v_addc_co_u32_e32 v15, vcc, 0, v19, vcc
	v_add_co_u32_e32 v18, vcc, v14, v18
	v_addc_co_u32_e32 v19, vcc, 0, v15, vcc
	v_mul_lo_u32 v22, s61, v18
	v_mul_lo_u32 v23, s60, v19
	v_mad_u64_u32 v[14:15], s[0:1], s60, v18, 0
	v_xor_b32_e32 v3, s58, v3
	v_add3_u32 v15, v15, v23, v22
	v_sub_u32_e32 v22, v21, v15
	v_mov_b32_e32 v23, s61
	v_sub_co_u32_e32 v14, vcc, v20, v14
	v_subb_co_u32_e64 v20, s[0:1], v22, v23, vcc
	v_subrev_co_u32_e64 v22, s[0:1], s60, v14
	v_subbrev_co_u32_e64 v20, s[0:1], 0, v20, s[0:1]
	v_cmp_le_u32_e64 s[0:1], s61, v20
	v_cndmask_b32_e64 v23, 0, -1, s[0:1]
	v_cmp_le_u32_e64 s[0:1], s60, v22
	v_cndmask_b32_e64 v22, 0, -1, s[0:1]
	v_cmp_eq_u32_e64 s[0:1], s61, v20
	v_cndmask_b32_e64 v20, v23, v22, s[0:1]
	v_add_co_u32_e64 v22, s[0:1], 2, v18
	v_subb_co_u32_e32 v15, vcc, v21, v15, vcc
	v_addc_co_u32_e64 v23, s[0:1], 0, v19, s[0:1]
	v_cmp_le_u32_e32 vcc, s61, v15
	v_add_co_u32_e64 v24, s[0:1], 1, v18
	v_cndmask_b32_e64 v21, 0, -1, vcc
	v_cmp_le_u32_e32 vcc, s60, v14
	v_addc_co_u32_e64 v25, s[0:1], 0, v19, s[0:1]
	v_cndmask_b32_e64 v14, 0, -1, vcc
	v_cmp_eq_u32_e32 vcc, s61, v15
	v_cmp_ne_u32_e64 s[0:1], 0, v20
	v_cndmask_b32_e32 v14, v21, v14, vcc
	v_cndmask_b32_e64 v20, v25, v23, s[0:1]
	v_cmp_ne_u32_e32 vcc, 0, v14
	v_cndmask_b32_e64 v15, v24, v22, s[0:1]
	v_cndmask_b32_e32 v14, v19, v20, vcc
	v_cndmask_b32_e32 v15, v18, v15, vcc
	v_xor_b32_e32 v18, v14, v3
	v_xor_b32_e32 v14, v15, v3
	v_sub_co_u32_e32 v14, vcc, v14, v3
	v_subb_co_u32_e32 v15, vcc, v18, v3, vcc
.LBB63_27:                              ;   in Loop: Header=BB63_21 Depth=2
	s_andn2_saveexec_b64 s[0:1], s[56:57]
	s_cbranch_execz .LBB63_20
; %bb.28:                               ;   in Loop: Header=BB63_21 Depth=2
	v_cvt_f32_u32_e32 v3, s50
	s_sub_i32 s56, 0, s50
	v_rcp_iflag_f32_e32 v3, v3
	v_mul_f32_e32 v3, 0x4f7ffffe, v3
	v_cvt_u32_f32_e32 v3, v3
	v_mul_lo_u32 v14, s56, v3
	v_mul_hi_u32 v14, v3, v14
	v_add_u32_e32 v3, v3, v14
	v_mul_hi_u32 v3, v12, v3
	v_mul_lo_u32 v14, v3, s50
	v_add_u32_e32 v15, 1, v3
	v_sub_u32_e32 v14, v12, v14
	v_subrev_u32_e32 v18, s50, v14
	v_cmp_le_u32_e32 vcc, s50, v14
	v_cndmask_b32_e32 v14, v14, v18, vcc
	v_cndmask_b32_e32 v3, v3, v15, vcc
	v_add_u32_e32 v15, 1, v3
	v_cmp_le_u32_e32 vcc, s50, v14
	v_cndmask_b32_e32 v14, v3, v15, vcc
	v_mov_b32_e32 v15, v2
	s_branch .LBB63_20
.LBB63_29:                              ;   in Loop: Header=BB63_3 Depth=1
	v_sub_co_u32_e32 v10, vcc, v4, v16
	v_subb_co_u32_e32 v11, vcc, v5, v17, vcc
	v_add_co_u32_e32 v12, vcc, 2, v10
	v_addc_co_u32_e32 v13, vcc, 0, v11, vcc
	v_cmp_le_i64_e32 vcc, s[8:9], v[12:13]
	v_mov_b32_e32 v3, 0
	v_mov_b32_e32 v12, 0
	s_and_saveexec_b64 s[0:1], vcc
	s_cbranch_execz .LBB63_35
; %bb.30:                               ;   in Loop: Header=BB63_3 Depth=1
	v_cmp_gt_i64_e32 vcc, s[14:15], v[4:5]
	v_mov_b32_e32 v3, 0
	v_mov_b32_e32 v13, 0
	s_and_saveexec_b64 s[42:43], vcc
	s_cbranch_execz .LBB63_34
; %bb.31:                               ;   in Loop: Header=BB63_3 Depth=1
	v_lshlrev_b64 v[8:9], 2, v[8:9]
	v_mov_b32_e32 v3, s3
	v_add_co_u32_e32 v8, vcc, s2, v8
	v_addc_co_u32_e32 v9, vcc, v3, v9, vcc
	global_load_dword v3, v[8:9], off
	v_add_co_u32_e32 v12, vcc, 1, v4
	v_addc_co_u32_e32 v13, vcc, 0, v5, vcc
	v_cmp_gt_i64_e32 vcc, s[14:15], v[12:13]
	v_mov_b32_e32 v13, 0
	s_and_saveexec_b64 s[44:45], vcc
	s_xor_b64 s[44:45], exec, s[44:45]
	s_cbranch_execz .LBB63_33
; %bb.32:                               ;   in Loop: Header=BB63_3 Depth=1
	s_lshl_b64 s[46:47], s[18:19], 2
	v_mov_b32_e32 v12, s47
	v_add_co_u32_e32 v8, vcc, s46, v8
	v_addc_co_u32_e32 v9, vcc, v9, v12, vcc
	global_load_dword v13, v[8:9], off
.LBB63_33:                              ;   in Loop: Header=BB63_3 Depth=1
	s_or_b64 exec, exec, s[44:45]
.LBB63_34:                              ;   in Loop: Header=BB63_3 Depth=1
	s_or_b64 exec, exec, s[42:43]
	v_cmp_le_i64_e32 vcc, s[8:9], v[10:11]
	s_waitcnt vmcnt(0)
	v_cndmask_b32_e32 v12, 0, v3, vcc
	v_add_co_u32_e32 v8, vcc, 1, v10
	v_addc_co_u32_e32 v9, vcc, 0, v11, vcc
	v_cmp_le_i64_e32 vcc, s[8:9], v[8:9]
	v_cndmask_b32_e32 v3, 0, v13, vcc
.LBB63_35:                              ;   in Loop: Header=BB63_3 Depth=1
	s_or_b64 exec, exec, s[0:1]
	v_cmp_gt_i64_e32 vcc, s[14:15], v[4:5]
	s_and_saveexec_b64 s[0:1], vcc
	s_cbranch_execz .LBB63_2
; %bb.36:                               ;   in Loop: Header=BB63_3 Depth=1
	v_lshlrev_b64 v[6:7], 2, v[6:7]
	v_mov_b32_e32 v8, s29
	v_add_co_u32_e32 v6, vcc, s28, v6
	v_addc_co_u32_e32 v7, vcc, v8, v7, vcc
	v_add_co_u32_e32 v4, vcc, 1, v4
	v_addc_co_u32_e32 v5, vcc, 0, v5, vcc
	v_cmp_gt_i64_e32 vcc, s[14:15], v[4:5]
	global_store_dword v[6:7], v12, off
	s_and_saveexec_b64 s[42:43], vcc
	s_xor_b64 s[42:43], exec, s[42:43]
	s_cbranch_execz .LBB63_2
; %bb.37:                               ;   in Loop: Header=BB63_3 Depth=1
	s_lshl_b64 s[42:43], s[22:23], 2
	v_mov_b32_e32 v5, s43
	v_add_co_u32_e32 v4, vcc, s42, v6
	v_addc_co_u32_e32 v5, vcc, v7, v5, vcc
	global_store_dword v[4:5], v3, off
	s_branch .LBB63_2
.LBB63_38:
	s_endpgm
	.section	.rodata,"a",@progbits
	.p2align	6, 0x0
	.amdhsa_kernel _ZN2at6native16triu_tril_kernelIilLb1ELi2ELb0EEEvNS_4cuda6detail10TensorInfoIT_T0_EENS4_IKS5_S6_EEllS6_
		.amdhsa_group_segment_fixed_size 0
		.amdhsa_private_segment_fixed_size 0
		.amdhsa_kernarg_size 1112
		.amdhsa_user_sgpr_count 6
		.amdhsa_user_sgpr_private_segment_buffer 1
		.amdhsa_user_sgpr_dispatch_ptr 0
		.amdhsa_user_sgpr_queue_ptr 0
		.amdhsa_user_sgpr_kernarg_segment_ptr 1
		.amdhsa_user_sgpr_dispatch_id 0
		.amdhsa_user_sgpr_flat_scratch_init 0
		.amdhsa_user_sgpr_private_segment_size 0
		.amdhsa_uses_dynamic_stack 0
		.amdhsa_system_sgpr_private_segment_wavefront_offset 0
		.amdhsa_system_sgpr_workgroup_id_x 1
		.amdhsa_system_sgpr_workgroup_id_y 0
		.amdhsa_system_sgpr_workgroup_id_z 0
		.amdhsa_system_sgpr_workgroup_info 0
		.amdhsa_system_vgpr_workitem_id 0
		.amdhsa_next_free_vgpr 26
		.amdhsa_next_free_sgpr 73
		.amdhsa_reserve_vcc 1
		.amdhsa_reserve_flat_scratch 0
		.amdhsa_float_round_mode_32 0
		.amdhsa_float_round_mode_16_64 0
		.amdhsa_float_denorm_mode_32 3
		.amdhsa_float_denorm_mode_16_64 3
		.amdhsa_dx10_clamp 1
		.amdhsa_ieee_mode 1
		.amdhsa_fp16_overflow 0
		.amdhsa_exception_fp_ieee_invalid_op 0
		.amdhsa_exception_fp_denorm_src 0
		.amdhsa_exception_fp_ieee_div_zero 0
		.amdhsa_exception_fp_ieee_overflow 0
		.amdhsa_exception_fp_ieee_underflow 0
		.amdhsa_exception_fp_ieee_inexact 0
		.amdhsa_exception_int_div_zero 0
	.end_amdhsa_kernel
	.section	.text._ZN2at6native16triu_tril_kernelIilLb1ELi2ELb0EEEvNS_4cuda6detail10TensorInfoIT_T0_EENS4_IKS5_S6_EEllS6_,"axG",@progbits,_ZN2at6native16triu_tril_kernelIilLb1ELi2ELb0EEEvNS_4cuda6detail10TensorInfoIT_T0_EENS4_IKS5_S6_EEllS6_,comdat
.Lfunc_end63:
	.size	_ZN2at6native16triu_tril_kernelIilLb1ELi2ELb0EEEvNS_4cuda6detail10TensorInfoIT_T0_EENS4_IKS5_S6_EEllS6_, .Lfunc_end63-_ZN2at6native16triu_tril_kernelIilLb1ELi2ELb0EEEvNS_4cuda6detail10TensorInfoIT_T0_EENS4_IKS5_S6_EEllS6_
                                        ; -- End function
	.set _ZN2at6native16triu_tril_kernelIilLb1ELi2ELb0EEEvNS_4cuda6detail10TensorInfoIT_T0_EENS4_IKS5_S6_EEllS6_.num_vgpr, 26
	.set _ZN2at6native16triu_tril_kernelIilLb1ELi2ELb0EEEvNS_4cuda6detail10TensorInfoIT_T0_EENS4_IKS5_S6_EEllS6_.num_agpr, 0
	.set _ZN2at6native16triu_tril_kernelIilLb1ELi2ELb0EEEvNS_4cuda6detail10TensorInfoIT_T0_EENS4_IKS5_S6_EEllS6_.numbered_sgpr, 73
	.set _ZN2at6native16triu_tril_kernelIilLb1ELi2ELb0EEEvNS_4cuda6detail10TensorInfoIT_T0_EENS4_IKS5_S6_EEllS6_.num_named_barrier, 0
	.set _ZN2at6native16triu_tril_kernelIilLb1ELi2ELb0EEEvNS_4cuda6detail10TensorInfoIT_T0_EENS4_IKS5_S6_EEllS6_.private_seg_size, 0
	.set _ZN2at6native16triu_tril_kernelIilLb1ELi2ELb0EEEvNS_4cuda6detail10TensorInfoIT_T0_EENS4_IKS5_S6_EEllS6_.uses_vcc, 1
	.set _ZN2at6native16triu_tril_kernelIilLb1ELi2ELb0EEEvNS_4cuda6detail10TensorInfoIT_T0_EENS4_IKS5_S6_EEllS6_.uses_flat_scratch, 0
	.set _ZN2at6native16triu_tril_kernelIilLb1ELi2ELb0EEEvNS_4cuda6detail10TensorInfoIT_T0_EENS4_IKS5_S6_EEllS6_.has_dyn_sized_stack, 0
	.set _ZN2at6native16triu_tril_kernelIilLb1ELi2ELb0EEEvNS_4cuda6detail10TensorInfoIT_T0_EENS4_IKS5_S6_EEllS6_.has_recursion, 0
	.set _ZN2at6native16triu_tril_kernelIilLb1ELi2ELb0EEEvNS_4cuda6detail10TensorInfoIT_T0_EENS4_IKS5_S6_EEllS6_.has_indirect_call, 0
	.section	.AMDGPU.csdata,"",@progbits
; Kernel info:
; codeLenInByte = 5004
; TotalNumSgprs: 77
; NumVgprs: 26
; ScratchSize: 0
; MemoryBound: 0
; FloatMode: 240
; IeeeMode: 1
; LDSByteSize: 0 bytes/workgroup (compile time only)
; SGPRBlocks: 9
; VGPRBlocks: 6
; NumSGPRsForWavesPerEU: 77
; NumVGPRsForWavesPerEU: 26
; Occupancy: 9
; WaveLimiterHint : 0
; COMPUTE_PGM_RSRC2:SCRATCH_EN: 0
; COMPUTE_PGM_RSRC2:USER_SGPR: 6
; COMPUTE_PGM_RSRC2:TRAP_HANDLER: 0
; COMPUTE_PGM_RSRC2:TGID_X_EN: 1
; COMPUTE_PGM_RSRC2:TGID_Y_EN: 0
; COMPUTE_PGM_RSRC2:TGID_Z_EN: 0
; COMPUTE_PGM_RSRC2:TIDIG_COMP_CNT: 0
	.section	.text._ZN2at6native16triu_tril_kernelIliLb1ELi2ELb1EEEvNS_4cuda6detail10TensorInfoIT_T0_EENS4_IKS5_S6_EEllS6_,"axG",@progbits,_ZN2at6native16triu_tril_kernelIliLb1ELi2ELb1EEEvNS_4cuda6detail10TensorInfoIT_T0_EENS4_IKS5_S6_EEllS6_,comdat
	.protected	_ZN2at6native16triu_tril_kernelIliLb1ELi2ELb1EEEvNS_4cuda6detail10TensorInfoIT_T0_EENS4_IKS5_S6_EEllS6_ ; -- Begin function _ZN2at6native16triu_tril_kernelIliLb1ELi2ELb1EEEvNS_4cuda6detail10TensorInfoIT_T0_EENS4_IKS5_S6_EEllS6_
	.globl	_ZN2at6native16triu_tril_kernelIliLb1ELi2ELb1EEEvNS_4cuda6detail10TensorInfoIT_T0_EENS4_IKS5_S6_EEllS6_
	.p2align	8
	.type	_ZN2at6native16triu_tril_kernelIliLb1ELi2ELb1EEEvNS_4cuda6detail10TensorInfoIT_T0_EENS4_IKS5_S6_EEllS6_,@function
_ZN2at6native16triu_tril_kernelIliLb1ELi2ELb1EEEvNS_4cuda6detail10TensorInfoIT_T0_EENS4_IKS5_S6_EEllS6_: ; @_ZN2at6native16triu_tril_kernelIliLb1ELi2ELb1EEEvNS_4cuda6detail10TensorInfoIT_T0_EENS4_IKS5_S6_EEllS6_
; %bb.0:
	s_load_dword s2, s[4:5], 0x1d4
	s_load_dwordx4 s[8:11], s[4:5], 0x1b0
	s_add_u32 s0, s4, 0x1c8
	v_mov_b32_e32 v2, 0
	s_addc_u32 s1, s5, 0
	s_waitcnt lgkmcnt(0)
	s_and_b32 s7, s2, 0xffff
	v_mov_b32_e32 v1, v2
	v_mov_b32_e32 v3, s6
	v_mad_u64_u32 v[0:1], s[2:3], s7, v3, v[0:1]
	v_lshlrev_b64 v[0:1], 1, v[0:1]
	v_cmp_gt_i64_e32 vcc, s[10:11], v[0:1]
	s_and_saveexec_b64 s[2:3], vcc
	s_cbranch_execz .LBB64_61
; %bb.1:
	s_load_dword s33, s[4:5], 0x1c0
	s_load_dword s16, s[4:5], 0x1a8
	s_add_u32 s42, s4, 0xd8
	s_addc_u32 s43, s5, 0
	s_load_dword s6, s[0:1], 0x0
	s_waitcnt lgkmcnt(0)
	s_ashr_i32 s44, s33, 31
	s_ashr_i32 s17, s16, 31
	s_lshl_b64 s[0:1], s[16:17], 2
	s_add_u32 s2, s42, s0
	s_addc_u32 s3, s43, s1
	s_load_dword s45, s[2:3], 0x0
	s_load_dwordx2 s[12:13], s[4:5], 0x0
	s_mul_i32 s18, s6, s7
	v_cmp_gt_i64_e64 s[6:7], s[16:17], 2
	s_mov_b32 s17, 0
	s_waitcnt lgkmcnt(0)
	s_ashr_i32 s46, s45, 31
	s_add_u32 s14, s4, s0
	s_addc_u32 s15, s5, s1
	s_add_i32 s0, s16, 6
	s_add_i32 s47, s16, -3
	s_lshl_b32 s48, s18, 1
	s_and_b32 s49, s0, 7
	s_and_b32 s0, s16, 7
	s_cmp_lg_u32 s0, 2
	s_cselect_b64 s[18:19], -1, 0
	s_cmp_gt_u32 s47, 6
	s_cselect_b64 s[20:21], -1, 0
	s_mov_b64 s[22:23], 0
	s_ashr_i32 s24, s44, 31
	s_branch .LBB64_3
.LBB64_2:                               ;   in Loop: Header=BB64_3 Depth=1
	s_or_b64 exec, exec, s[26:27]
	v_add_co_u32_e32 v0, vcc, s48, v0
	v_addc_co_u32_e32 v1, vcc, 0, v1, vcc
	v_cmp_le_i64_e32 vcc, s[10:11], v[0:1]
	s_or_b64 s[22:23], vcc, s[22:23]
	s_andn2_b64 exec, exec, s[22:23]
	s_cbranch_execz .LBB64_61
.LBB64_3:                               ; =>This Loop Header: Depth=1
                                        ;     Child Loop BB64_14 Depth 2
                                        ;     Child Loop BB64_23 Depth 2
	v_or_b32_e32 v3, s44, v1
	v_cmp_ne_u64_e32 vcc, 0, v[2:3]
                                        ; implicit-def: $vgpr4_vgpr5
	s_and_saveexec_b64 s[0:1], vcc
	s_xor_b64 s[26:27], exec, s[0:1]
	s_cbranch_execz .LBB64_5
; %bb.4:                                ;   in Loop: Header=BB64_3 Depth=1
	s_add_u32 s0, s33, s24
	s_mov_b32 s25, s24
	s_addc_u32 s1, s44, s24
	s_xor_b64 s[28:29], s[0:1], s[24:25]
	v_cvt_f32_u32_e32 v3, s28
	v_cvt_f32_u32_e32 v4, s29
	s_sub_u32 s16, 0, s28
	s_subb_u32 s25, 0, s29
	v_ashrrev_i32_e32 v7, 31, v1
	v_mac_f32_e32 v3, 0x4f800000, v4
	v_rcp_f32_e32 v3, v3
	v_mul_f32_e32 v3, 0x5f7ffffc, v3
	v_mul_f32_e32 v4, 0x2f800000, v3
	v_trunc_f32_e32 v4, v4
	v_mac_f32_e32 v3, 0xcf800000, v4
	v_cvt_u32_f32_e32 v4, v4
	v_cvt_u32_f32_e32 v3, v3
	v_readfirstlane_b32 s30, v4
	v_readfirstlane_b32 s0, v3
	s_mul_i32 s1, s16, s30
	s_mul_hi_u32 s34, s16, s0
	s_mul_i32 s31, s25, s0
	s_add_i32 s1, s34, s1
	s_add_i32 s1, s1, s31
	s_mul_i32 s35, s16, s0
	s_mul_i32 s34, s0, s1
	s_mul_hi_u32 s36, s0, s35
	s_mul_hi_u32 s31, s0, s1
	s_add_u32 s34, s36, s34
	s_addc_u32 s31, 0, s31
	s_mul_hi_u32 s37, s30, s35
	s_mul_i32 s35, s30, s35
	s_add_u32 s34, s34, s35
	s_mul_hi_u32 s36, s30, s1
	s_addc_u32 s31, s31, s37
	s_addc_u32 s34, s36, 0
	s_mul_i32 s1, s30, s1
	s_add_u32 s1, s31, s1
	s_addc_u32 s31, 0, s34
	s_add_u32 s34, s0, s1
	s_cselect_b64 s[0:1], -1, 0
	s_cmp_lg_u64 s[0:1], 0
	s_addc_u32 s30, s30, s31
	s_mul_i32 s0, s16, s30
	s_mul_hi_u32 s1, s16, s34
	s_add_i32 s0, s1, s0
	s_mul_i32 s25, s25, s34
	s_add_i32 s0, s0, s25
	s_mul_i32 s16, s16, s34
	s_mul_hi_u32 s25, s30, s16
	s_mul_i32 s31, s30, s16
	s_mul_i32 s36, s34, s0
	s_mul_hi_u32 s16, s34, s16
	s_mul_hi_u32 s35, s34, s0
	s_add_u32 s16, s16, s36
	s_addc_u32 s35, 0, s35
	s_add_u32 s16, s16, s31
	s_mul_hi_u32 s1, s30, s0
	s_addc_u32 s16, s35, s25
	s_addc_u32 s1, s1, 0
	s_mul_i32 s0, s30, s0
	s_add_u32 s0, s16, s0
	s_addc_u32 s16, 0, s1
	s_add_u32 s25, s34, s0
	s_cselect_b64 s[0:1], -1, 0
	s_cmp_lg_u64 s[0:1], 0
	v_add_co_u32_e32 v3, vcc, v0, v7
	s_addc_u32 s16, s30, s16
	v_xor_b32_e32 v8, v3, v7
	v_mad_u64_u32 v[3:4], s[0:1], v8, s16, 0
	v_mul_hi_u32 v6, v8, s25
	v_addc_co_u32_e32 v5, vcc, v1, v7, vcc
	v_xor_b32_e32 v9, v5, v7
	v_add_co_u32_e32 v10, vcc, v6, v3
	v_addc_co_u32_e32 v11, vcc, 0, v4, vcc
	v_mad_u64_u32 v[3:4], s[0:1], v9, s25, 0
	v_mad_u64_u32 v[5:6], s[0:1], v9, s16, 0
	v_add_co_u32_e32 v3, vcc, v10, v3
	v_addc_co_u32_e32 v3, vcc, v11, v4, vcc
	v_addc_co_u32_e32 v4, vcc, 0, v6, vcc
	v_add_co_u32_e32 v5, vcc, v3, v5
	v_addc_co_u32_e32 v6, vcc, 0, v4, vcc
	v_mul_lo_u32 v10, s29, v5
	v_mul_lo_u32 v11, s28, v6
	v_mad_u64_u32 v[3:4], s[0:1], s28, v5, 0
	v_add3_u32 v4, v4, v11, v10
	v_sub_u32_e32 v10, v9, v4
	v_mov_b32_e32 v11, s29
	v_sub_co_u32_e32 v3, vcc, v8, v3
	v_subb_co_u32_e64 v8, s[0:1], v10, v11, vcc
	v_subrev_co_u32_e64 v10, s[0:1], s28, v3
	v_subbrev_co_u32_e64 v8, s[0:1], 0, v8, s[0:1]
	v_cmp_le_u32_e64 s[0:1], s29, v8
	v_cndmask_b32_e64 v11, 0, -1, s[0:1]
	v_cmp_le_u32_e64 s[0:1], s28, v10
	v_cndmask_b32_e64 v10, 0, -1, s[0:1]
	v_cmp_eq_u32_e64 s[0:1], s29, v8
	v_cndmask_b32_e64 v8, v11, v10, s[0:1]
	v_add_co_u32_e64 v10, s[0:1], 2, v5
	v_subb_co_u32_e32 v4, vcc, v9, v4, vcc
	v_addc_co_u32_e64 v11, s[0:1], 0, v6, s[0:1]
	v_cmp_le_u32_e32 vcc, s29, v4
	v_add_co_u32_e64 v12, s[0:1], 1, v5
	v_cndmask_b32_e64 v9, 0, -1, vcc
	v_cmp_le_u32_e32 vcc, s28, v3
	v_addc_co_u32_e64 v13, s[0:1], 0, v6, s[0:1]
	v_cndmask_b32_e64 v3, 0, -1, vcc
	v_cmp_eq_u32_e32 vcc, s29, v4
	v_cmp_ne_u32_e64 s[0:1], 0, v8
	v_cndmask_b32_e32 v3, v9, v3, vcc
	v_cmp_ne_u32_e32 vcc, 0, v3
	v_cndmask_b32_e64 v4, v12, v10, s[0:1]
	v_cndmask_b32_e64 v8, v13, v11, s[0:1]
	v_cndmask_b32_e32 v4, v5, v4, vcc
	v_xor_b32_e32 v5, s24, v7
	v_cndmask_b32_e32 v3, v6, v8, vcc
	v_xor_b32_e32 v4, v4, v5
	v_xor_b32_e32 v3, v3, v5
	v_sub_co_u32_e32 v4, vcc, v4, v5
	v_subb_co_u32_e32 v5, vcc, v3, v5, vcc
.LBB64_5:                               ;   in Loop: Header=BB64_3 Depth=1
	s_andn2_saveexec_b64 s[0:1], s[26:27]
	s_cbranch_execz .LBB64_7
; %bb.6:                                ;   in Loop: Header=BB64_3 Depth=1
	v_cvt_f32_u32_e32 v3, s33
	s_sub_i32 s16, 0, s33
	v_rcp_iflag_f32_e32 v3, v3
	v_mul_f32_e32 v3, 0x4f7ffffe, v3
	v_cvt_u32_f32_e32 v3, v3
	v_mul_lo_u32 v4, s16, v3
	v_mul_hi_u32 v4, v3, v4
	v_add_u32_e32 v3, v3, v4
	v_mul_hi_u32 v3, v0, v3
	v_mul_lo_u32 v4, v3, s33
	v_add_u32_e32 v5, 1, v3
	v_sub_u32_e32 v4, v0, v4
	v_subrev_u32_e32 v6, s33, v4
	v_cmp_le_u32_e32 vcc, s33, v4
	v_cndmask_b32_e32 v4, v4, v6, vcc
	v_cndmask_b32_e32 v3, v3, v5, vcc
	v_add_u32_e32 v5, 1, v3
	v_cmp_le_u32_e32 vcc, s33, v4
	v_cndmask_b32_e32 v4, v3, v5, vcc
	v_mov_b32_e32 v5, v2
.LBB64_7:                               ;   in Loop: Header=BB64_3 Depth=1
	s_or_b64 exec, exec, s[0:1]
	v_or_b32_e32 v3, s46, v5
	v_cmp_ne_u64_e32 vcc, 0, v[2:3]
                                        ; implicit-def: $vgpr6_vgpr7
	s_and_saveexec_b64 s[0:1], vcc
	s_xor_b64 s[26:27], exec, s[0:1]
	s_cbranch_execz .LBB64_9
; %bb.8:                                ;   in Loop: Header=BB64_3 Depth=1
	s_ashr_i32 s28, s46, 31
	s_add_u32 s0, s45, s28
	s_mov_b32 s29, s28
	s_addc_u32 s1, s46, s28
	s_xor_b64 s[30:31], s[0:1], s[28:29]
	v_cvt_f32_u32_e32 v3, s30
	v_cvt_f32_u32_e32 v6, s31
	s_sub_u32 s16, 0, s30
	s_subb_u32 s25, 0, s31
	v_mac_f32_e32 v3, 0x4f800000, v6
	v_rcp_f32_e32 v3, v3
	v_mul_f32_e32 v3, 0x5f7ffffc, v3
	v_mul_f32_e32 v6, 0x2f800000, v3
	v_trunc_f32_e32 v6, v6
	v_mac_f32_e32 v3, 0xcf800000, v6
	v_cvt_u32_f32_e32 v6, v6
	v_cvt_u32_f32_e32 v3, v3
	v_readfirstlane_b32 s29, v6
	v_readfirstlane_b32 s0, v3
	s_mul_i32 s1, s16, s29
	s_mul_hi_u32 s35, s16, s0
	s_mul_i32 s34, s25, s0
	s_add_i32 s1, s35, s1
	s_add_i32 s1, s1, s34
	s_mul_i32 s36, s16, s0
	s_mul_i32 s35, s0, s1
	s_mul_hi_u32 s37, s0, s36
	s_mul_hi_u32 s34, s0, s1
	s_add_u32 s35, s37, s35
	s_addc_u32 s34, 0, s34
	s_mul_hi_u32 s38, s29, s36
	s_mul_i32 s36, s29, s36
	s_add_u32 s35, s35, s36
	s_mul_hi_u32 s37, s29, s1
	s_addc_u32 s34, s34, s38
	s_addc_u32 s35, s37, 0
	s_mul_i32 s1, s29, s1
	s_add_u32 s1, s34, s1
	s_addc_u32 s34, 0, s35
	s_add_u32 s35, s0, s1
	s_cselect_b64 s[0:1], -1, 0
	s_cmp_lg_u64 s[0:1], 0
	s_addc_u32 s29, s29, s34
	s_mul_i32 s0, s16, s29
	s_mul_hi_u32 s1, s16, s35
	s_add_i32 s0, s1, s0
	s_mul_i32 s25, s25, s35
	s_add_i32 s0, s0, s25
	s_mul_i32 s16, s16, s35
	s_mul_hi_u32 s25, s29, s16
	s_mul_i32 s34, s29, s16
	s_mul_i32 s37, s35, s0
	s_mul_hi_u32 s16, s35, s16
	s_mul_hi_u32 s36, s35, s0
	s_add_u32 s16, s16, s37
	s_addc_u32 s36, 0, s36
	s_add_u32 s16, s16, s34
	s_mul_hi_u32 s1, s29, s0
	s_addc_u32 s16, s36, s25
	s_addc_u32 s1, s1, 0
	s_mul_i32 s0, s29, s0
	s_add_u32 s0, s16, s0
	s_addc_u32 s16, 0, s1
	s_add_u32 s25, s35, s0
	s_cselect_b64 s[0:1], -1, 0
	v_ashrrev_i32_e32 v3, 31, v5
	s_cmp_lg_u64 s[0:1], 0
	v_add_co_u32_e32 v6, vcc, v4, v3
	s_addc_u32 s16, s29, s16
	v_xor_b32_e32 v9, v6, v3
	v_addc_co_u32_e32 v7, vcc, v5, v3, vcc
	v_mad_u64_u32 v[5:6], s[0:1], v9, s16, 0
	v_mul_hi_u32 v8, v9, s25
	v_xor_b32_e32 v10, v7, v3
	v_xor_b32_e32 v3, s28, v3
	v_add_co_u32_e32 v11, vcc, v8, v5
	v_addc_co_u32_e32 v12, vcc, 0, v6, vcc
	v_mad_u64_u32 v[5:6], s[0:1], v10, s25, 0
	v_mad_u64_u32 v[7:8], s[0:1], v10, s16, 0
	v_add_co_u32_e32 v5, vcc, v11, v5
	v_addc_co_u32_e32 v5, vcc, v12, v6, vcc
	v_addc_co_u32_e32 v6, vcc, 0, v8, vcc
	v_add_co_u32_e32 v7, vcc, v5, v7
	v_addc_co_u32_e32 v8, vcc, 0, v6, vcc
	v_mul_lo_u32 v11, s31, v7
	v_mul_lo_u32 v12, s30, v8
	v_mad_u64_u32 v[5:6], s[0:1], s30, v7, 0
	v_add3_u32 v6, v6, v12, v11
	v_sub_u32_e32 v11, v10, v6
	v_mov_b32_e32 v12, s31
	v_sub_co_u32_e32 v5, vcc, v9, v5
	v_subb_co_u32_e64 v9, s[0:1], v11, v12, vcc
	v_subrev_co_u32_e64 v11, s[0:1], s30, v5
	v_subbrev_co_u32_e64 v9, s[0:1], 0, v9, s[0:1]
	v_cmp_le_u32_e64 s[0:1], s31, v9
	v_cndmask_b32_e64 v12, 0, -1, s[0:1]
	v_cmp_le_u32_e64 s[0:1], s30, v11
	v_cndmask_b32_e64 v11, 0, -1, s[0:1]
	v_cmp_eq_u32_e64 s[0:1], s31, v9
	v_cndmask_b32_e64 v9, v12, v11, s[0:1]
	v_add_co_u32_e64 v11, s[0:1], 2, v7
	v_subb_co_u32_e32 v6, vcc, v10, v6, vcc
	v_addc_co_u32_e64 v12, s[0:1], 0, v8, s[0:1]
	v_cmp_le_u32_e32 vcc, s31, v6
	v_add_co_u32_e64 v13, s[0:1], 1, v7
	v_cndmask_b32_e64 v10, 0, -1, vcc
	v_cmp_le_u32_e32 vcc, s30, v5
	v_addc_co_u32_e64 v14, s[0:1], 0, v8, s[0:1]
	v_cndmask_b32_e64 v5, 0, -1, vcc
	v_cmp_eq_u32_e32 vcc, s31, v6
	v_cmp_ne_u32_e64 s[0:1], 0, v9
	v_cndmask_b32_e32 v5, v10, v5, vcc
	v_cmp_ne_u32_e32 vcc, 0, v5
	v_cndmask_b32_e64 v6, v13, v11, s[0:1]
	v_cndmask_b32_e64 v9, v14, v12, s[0:1]
	v_cndmask_b32_e32 v6, v7, v6, vcc
	v_cndmask_b32_e32 v5, v8, v9, vcc
	v_xor_b32_e32 v6, v6, v3
	v_xor_b32_e32 v5, v5, v3
	v_sub_co_u32_e32 v6, vcc, v6, v3
	v_subb_co_u32_e32 v7, vcc, v5, v3, vcc
.LBB64_9:                               ;   in Loop: Header=BB64_3 Depth=1
	s_andn2_saveexec_b64 s[0:1], s[26:27]
	s_cbranch_execz .LBB64_11
; %bb.10:                               ;   in Loop: Header=BB64_3 Depth=1
	v_cvt_f32_u32_e32 v3, s45
	s_sub_i32 s16, 0, s45
	v_rcp_iflag_f32_e32 v3, v3
	v_mul_f32_e32 v3, 0x4f7ffffe, v3
	v_cvt_u32_f32_e32 v3, v3
	v_mul_lo_u32 v5, s16, v3
	v_mul_hi_u32 v5, v3, v5
	v_add_u32_e32 v3, v3, v5
	v_mul_hi_u32 v3, v4, v3
	v_mul_lo_u32 v5, v3, s45
	v_add_u32_e32 v6, 1, v3
	v_sub_u32_e32 v5, v4, v5
	v_subrev_u32_e32 v7, s45, v5
	v_cmp_le_u32_e32 vcc, s45, v5
	v_cndmask_b32_e32 v5, v5, v7, vcc
	v_cndmask_b32_e32 v3, v3, v6, vcc
	v_add_u32_e32 v6, 1, v3
	v_cmp_le_u32_e32 vcc, s45, v5
	v_cndmask_b32_e32 v6, v3, v6, vcc
	v_mov_b32_e32 v7, v2
.LBB64_11:                              ;   in Loop: Header=BB64_3 Depth=1
	s_or_b64 exec, exec, s[0:1]
	v_mad_u64_u32 v[8:9], s[0:1], v4, s33, 0
	v_mad_u64_u32 v[9:10], s[0:1], v6, s45, 0
	v_sub_co_u32_e32 v25, vcc, v0, v8
	v_sub_co_u32_e32 v24, vcc, v4, v9
	v_sub_u32_e32 v3, v25, v24
	v_ashrrev_i32_e32 v4, 31, v3
	v_cmp_gt_i64_e32 vcc, s[8:9], v[3:4]
	s_and_saveexec_b64 s[26:27], vcc
	s_cbranch_execz .LBB64_2
; %bb.12:                               ;   in Loop: Header=BB64_3 Depth=1
	s_load_dwordx2 s[28:29], s[14:15], 0x64
	s_andn2_b64 vcc, exec, s[6:7]
	s_waitcnt lgkmcnt(0)
	v_mul_lo_u32 v3, s29, v25
	v_mad_u64_u32 v[4:5], s[0:1], s28, v24, v[3:4]
	s_cbranch_vccnz .LBB64_57
; %bb.13:                               ;   in Loop: Header=BB64_3 Depth=1
	s_andn2_b64 vcc, exec, s[18:19]
	s_mov_b32 s25, s49
	s_mov_b32 s16, s47
	;; [unrolled: 1-line block ×3, first 2 shown]
	s_cbranch_vccnz .LBB64_21
.LBB64_14:                              ;   Parent Loop BB64_3 Depth=1
                                        ; =>  This Inner Loop Header: Depth=2
	s_lshl_b64 s[30:31], s[16:17], 2
	s_add_u32 s0, s42, s30
	s_addc_u32 s1, s43, s31
	s_load_dword s28, s[0:1], 0x8
                                        ; implicit-def: $vgpr8_vgpr9
	s_waitcnt lgkmcnt(0)
	s_ashr_i32 s0, s28, 31
	v_or_b32_e32 v3, s0, v7
	v_cmp_ne_u64_e32 vcc, 0, v[2:3]
	s_and_saveexec_b64 s[34:35], vcc
	s_xor_b64 s[34:35], exec, s[34:35]
	s_cbranch_execz .LBB64_16
; %bb.15:                               ;   in Loop: Header=BB64_14 Depth=2
	s_ashr_i32 s36, s0, 31
	s_add_u32 s38, s28, s36
	s_mov_b32 s37, s36
	s_addc_u32 s39, s0, s36
	s_xor_b64 s[38:39], s[38:39], s[36:37]
	v_cvt_f32_u32_e32 v3, s38
	v_cvt_f32_u32_e32 v5, s39
	s_sub_u32 s37, 0, s38
	s_subb_u32 s40, 0, s39
	v_mac_f32_e32 v3, 0x4f800000, v5
	v_rcp_f32_e32 v3, v3
	v_mul_f32_e32 v3, 0x5f7ffffc, v3
	v_mul_f32_e32 v5, 0x2f800000, v3
	v_trunc_f32_e32 v5, v5
	v_mac_f32_e32 v3, 0xcf800000, v5
	v_cvt_u32_f32_e32 v5, v5
	v_cvt_u32_f32_e32 v3, v3
	v_readfirstlane_b32 s41, v5
	v_readfirstlane_b32 s0, v3
	s_mul_i32 s1, s37, s41
	s_mul_hi_u32 s51, s37, s0
	s_mul_i32 s50, s40, s0
	s_add_i32 s1, s51, s1
	s_add_i32 s1, s1, s50
	s_mul_i32 s52, s37, s0
	s_mul_i32 s51, s0, s1
	s_mul_hi_u32 s53, s0, s52
	s_mul_hi_u32 s50, s0, s1
	s_add_u32 s51, s53, s51
	s_addc_u32 s50, 0, s50
	s_mul_hi_u32 s54, s41, s52
	s_mul_i32 s52, s41, s52
	s_add_u32 s51, s51, s52
	s_mul_hi_u32 s53, s41, s1
	s_addc_u32 s50, s50, s54
	s_addc_u32 s51, s53, 0
	s_mul_i32 s1, s41, s1
	s_add_u32 s1, s50, s1
	s_addc_u32 s50, 0, s51
	s_add_u32 s51, s0, s1
	s_cselect_b64 s[0:1], -1, 0
	s_cmp_lg_u64 s[0:1], 0
	s_addc_u32 s41, s41, s50
	s_mul_i32 s0, s37, s41
	s_mul_hi_u32 s1, s37, s51
	s_add_i32 s0, s1, s0
	s_mul_i32 s40, s40, s51
	s_add_i32 s0, s0, s40
	s_mul_i32 s37, s37, s51
	s_mul_hi_u32 s40, s41, s37
	s_mul_i32 s50, s41, s37
	s_mul_i32 s53, s51, s0
	s_mul_hi_u32 s37, s51, s37
	s_mul_hi_u32 s52, s51, s0
	s_add_u32 s37, s37, s53
	s_addc_u32 s52, 0, s52
	s_add_u32 s37, s37, s50
	s_mul_hi_u32 s1, s41, s0
	s_addc_u32 s37, s52, s40
	s_addc_u32 s1, s1, 0
	s_mul_i32 s0, s41, s0
	s_add_u32 s0, s37, s0
	s_addc_u32 s37, 0, s1
	s_add_u32 s40, s51, s0
	s_cselect_b64 s[0:1], -1, 0
	v_ashrrev_i32_e32 v3, 31, v7
	s_cmp_lg_u64 s[0:1], 0
	v_add_co_u32_e32 v5, vcc, v6, v3
	s_addc_u32 s37, s41, s37
	v_xor_b32_e32 v5, v5, v3
	v_addc_co_u32_e32 v9, vcc, v7, v3, vcc
	v_mad_u64_u32 v[7:8], s[0:1], v5, s37, 0
	v_mul_hi_u32 v10, v5, s40
	v_xor_b32_e32 v11, v9, v3
	v_xor_b32_e32 v3, s36, v3
	v_add_co_u32_e32 v12, vcc, v10, v7
	v_addc_co_u32_e32 v13, vcc, 0, v8, vcc
	v_mad_u64_u32 v[7:8], s[0:1], v11, s40, 0
	v_mad_u64_u32 v[9:10], s[0:1], v11, s37, 0
	v_add_co_u32_e32 v7, vcc, v12, v7
	v_addc_co_u32_e32 v7, vcc, v13, v8, vcc
	v_addc_co_u32_e32 v8, vcc, 0, v10, vcc
	v_add_co_u32_e32 v9, vcc, v7, v9
	v_addc_co_u32_e32 v10, vcc, 0, v8, vcc
	v_mul_lo_u32 v12, s39, v9
	v_mul_lo_u32 v13, s38, v10
	v_mad_u64_u32 v[7:8], s[0:1], s38, v9, 0
	v_add3_u32 v8, v8, v13, v12
	v_sub_u32_e32 v12, v11, v8
	v_mov_b32_e32 v13, s39
	v_sub_co_u32_e32 v5, vcc, v5, v7
	v_subb_co_u32_e64 v7, s[0:1], v12, v13, vcc
	v_subrev_co_u32_e64 v12, s[0:1], s38, v5
	v_subbrev_co_u32_e64 v7, s[0:1], 0, v7, s[0:1]
	v_cmp_le_u32_e64 s[0:1], s39, v7
	v_cndmask_b32_e64 v13, 0, -1, s[0:1]
	v_cmp_le_u32_e64 s[0:1], s38, v12
	v_cndmask_b32_e64 v12, 0, -1, s[0:1]
	v_cmp_eq_u32_e64 s[0:1], s39, v7
	v_cndmask_b32_e64 v7, v13, v12, s[0:1]
	v_add_co_u32_e64 v12, s[0:1], 2, v9
	v_subb_co_u32_e32 v8, vcc, v11, v8, vcc
	v_addc_co_u32_e64 v13, s[0:1], 0, v10, s[0:1]
	v_cmp_le_u32_e32 vcc, s39, v8
	v_add_co_u32_e64 v14, s[0:1], 1, v9
	v_cndmask_b32_e64 v11, 0, -1, vcc
	v_cmp_le_u32_e32 vcc, s38, v5
	v_addc_co_u32_e64 v15, s[0:1], 0, v10, s[0:1]
	v_cndmask_b32_e64 v5, 0, -1, vcc
	v_cmp_eq_u32_e32 vcc, s39, v8
	v_cmp_ne_u32_e64 s[0:1], 0, v7
	v_cndmask_b32_e32 v5, v11, v5, vcc
	v_cndmask_b32_e64 v7, v15, v13, s[0:1]
	v_cmp_ne_u32_e32 vcc, 0, v5
	v_cndmask_b32_e32 v5, v10, v7, vcc
	v_cndmask_b32_e64 v7, v14, v12, s[0:1]
	v_cndmask_b32_e32 v7, v9, v7, vcc
	v_xor_b32_e32 v7, v7, v3
	v_xor_b32_e32 v5, v5, v3
	v_sub_co_u32_e32 v8, vcc, v7, v3
	v_subb_co_u32_e32 v9, vcc, v5, v3, vcc
.LBB64_16:                              ;   in Loop: Header=BB64_14 Depth=2
	s_andn2_saveexec_b64 s[0:1], s[34:35]
	s_cbranch_execz .LBB64_18
; %bb.17:                               ;   in Loop: Header=BB64_14 Depth=2
	v_cvt_f32_u32_e32 v3, s28
	s_sub_i32 s34, 0, s28
	v_mov_b32_e32 v9, v2
	v_rcp_iflag_f32_e32 v3, v3
	v_mul_f32_e32 v3, 0x4f7ffffe, v3
	v_cvt_u32_f32_e32 v3, v3
	v_mul_lo_u32 v5, s34, v3
	v_mul_hi_u32 v5, v3, v5
	v_add_u32_e32 v3, v3, v5
	v_mul_hi_u32 v3, v6, v3
	v_mul_lo_u32 v5, v3, s28
	v_add_u32_e32 v7, 1, v3
	v_sub_u32_e32 v5, v6, v5
	v_subrev_u32_e32 v8, s28, v5
	v_cmp_le_u32_e32 vcc, s28, v5
	v_cndmask_b32_e32 v5, v5, v8, vcc
	v_cndmask_b32_e32 v3, v3, v7, vcc
	v_add_u32_e32 v7, 1, v3
	v_cmp_le_u32_e32 vcc, s28, v5
	v_cndmask_b32_e32 v8, v3, v7, vcc
.LBB64_18:                              ;   in Loop: Header=BB64_14 Depth=2
	s_or_b64 exec, exec, s[0:1]
	s_add_u32 s0, s4, s30
	s_addc_u32 s1, s5, s31
	v_mul_lo_u32 v3, v8, s28
	s_load_dword s0, s[0:1], 0x6c
	s_add_i32 s16, s16, -1
	s_add_i32 s25, s25, -1
	v_sub_u32_e32 v3, v6, v3
	s_cmp_lg_u32 s25, 0
	s_waitcnt lgkmcnt(0)
	v_mad_u64_u32 v[4:5], s[0:1], s0, v3, v[4:5]
	s_cbranch_scc0 .LBB64_20
; %bb.19:                               ;   in Loop: Header=BB64_14 Depth=2
	v_mov_b32_e32 v6, v8
	v_mov_b32_e32 v7, v9
	s_branch .LBB64_14
.LBB64_20:                              ;   in Loop: Header=BB64_3 Depth=1
	v_mov_b32_e32 v6, v8
	s_mov_b32 s0, s16
	v_mov_b32_e32 v7, v9
.LBB64_21:                              ;   in Loop: Header=BB64_3 Depth=1
	s_andn2_b64 vcc, exec, s[20:21]
	s_cbranch_vccnz .LBB64_57
; %bb.22:                               ;   in Loop: Header=BB64_3 Depth=1
	s_add_i32 s30, s0, -7
.LBB64_23:                              ;   Parent Loop BB64_3 Depth=1
                                        ; =>  This Inner Loop Header: Depth=2
	s_add_i32 s16, s30, 7
	s_lshl_b64 s[34:35], s[16:17], 2
	s_add_u32 s0, s42, s34
	s_addc_u32 s1, s43, s35
	s_load_dword s25, s[0:1], 0x8
                                        ; implicit-def: $vgpr8_vgpr9
	s_waitcnt lgkmcnt(0)
	s_ashr_i32 s0, s25, 31
	v_or_b32_e32 v3, s0, v7
	v_cmp_ne_u64_e32 vcc, 0, v[2:3]
	s_and_saveexec_b64 s[36:37], vcc
	s_xor_b64 s[36:37], exec, s[36:37]
	s_cbranch_execz .LBB64_25
; %bb.24:                               ;   in Loop: Header=BB64_23 Depth=2
	s_ashr_i32 s38, s0, 31
	s_add_u32 s40, s25, s38
	s_mov_b32 s39, s38
	s_addc_u32 s41, s0, s38
	s_xor_b64 s[40:41], s[40:41], s[38:39]
	v_cvt_f32_u32_e32 v3, s40
	v_cvt_f32_u32_e32 v5, s41
	s_sub_u32 s16, 0, s40
	s_subb_u32 s28, 0, s41
	v_mac_f32_e32 v3, 0x4f800000, v5
	v_rcp_f32_e32 v3, v3
	v_mul_f32_e32 v3, 0x5f7ffffc, v3
	v_mul_f32_e32 v5, 0x2f800000, v3
	v_trunc_f32_e32 v5, v5
	v_mac_f32_e32 v3, 0xcf800000, v5
	v_cvt_u32_f32_e32 v5, v5
	v_cvt_u32_f32_e32 v3, v3
	v_readfirstlane_b32 s31, v5
	v_readfirstlane_b32 s0, v3
	s_mul_i32 s1, s16, s31
	s_mul_hi_u32 s50, s16, s0
	s_mul_i32 s39, s28, s0
	s_add_i32 s1, s50, s1
	s_add_i32 s1, s1, s39
	s_mul_i32 s51, s16, s0
	s_mul_i32 s50, s0, s1
	s_mul_hi_u32 s52, s0, s51
	s_mul_hi_u32 s39, s0, s1
	s_add_u32 s50, s52, s50
	s_addc_u32 s39, 0, s39
	s_mul_hi_u32 s53, s31, s51
	s_mul_i32 s51, s31, s51
	s_add_u32 s50, s50, s51
	s_mul_hi_u32 s52, s31, s1
	s_addc_u32 s39, s39, s53
	s_addc_u32 s50, s52, 0
	s_mul_i32 s1, s31, s1
	s_add_u32 s1, s39, s1
	s_addc_u32 s39, 0, s50
	s_add_u32 s50, s0, s1
	s_cselect_b64 s[0:1], -1, 0
	s_cmp_lg_u64 s[0:1], 0
	s_addc_u32 s31, s31, s39
	s_mul_i32 s0, s16, s31
	s_mul_hi_u32 s1, s16, s50
	s_add_i32 s0, s1, s0
	s_mul_i32 s28, s28, s50
	s_add_i32 s0, s0, s28
	s_mul_i32 s16, s16, s50
	s_mul_hi_u32 s28, s31, s16
	s_mul_i32 s39, s31, s16
	s_mul_i32 s52, s50, s0
	s_mul_hi_u32 s16, s50, s16
	s_mul_hi_u32 s51, s50, s0
	s_add_u32 s16, s16, s52
	s_addc_u32 s51, 0, s51
	s_add_u32 s16, s16, s39
	s_mul_hi_u32 s1, s31, s0
	s_addc_u32 s16, s51, s28
	s_addc_u32 s1, s1, 0
	s_mul_i32 s0, s31, s0
	s_add_u32 s0, s16, s0
	s_addc_u32 s16, 0, s1
	s_add_u32 s28, s50, s0
	s_cselect_b64 s[0:1], -1, 0
	v_ashrrev_i32_e32 v3, 31, v7
	s_cmp_lg_u64 s[0:1], 0
	v_add_co_u32_e32 v5, vcc, v6, v3
	s_addc_u32 s16, s31, s16
	v_xor_b32_e32 v5, v5, v3
	v_addc_co_u32_e32 v9, vcc, v7, v3, vcc
	v_mad_u64_u32 v[7:8], s[0:1], v5, s16, 0
	v_mul_hi_u32 v10, v5, s28
	v_xor_b32_e32 v11, v9, v3
	v_xor_b32_e32 v3, s38, v3
	v_add_co_u32_e32 v12, vcc, v10, v7
	v_addc_co_u32_e32 v13, vcc, 0, v8, vcc
	v_mad_u64_u32 v[7:8], s[0:1], v11, s28, 0
	v_mad_u64_u32 v[9:10], s[0:1], v11, s16, 0
	v_add_co_u32_e32 v7, vcc, v12, v7
	v_addc_co_u32_e32 v7, vcc, v13, v8, vcc
	v_addc_co_u32_e32 v8, vcc, 0, v10, vcc
	v_add_co_u32_e32 v9, vcc, v7, v9
	v_addc_co_u32_e32 v10, vcc, 0, v8, vcc
	v_mul_lo_u32 v12, s41, v9
	v_mul_lo_u32 v13, s40, v10
	v_mad_u64_u32 v[7:8], s[0:1], s40, v9, 0
	v_add3_u32 v8, v8, v13, v12
	v_sub_u32_e32 v12, v11, v8
	v_mov_b32_e32 v13, s41
	v_sub_co_u32_e32 v5, vcc, v5, v7
	v_subb_co_u32_e64 v7, s[0:1], v12, v13, vcc
	v_subrev_co_u32_e64 v12, s[0:1], s40, v5
	v_subbrev_co_u32_e64 v7, s[0:1], 0, v7, s[0:1]
	v_cmp_le_u32_e64 s[0:1], s41, v7
	v_cndmask_b32_e64 v13, 0, -1, s[0:1]
	v_cmp_le_u32_e64 s[0:1], s40, v12
	v_cndmask_b32_e64 v12, 0, -1, s[0:1]
	v_cmp_eq_u32_e64 s[0:1], s41, v7
	v_cndmask_b32_e64 v7, v13, v12, s[0:1]
	v_add_co_u32_e64 v12, s[0:1], 2, v9
	v_subb_co_u32_e32 v8, vcc, v11, v8, vcc
	v_addc_co_u32_e64 v13, s[0:1], 0, v10, s[0:1]
	v_cmp_le_u32_e32 vcc, s41, v8
	v_add_co_u32_e64 v14, s[0:1], 1, v9
	v_cndmask_b32_e64 v11, 0, -1, vcc
	v_cmp_le_u32_e32 vcc, s40, v5
	v_addc_co_u32_e64 v15, s[0:1], 0, v10, s[0:1]
	v_cndmask_b32_e64 v5, 0, -1, vcc
	v_cmp_eq_u32_e32 vcc, s41, v8
	v_cmp_ne_u32_e64 s[0:1], 0, v7
	v_cndmask_b32_e32 v5, v11, v5, vcc
	v_cndmask_b32_e64 v7, v15, v13, s[0:1]
	v_cmp_ne_u32_e32 vcc, 0, v5
	v_cndmask_b32_e32 v5, v10, v7, vcc
	v_cndmask_b32_e64 v7, v14, v12, s[0:1]
	v_cndmask_b32_e32 v7, v9, v7, vcc
	v_xor_b32_e32 v7, v7, v3
	v_xor_b32_e32 v5, v5, v3
	v_sub_co_u32_e32 v8, vcc, v7, v3
	v_subb_co_u32_e32 v9, vcc, v5, v3, vcc
.LBB64_25:                              ;   in Loop: Header=BB64_23 Depth=2
	s_andn2_saveexec_b64 s[0:1], s[36:37]
	s_cbranch_execz .LBB64_27
; %bb.26:                               ;   in Loop: Header=BB64_23 Depth=2
	v_cvt_f32_u32_e32 v3, s25
	s_sub_i32 s16, 0, s25
	v_mov_b32_e32 v9, v2
	v_rcp_iflag_f32_e32 v3, v3
	v_mul_f32_e32 v3, 0x4f7ffffe, v3
	v_cvt_u32_f32_e32 v3, v3
	v_mul_lo_u32 v5, s16, v3
	v_mul_hi_u32 v5, v3, v5
	v_add_u32_e32 v3, v3, v5
	v_mul_hi_u32 v3, v6, v3
	v_mul_lo_u32 v5, v3, s25
	v_add_u32_e32 v7, 1, v3
	v_sub_u32_e32 v5, v6, v5
	v_subrev_u32_e32 v8, s25, v5
	v_cmp_le_u32_e32 vcc, s25, v5
	v_cndmask_b32_e32 v5, v5, v8, vcc
	v_cndmask_b32_e32 v3, v3, v7, vcc
	v_add_u32_e32 v7, 1, v3
	v_cmp_le_u32_e32 vcc, s25, v5
	v_cndmask_b32_e32 v8, v3, v7, vcc
.LBB64_27:                              ;   in Loop: Header=BB64_23 Depth=2
	s_or_b64 exec, exec, s[0:1]
	s_add_u32 s0, s4, s34
	s_addc_u32 s1, s5, s35
	s_add_i32 s16, s30, 6
	s_lshl_b64 s[34:35], s[16:17], 2
	s_add_u32 s36, s42, s34
	s_addc_u32 s37, s43, s35
	s_load_dword s50, s[36:37], 0x8
	s_load_dword s28, s[0:1], 0x6c
                                        ; implicit-def: $vgpr10_vgpr11
	s_waitcnt lgkmcnt(0)
	s_ashr_i32 s0, s50, 31
	v_or_b32_e32 v3, s0, v9
	v_cmp_ne_u64_e32 vcc, 0, v[2:3]
	s_and_saveexec_b64 s[36:37], vcc
	s_xor_b64 s[36:37], exec, s[36:37]
	s_cbranch_execz .LBB64_29
; %bb.28:                               ;   in Loop: Header=BB64_23 Depth=2
	s_ashr_i32 s38, s0, 31
	s_add_u32 s40, s50, s38
	s_mov_b32 s39, s38
	s_addc_u32 s41, s0, s38
	s_xor_b64 s[40:41], s[40:41], s[38:39]
	v_cvt_f32_u32_e32 v3, s40
	v_cvt_f32_u32_e32 v5, s41
	s_sub_u32 s16, 0, s40
	s_subb_u32 s31, 0, s41
	v_mac_f32_e32 v3, 0x4f800000, v5
	v_rcp_f32_e32 v3, v3
	v_mul_f32_e32 v3, 0x5f7ffffc, v3
	v_mul_f32_e32 v5, 0x2f800000, v3
	v_trunc_f32_e32 v5, v5
	v_mac_f32_e32 v3, 0xcf800000, v5
	v_cvt_u32_f32_e32 v5, v5
	v_cvt_u32_f32_e32 v3, v3
	v_readfirstlane_b32 s39, v5
	v_readfirstlane_b32 s0, v3
	s_mul_i32 s1, s16, s39
	s_mul_hi_u32 s52, s16, s0
	s_mul_i32 s51, s31, s0
	s_add_i32 s1, s52, s1
	s_add_i32 s1, s1, s51
	s_mul_i32 s53, s16, s0
	s_mul_i32 s52, s0, s1
	s_mul_hi_u32 s54, s0, s53
	s_mul_hi_u32 s51, s0, s1
	s_add_u32 s52, s54, s52
	s_addc_u32 s51, 0, s51
	s_mul_hi_u32 s55, s39, s53
	s_mul_i32 s53, s39, s53
	s_add_u32 s52, s52, s53
	s_mul_hi_u32 s54, s39, s1
	s_addc_u32 s51, s51, s55
	s_addc_u32 s52, s54, 0
	s_mul_i32 s1, s39, s1
	s_add_u32 s1, s51, s1
	s_addc_u32 s51, 0, s52
	s_add_u32 s52, s0, s1
	s_cselect_b64 s[0:1], -1, 0
	s_cmp_lg_u64 s[0:1], 0
	s_addc_u32 s39, s39, s51
	s_mul_i32 s0, s16, s39
	s_mul_hi_u32 s1, s16, s52
	s_add_i32 s0, s1, s0
	s_mul_i32 s31, s31, s52
	s_add_i32 s0, s0, s31
	s_mul_i32 s16, s16, s52
	s_mul_hi_u32 s31, s39, s16
	s_mul_i32 s51, s39, s16
	s_mul_i32 s54, s52, s0
	s_mul_hi_u32 s16, s52, s16
	s_mul_hi_u32 s53, s52, s0
	s_add_u32 s16, s16, s54
	s_addc_u32 s53, 0, s53
	s_add_u32 s16, s16, s51
	s_mul_hi_u32 s1, s39, s0
	s_addc_u32 s16, s53, s31
	s_addc_u32 s1, s1, 0
	s_mul_i32 s0, s39, s0
	s_add_u32 s0, s16, s0
	s_addc_u32 s16, 0, s1
	s_add_u32 s31, s52, s0
	s_cselect_b64 s[0:1], -1, 0
	v_ashrrev_i32_e32 v3, 31, v9
	s_cmp_lg_u64 s[0:1], 0
	v_add_co_u32_e32 v5, vcc, v8, v3
	s_addc_u32 s16, s39, s16
	v_xor_b32_e32 v5, v5, v3
	v_addc_co_u32_e32 v7, vcc, v9, v3, vcc
	v_mad_u64_u32 v[9:10], s[0:1], v5, s16, 0
	v_mul_hi_u32 v11, v5, s31
	v_xor_b32_e32 v7, v7, v3
	v_xor_b32_e32 v3, s38, v3
	v_add_co_u32_e32 v13, vcc, v11, v9
	v_addc_co_u32_e32 v14, vcc, 0, v10, vcc
	v_mad_u64_u32 v[9:10], s[0:1], v7, s31, 0
	v_mad_u64_u32 v[11:12], s[0:1], v7, s16, 0
	v_add_co_u32_e32 v9, vcc, v13, v9
	v_addc_co_u32_e32 v9, vcc, v14, v10, vcc
	v_addc_co_u32_e32 v10, vcc, 0, v12, vcc
	v_add_co_u32_e32 v11, vcc, v9, v11
	v_addc_co_u32_e32 v12, vcc, 0, v10, vcc
	v_mul_lo_u32 v13, s41, v11
	v_mul_lo_u32 v14, s40, v12
	v_mad_u64_u32 v[9:10], s[0:1], s40, v11, 0
	v_add3_u32 v10, v10, v14, v13
	v_sub_u32_e32 v13, v7, v10
	v_mov_b32_e32 v14, s41
	v_sub_co_u32_e32 v5, vcc, v5, v9
	v_subb_co_u32_e64 v9, s[0:1], v13, v14, vcc
	v_subrev_co_u32_e64 v13, s[0:1], s40, v5
	v_subbrev_co_u32_e64 v9, s[0:1], 0, v9, s[0:1]
	v_cmp_le_u32_e64 s[0:1], s41, v9
	v_cndmask_b32_e64 v14, 0, -1, s[0:1]
	v_cmp_le_u32_e64 s[0:1], s40, v13
	v_cndmask_b32_e64 v13, 0, -1, s[0:1]
	v_cmp_eq_u32_e64 s[0:1], s41, v9
	v_cndmask_b32_e64 v9, v14, v13, s[0:1]
	v_add_co_u32_e64 v13, s[0:1], 2, v11
	v_subb_co_u32_e32 v7, vcc, v7, v10, vcc
	v_addc_co_u32_e64 v14, s[0:1], 0, v12, s[0:1]
	v_cmp_le_u32_e32 vcc, s41, v7
	v_add_co_u32_e64 v15, s[0:1], 1, v11
	v_cndmask_b32_e64 v10, 0, -1, vcc
	v_cmp_le_u32_e32 vcc, s40, v5
	v_addc_co_u32_e64 v16, s[0:1], 0, v12, s[0:1]
	v_cndmask_b32_e64 v5, 0, -1, vcc
	v_cmp_eq_u32_e32 vcc, s41, v7
	v_cmp_ne_u32_e64 s[0:1], 0, v9
	v_cndmask_b32_e32 v5, v10, v5, vcc
	v_cmp_ne_u32_e32 vcc, 0, v5
	v_cndmask_b32_e64 v7, v15, v13, s[0:1]
	v_cndmask_b32_e64 v9, v16, v14, s[0:1]
	v_cndmask_b32_e32 v7, v11, v7, vcc
	v_cndmask_b32_e32 v5, v12, v9, vcc
	v_xor_b32_e32 v7, v7, v3
	v_xor_b32_e32 v5, v5, v3
	v_sub_co_u32_e32 v10, vcc, v7, v3
	v_subb_co_u32_e32 v11, vcc, v5, v3, vcc
.LBB64_29:                              ;   in Loop: Header=BB64_23 Depth=2
	s_andn2_saveexec_b64 s[0:1], s[36:37]
	s_cbranch_execz .LBB64_31
; %bb.30:                               ;   in Loop: Header=BB64_23 Depth=2
	v_cvt_f32_u32_e32 v3, s50
	s_sub_i32 s16, 0, s50
	v_mov_b32_e32 v11, v2
	v_rcp_iflag_f32_e32 v3, v3
	v_mul_f32_e32 v3, 0x4f7ffffe, v3
	v_cvt_u32_f32_e32 v3, v3
	v_mul_lo_u32 v5, s16, v3
	v_mul_hi_u32 v5, v3, v5
	v_add_u32_e32 v3, v3, v5
	v_mul_hi_u32 v3, v8, v3
	v_mul_lo_u32 v5, v3, s50
	v_add_u32_e32 v7, 1, v3
	v_sub_u32_e32 v5, v8, v5
	v_subrev_u32_e32 v9, s50, v5
	v_cmp_le_u32_e32 vcc, s50, v5
	v_cndmask_b32_e32 v5, v5, v9, vcc
	v_cndmask_b32_e32 v3, v3, v7, vcc
	v_add_u32_e32 v7, 1, v3
	v_cmp_le_u32_e32 vcc, s50, v5
	v_cndmask_b32_e32 v10, v3, v7, vcc
.LBB64_31:                              ;   in Loop: Header=BB64_23 Depth=2
	s_or_b64 exec, exec, s[0:1]
	s_add_u32 s0, s4, s34
	s_addc_u32 s1, s5, s35
	s_add_i32 s16, s30, 5
	s_lshl_b64 s[34:35], s[16:17], 2
	s_add_u32 s36, s42, s34
	s_addc_u32 s37, s43, s35
	s_load_dword s52, s[36:37], 0x8
	s_load_dword s51, s[0:1], 0x6c
                                        ; implicit-def: $vgpr12_vgpr13
	s_waitcnt lgkmcnt(0)
	s_ashr_i32 s0, s52, 31
	v_or_b32_e32 v3, s0, v11
	v_cmp_ne_u64_e32 vcc, 0, v[2:3]
	s_and_saveexec_b64 s[36:37], vcc
	s_xor_b64 s[36:37], exec, s[36:37]
	s_cbranch_execz .LBB64_33
; %bb.32:                               ;   in Loop: Header=BB64_23 Depth=2
	s_ashr_i32 s38, s0, 31
	s_add_u32 s40, s52, s38
	s_mov_b32 s39, s38
	s_addc_u32 s41, s0, s38
	s_xor_b64 s[40:41], s[40:41], s[38:39]
	v_cvt_f32_u32_e32 v3, s40
	v_cvt_f32_u32_e32 v5, s41
	s_sub_u32 s16, 0, s40
	s_subb_u32 s31, 0, s41
	v_mac_f32_e32 v3, 0x4f800000, v5
	v_rcp_f32_e32 v3, v3
	v_mul_f32_e32 v3, 0x5f7ffffc, v3
	v_mul_f32_e32 v5, 0x2f800000, v3
	v_trunc_f32_e32 v5, v5
	v_mac_f32_e32 v3, 0xcf800000, v5
	v_cvt_u32_f32_e32 v5, v5
	v_cvt_u32_f32_e32 v3, v3
	v_readfirstlane_b32 s39, v5
	v_readfirstlane_b32 s0, v3
	s_mul_i32 s1, s16, s39
	s_mul_hi_u32 s54, s16, s0
	s_mul_i32 s53, s31, s0
	s_add_i32 s1, s54, s1
	s_add_i32 s1, s1, s53
	s_mul_i32 s55, s16, s0
	s_mul_i32 s54, s0, s1
	s_mul_hi_u32 s56, s0, s55
	s_mul_hi_u32 s53, s0, s1
	s_add_u32 s54, s56, s54
	s_addc_u32 s53, 0, s53
	s_mul_hi_u32 s57, s39, s55
	s_mul_i32 s55, s39, s55
	s_add_u32 s54, s54, s55
	s_mul_hi_u32 s56, s39, s1
	s_addc_u32 s53, s53, s57
	s_addc_u32 s54, s56, 0
	s_mul_i32 s1, s39, s1
	s_add_u32 s1, s53, s1
	s_addc_u32 s53, 0, s54
	s_add_u32 s54, s0, s1
	s_cselect_b64 s[0:1], -1, 0
	s_cmp_lg_u64 s[0:1], 0
	s_addc_u32 s39, s39, s53
	s_mul_i32 s0, s16, s39
	s_mul_hi_u32 s1, s16, s54
	s_add_i32 s0, s1, s0
	s_mul_i32 s31, s31, s54
	s_add_i32 s0, s0, s31
	s_mul_i32 s16, s16, s54
	s_mul_hi_u32 s31, s39, s16
	s_mul_i32 s53, s39, s16
	s_mul_i32 s56, s54, s0
	s_mul_hi_u32 s16, s54, s16
	s_mul_hi_u32 s55, s54, s0
	s_add_u32 s16, s16, s56
	s_addc_u32 s55, 0, s55
	s_add_u32 s16, s16, s53
	s_mul_hi_u32 s1, s39, s0
	s_addc_u32 s16, s55, s31
	s_addc_u32 s1, s1, 0
	s_mul_i32 s0, s39, s0
	s_add_u32 s0, s16, s0
	s_addc_u32 s16, 0, s1
	s_add_u32 s31, s54, s0
	s_cselect_b64 s[0:1], -1, 0
	v_ashrrev_i32_e32 v3, 31, v11
	s_cmp_lg_u64 s[0:1], 0
	v_add_co_u32_e32 v5, vcc, v10, v3
	s_addc_u32 s16, s39, s16
	v_xor_b32_e32 v5, v5, v3
	v_addc_co_u32_e32 v7, vcc, v11, v3, vcc
	v_mad_u64_u32 v[11:12], s[0:1], v5, s16, 0
	v_mul_hi_u32 v9, v5, s31
	v_xor_b32_e32 v7, v7, v3
	v_mad_u64_u32 v[13:14], s[0:1], v7, s16, 0
	v_add_co_u32_e32 v9, vcc, v9, v11
	v_addc_co_u32_e32 v15, vcc, 0, v12, vcc
	v_mad_u64_u32 v[11:12], s[0:1], v7, s31, 0
	v_xor_b32_e32 v3, s38, v3
	v_add_co_u32_e32 v9, vcc, v9, v11
	v_addc_co_u32_e32 v9, vcc, v15, v12, vcc
	v_addc_co_u32_e32 v11, vcc, 0, v14, vcc
	v_add_co_u32_e32 v9, vcc, v9, v13
	v_addc_co_u32_e32 v13, vcc, 0, v11, vcc
	v_mul_lo_u32 v14, s41, v9
	v_mul_lo_u32 v15, s40, v13
	v_mad_u64_u32 v[11:12], s[0:1], s40, v9, 0
	v_add3_u32 v12, v12, v15, v14
	v_sub_u32_e32 v14, v7, v12
	v_mov_b32_e32 v15, s41
	v_sub_co_u32_e32 v5, vcc, v5, v11
	v_subb_co_u32_e64 v11, s[0:1], v14, v15, vcc
	v_subrev_co_u32_e64 v14, s[0:1], s40, v5
	v_subbrev_co_u32_e64 v11, s[0:1], 0, v11, s[0:1]
	v_cmp_le_u32_e64 s[0:1], s41, v11
	v_cndmask_b32_e64 v15, 0, -1, s[0:1]
	v_cmp_le_u32_e64 s[0:1], s40, v14
	v_cndmask_b32_e64 v14, 0, -1, s[0:1]
	v_cmp_eq_u32_e64 s[0:1], s41, v11
	v_cndmask_b32_e64 v11, v15, v14, s[0:1]
	v_add_co_u32_e64 v14, s[0:1], 2, v9
	v_subb_co_u32_e32 v7, vcc, v7, v12, vcc
	v_addc_co_u32_e64 v15, s[0:1], 0, v13, s[0:1]
	v_cmp_le_u32_e32 vcc, s41, v7
	v_add_co_u32_e64 v16, s[0:1], 1, v9
	v_cndmask_b32_e64 v12, 0, -1, vcc
	v_cmp_le_u32_e32 vcc, s40, v5
	v_addc_co_u32_e64 v17, s[0:1], 0, v13, s[0:1]
	v_cndmask_b32_e64 v5, 0, -1, vcc
	v_cmp_eq_u32_e32 vcc, s41, v7
	v_cmp_ne_u32_e64 s[0:1], 0, v11
	v_cndmask_b32_e32 v5, v12, v5, vcc
	v_cmp_ne_u32_e32 vcc, 0, v5
	v_cndmask_b32_e64 v7, v16, v14, s[0:1]
	v_cndmask_b32_e64 v11, v17, v15, s[0:1]
	v_cndmask_b32_e32 v7, v9, v7, vcc
	v_cndmask_b32_e32 v5, v13, v11, vcc
	v_xor_b32_e32 v7, v7, v3
	v_xor_b32_e32 v5, v5, v3
	v_sub_co_u32_e32 v12, vcc, v7, v3
	v_subb_co_u32_e32 v13, vcc, v5, v3, vcc
.LBB64_33:                              ;   in Loop: Header=BB64_23 Depth=2
	s_andn2_saveexec_b64 s[0:1], s[36:37]
	s_cbranch_execz .LBB64_35
; %bb.34:                               ;   in Loop: Header=BB64_23 Depth=2
	v_cvt_f32_u32_e32 v3, s52
	s_sub_i32 s16, 0, s52
	v_mov_b32_e32 v13, v2
	v_rcp_iflag_f32_e32 v3, v3
	v_mul_f32_e32 v3, 0x4f7ffffe, v3
	v_cvt_u32_f32_e32 v3, v3
	v_mul_lo_u32 v5, s16, v3
	v_mul_hi_u32 v5, v3, v5
	v_add_u32_e32 v3, v3, v5
	v_mul_hi_u32 v3, v10, v3
	v_mul_lo_u32 v5, v3, s52
	v_add_u32_e32 v7, 1, v3
	v_sub_u32_e32 v5, v10, v5
	v_subrev_u32_e32 v9, s52, v5
	v_cmp_le_u32_e32 vcc, s52, v5
	v_cndmask_b32_e32 v5, v5, v9, vcc
	v_cndmask_b32_e32 v3, v3, v7, vcc
	v_add_u32_e32 v7, 1, v3
	v_cmp_le_u32_e32 vcc, s52, v5
	v_cndmask_b32_e32 v12, v3, v7, vcc
.LBB64_35:                              ;   in Loop: Header=BB64_23 Depth=2
	s_or_b64 exec, exec, s[0:1]
	s_add_u32 s0, s4, s34
	s_addc_u32 s1, s5, s35
	s_add_i32 s16, s30, 4
	s_lshl_b64 s[34:35], s[16:17], 2
	s_add_u32 s36, s42, s34
	s_addc_u32 s37, s43, s35
	s_load_dword s54, s[36:37], 0x8
	s_load_dword s53, s[0:1], 0x6c
                                        ; implicit-def: $vgpr14_vgpr15
	s_waitcnt lgkmcnt(0)
	s_ashr_i32 s0, s54, 31
	v_or_b32_e32 v3, s0, v13
	v_cmp_ne_u64_e32 vcc, 0, v[2:3]
	s_and_saveexec_b64 s[36:37], vcc
	s_xor_b64 s[36:37], exec, s[36:37]
	s_cbranch_execz .LBB64_37
; %bb.36:                               ;   in Loop: Header=BB64_23 Depth=2
	s_ashr_i32 s38, s0, 31
	s_add_u32 s40, s54, s38
	s_mov_b32 s39, s38
	s_addc_u32 s41, s0, s38
	s_xor_b64 s[40:41], s[40:41], s[38:39]
	v_cvt_f32_u32_e32 v3, s40
	v_cvt_f32_u32_e32 v5, s41
	s_sub_u32 s16, 0, s40
	s_subb_u32 s31, 0, s41
	v_mac_f32_e32 v3, 0x4f800000, v5
	v_rcp_f32_e32 v3, v3
	v_mul_f32_e32 v3, 0x5f7ffffc, v3
	v_mul_f32_e32 v5, 0x2f800000, v3
	v_trunc_f32_e32 v5, v5
	v_mac_f32_e32 v3, 0xcf800000, v5
	v_cvt_u32_f32_e32 v5, v5
	v_cvt_u32_f32_e32 v3, v3
	v_readfirstlane_b32 s39, v5
	v_readfirstlane_b32 s0, v3
	s_mul_i32 s1, s16, s39
	s_mul_hi_u32 s56, s16, s0
	s_mul_i32 s55, s31, s0
	s_add_i32 s1, s56, s1
	s_add_i32 s1, s1, s55
	s_mul_i32 s57, s16, s0
	s_mul_i32 s56, s0, s1
	s_mul_hi_u32 s58, s0, s57
	s_mul_hi_u32 s55, s0, s1
	s_add_u32 s56, s58, s56
	s_addc_u32 s55, 0, s55
	s_mul_hi_u32 s59, s39, s57
	s_mul_i32 s57, s39, s57
	s_add_u32 s56, s56, s57
	s_mul_hi_u32 s58, s39, s1
	s_addc_u32 s55, s55, s59
	s_addc_u32 s56, s58, 0
	s_mul_i32 s1, s39, s1
	s_add_u32 s1, s55, s1
	s_addc_u32 s55, 0, s56
	s_add_u32 s56, s0, s1
	s_cselect_b64 s[0:1], -1, 0
	s_cmp_lg_u64 s[0:1], 0
	s_addc_u32 s39, s39, s55
	s_mul_i32 s0, s16, s39
	s_mul_hi_u32 s1, s16, s56
	s_add_i32 s0, s1, s0
	s_mul_i32 s31, s31, s56
	s_add_i32 s0, s0, s31
	s_mul_i32 s16, s16, s56
	s_mul_hi_u32 s31, s39, s16
	s_mul_i32 s55, s39, s16
	s_mul_i32 s58, s56, s0
	s_mul_hi_u32 s16, s56, s16
	s_mul_hi_u32 s57, s56, s0
	s_add_u32 s16, s16, s58
	s_addc_u32 s57, 0, s57
	s_add_u32 s16, s16, s55
	s_mul_hi_u32 s1, s39, s0
	s_addc_u32 s16, s57, s31
	s_addc_u32 s1, s1, 0
	s_mul_i32 s0, s39, s0
	s_add_u32 s0, s16, s0
	s_addc_u32 s16, 0, s1
	s_add_u32 s31, s56, s0
	s_cselect_b64 s[0:1], -1, 0
	v_ashrrev_i32_e32 v3, 31, v13
	s_cmp_lg_u64 s[0:1], 0
	v_add_co_u32_e32 v5, vcc, v12, v3
	s_addc_u32 s16, s39, s16
	v_xor_b32_e32 v5, v5, v3
	v_addc_co_u32_e32 v7, vcc, v13, v3, vcc
	v_mad_u64_u32 v[13:14], s[0:1], v5, s16, 0
	v_mul_hi_u32 v9, v5, s31
	v_xor_b32_e32 v7, v7, v3
	v_mad_u64_u32 v[15:16], s[0:1], v7, s16, 0
	v_add_co_u32_e32 v9, vcc, v9, v13
	v_addc_co_u32_e32 v11, vcc, 0, v14, vcc
	v_mad_u64_u32 v[13:14], s[0:1], v7, s31, 0
	v_xor_b32_e32 v3, s38, v3
	v_add_co_u32_e32 v9, vcc, v9, v13
	v_addc_co_u32_e32 v9, vcc, v11, v14, vcc
	v_addc_co_u32_e32 v11, vcc, 0, v16, vcc
	v_add_co_u32_e32 v9, vcc, v9, v15
	v_addc_co_u32_e32 v11, vcc, 0, v11, vcc
	v_mul_lo_u32 v15, s41, v9
	v_mul_lo_u32 v16, s40, v11
	v_mad_u64_u32 v[13:14], s[0:1], s40, v9, 0
	v_add3_u32 v14, v14, v16, v15
	v_sub_u32_e32 v15, v7, v14
	v_mov_b32_e32 v16, s41
	v_sub_co_u32_e32 v5, vcc, v5, v13
	v_subb_co_u32_e64 v13, s[0:1], v15, v16, vcc
	v_subrev_co_u32_e64 v15, s[0:1], s40, v5
	v_subbrev_co_u32_e64 v13, s[0:1], 0, v13, s[0:1]
	v_cmp_le_u32_e64 s[0:1], s41, v13
	v_cndmask_b32_e64 v16, 0, -1, s[0:1]
	v_cmp_le_u32_e64 s[0:1], s40, v15
	v_cndmask_b32_e64 v15, 0, -1, s[0:1]
	v_cmp_eq_u32_e64 s[0:1], s41, v13
	v_cndmask_b32_e64 v13, v16, v15, s[0:1]
	v_add_co_u32_e64 v15, s[0:1], 2, v9
	v_subb_co_u32_e32 v7, vcc, v7, v14, vcc
	v_addc_co_u32_e64 v16, s[0:1], 0, v11, s[0:1]
	v_cmp_le_u32_e32 vcc, s41, v7
	v_add_co_u32_e64 v17, s[0:1], 1, v9
	v_cndmask_b32_e64 v14, 0, -1, vcc
	v_cmp_le_u32_e32 vcc, s40, v5
	v_addc_co_u32_e64 v18, s[0:1], 0, v11, s[0:1]
	v_cndmask_b32_e64 v5, 0, -1, vcc
	v_cmp_eq_u32_e32 vcc, s41, v7
	v_cmp_ne_u32_e64 s[0:1], 0, v13
	v_cndmask_b32_e32 v5, v14, v5, vcc
	v_cmp_ne_u32_e32 vcc, 0, v5
	v_cndmask_b32_e64 v7, v17, v15, s[0:1]
	v_cndmask_b32_e64 v13, v18, v16, s[0:1]
	v_cndmask_b32_e32 v7, v9, v7, vcc
	v_cndmask_b32_e32 v5, v11, v13, vcc
	v_xor_b32_e32 v7, v7, v3
	v_xor_b32_e32 v5, v5, v3
	v_sub_co_u32_e32 v14, vcc, v7, v3
	v_subb_co_u32_e32 v15, vcc, v5, v3, vcc
.LBB64_37:                              ;   in Loop: Header=BB64_23 Depth=2
	s_andn2_saveexec_b64 s[0:1], s[36:37]
	s_cbranch_execz .LBB64_39
; %bb.38:                               ;   in Loop: Header=BB64_23 Depth=2
	v_cvt_f32_u32_e32 v3, s54
	s_sub_i32 s16, 0, s54
	v_mov_b32_e32 v15, v2
	v_rcp_iflag_f32_e32 v3, v3
	v_mul_f32_e32 v3, 0x4f7ffffe, v3
	v_cvt_u32_f32_e32 v3, v3
	v_mul_lo_u32 v5, s16, v3
	v_mul_hi_u32 v5, v3, v5
	v_add_u32_e32 v3, v3, v5
	v_mul_hi_u32 v3, v12, v3
	v_mul_lo_u32 v5, v3, s54
	v_add_u32_e32 v7, 1, v3
	v_sub_u32_e32 v5, v12, v5
	v_subrev_u32_e32 v9, s54, v5
	v_cmp_le_u32_e32 vcc, s54, v5
	v_cndmask_b32_e32 v5, v5, v9, vcc
	v_cndmask_b32_e32 v3, v3, v7, vcc
	v_add_u32_e32 v7, 1, v3
	v_cmp_le_u32_e32 vcc, s54, v5
	v_cndmask_b32_e32 v14, v3, v7, vcc
.LBB64_39:                              ;   in Loop: Header=BB64_23 Depth=2
	s_or_b64 exec, exec, s[0:1]
	s_add_u32 s0, s4, s34
	s_addc_u32 s1, s5, s35
	s_add_i32 s16, s30, 3
	s_lshl_b64 s[34:35], s[16:17], 2
	s_add_u32 s36, s42, s34
	s_addc_u32 s37, s43, s35
	s_load_dword s55, s[36:37], 0x8
	s_load_dword s56, s[0:1], 0x6c
                                        ; implicit-def: $vgpr16_vgpr17
	s_waitcnt lgkmcnt(0)
	s_ashr_i32 s0, s55, 31
	v_or_b32_e32 v3, s0, v15
	v_cmp_ne_u64_e32 vcc, 0, v[2:3]
	s_and_saveexec_b64 s[36:37], vcc
	s_xor_b64 s[36:37], exec, s[36:37]
	s_cbranch_execz .LBB64_41
; %bb.40:                               ;   in Loop: Header=BB64_23 Depth=2
	s_ashr_i32 s38, s0, 31
	s_add_u32 s40, s55, s38
	s_mov_b32 s39, s38
	s_addc_u32 s41, s0, s38
	s_xor_b64 s[40:41], s[40:41], s[38:39]
	v_cvt_f32_u32_e32 v3, s40
	v_cvt_f32_u32_e32 v5, s41
	s_sub_u32 s16, 0, s40
	s_subb_u32 s31, 0, s41
	v_mac_f32_e32 v3, 0x4f800000, v5
	v_rcp_f32_e32 v3, v3
	v_mul_f32_e32 v3, 0x5f7ffffc, v3
	v_mul_f32_e32 v5, 0x2f800000, v3
	v_trunc_f32_e32 v5, v5
	v_mac_f32_e32 v3, 0xcf800000, v5
	v_cvt_u32_f32_e32 v5, v5
	v_cvt_u32_f32_e32 v3, v3
	v_readfirstlane_b32 s39, v5
	v_readfirstlane_b32 s0, v3
	s_mul_i32 s1, s16, s39
	s_mul_hi_u32 s58, s16, s0
	s_mul_i32 s57, s31, s0
	s_add_i32 s1, s58, s1
	s_add_i32 s1, s1, s57
	s_mul_i32 s59, s16, s0
	s_mul_i32 s58, s0, s1
	s_mul_hi_u32 s60, s0, s59
	s_mul_hi_u32 s57, s0, s1
	s_add_u32 s58, s60, s58
	s_addc_u32 s57, 0, s57
	s_mul_hi_u32 s61, s39, s59
	s_mul_i32 s59, s39, s59
	s_add_u32 s58, s58, s59
	s_mul_hi_u32 s60, s39, s1
	s_addc_u32 s57, s57, s61
	s_addc_u32 s58, s60, 0
	s_mul_i32 s1, s39, s1
	s_add_u32 s1, s57, s1
	s_addc_u32 s57, 0, s58
	s_add_u32 s58, s0, s1
	s_cselect_b64 s[0:1], -1, 0
	s_cmp_lg_u64 s[0:1], 0
	s_addc_u32 s39, s39, s57
	s_mul_i32 s0, s16, s39
	s_mul_hi_u32 s1, s16, s58
	s_add_i32 s0, s1, s0
	s_mul_i32 s31, s31, s58
	s_add_i32 s0, s0, s31
	s_mul_i32 s16, s16, s58
	s_mul_hi_u32 s31, s39, s16
	s_mul_i32 s57, s39, s16
	s_mul_i32 s60, s58, s0
	s_mul_hi_u32 s16, s58, s16
	s_mul_hi_u32 s59, s58, s0
	s_add_u32 s16, s16, s60
	s_addc_u32 s59, 0, s59
	s_add_u32 s16, s16, s57
	s_mul_hi_u32 s1, s39, s0
	s_addc_u32 s16, s59, s31
	s_addc_u32 s1, s1, 0
	s_mul_i32 s0, s39, s0
	s_add_u32 s0, s16, s0
	s_addc_u32 s16, 0, s1
	s_add_u32 s31, s58, s0
	s_cselect_b64 s[0:1], -1, 0
	v_ashrrev_i32_e32 v3, 31, v15
	s_cmp_lg_u64 s[0:1], 0
	v_add_co_u32_e32 v5, vcc, v14, v3
	s_addc_u32 s16, s39, s16
	v_xor_b32_e32 v5, v5, v3
	v_addc_co_u32_e32 v7, vcc, v15, v3, vcc
	v_mad_u64_u32 v[15:16], s[0:1], v5, s16, 0
	v_mul_hi_u32 v9, v5, s31
	v_xor_b32_e32 v7, v7, v3
	v_mad_u64_u32 v[17:18], s[0:1], v7, s16, 0
	v_add_co_u32_e32 v9, vcc, v9, v15
	v_addc_co_u32_e32 v11, vcc, 0, v16, vcc
	v_mad_u64_u32 v[15:16], s[0:1], v7, s31, 0
	v_xor_b32_e32 v3, s38, v3
	v_add_co_u32_e32 v9, vcc, v9, v15
	v_addc_co_u32_e32 v9, vcc, v11, v16, vcc
	v_addc_co_u32_e32 v11, vcc, 0, v18, vcc
	v_add_co_u32_e32 v9, vcc, v9, v17
	v_addc_co_u32_e32 v11, vcc, 0, v11, vcc
	v_mul_lo_u32 v13, s41, v9
	v_mul_lo_u32 v17, s40, v11
	v_mad_u64_u32 v[15:16], s[0:1], s40, v9, 0
	v_add3_u32 v13, v16, v17, v13
	v_sub_u32_e32 v16, v7, v13
	v_mov_b32_e32 v17, s41
	v_sub_co_u32_e32 v5, vcc, v5, v15
	v_subb_co_u32_e64 v15, s[0:1], v16, v17, vcc
	v_subrev_co_u32_e64 v16, s[0:1], s40, v5
	v_subbrev_co_u32_e64 v15, s[0:1], 0, v15, s[0:1]
	v_cmp_le_u32_e64 s[0:1], s41, v15
	v_cndmask_b32_e64 v17, 0, -1, s[0:1]
	v_cmp_le_u32_e64 s[0:1], s40, v16
	v_cndmask_b32_e64 v16, 0, -1, s[0:1]
	v_cmp_eq_u32_e64 s[0:1], s41, v15
	v_cndmask_b32_e64 v15, v17, v16, s[0:1]
	v_add_co_u32_e64 v16, s[0:1], 2, v9
	v_subb_co_u32_e32 v7, vcc, v7, v13, vcc
	v_addc_co_u32_e64 v17, s[0:1], 0, v11, s[0:1]
	v_cmp_le_u32_e32 vcc, s41, v7
	v_add_co_u32_e64 v18, s[0:1], 1, v9
	v_cndmask_b32_e64 v13, 0, -1, vcc
	v_cmp_le_u32_e32 vcc, s40, v5
	v_addc_co_u32_e64 v19, s[0:1], 0, v11, s[0:1]
	v_cndmask_b32_e64 v5, 0, -1, vcc
	v_cmp_eq_u32_e32 vcc, s41, v7
	v_cmp_ne_u32_e64 s[0:1], 0, v15
	v_cndmask_b32_e32 v5, v13, v5, vcc
	v_cmp_ne_u32_e32 vcc, 0, v5
	v_cndmask_b32_e64 v7, v18, v16, s[0:1]
	v_cndmask_b32_e64 v15, v19, v17, s[0:1]
	v_cndmask_b32_e32 v7, v9, v7, vcc
	v_cndmask_b32_e32 v5, v11, v15, vcc
	v_xor_b32_e32 v7, v7, v3
	v_xor_b32_e32 v5, v5, v3
	v_sub_co_u32_e32 v16, vcc, v7, v3
	v_subb_co_u32_e32 v17, vcc, v5, v3, vcc
.LBB64_41:                              ;   in Loop: Header=BB64_23 Depth=2
	s_andn2_saveexec_b64 s[0:1], s[36:37]
	s_cbranch_execz .LBB64_43
; %bb.42:                               ;   in Loop: Header=BB64_23 Depth=2
	v_cvt_f32_u32_e32 v3, s55
	s_sub_i32 s16, 0, s55
	v_mov_b32_e32 v17, v2
	v_rcp_iflag_f32_e32 v3, v3
	v_mul_f32_e32 v3, 0x4f7ffffe, v3
	v_cvt_u32_f32_e32 v3, v3
	v_mul_lo_u32 v5, s16, v3
	v_mul_hi_u32 v5, v3, v5
	v_add_u32_e32 v3, v3, v5
	v_mul_hi_u32 v3, v14, v3
	v_mul_lo_u32 v5, v3, s55
	v_add_u32_e32 v7, 1, v3
	v_sub_u32_e32 v5, v14, v5
	v_subrev_u32_e32 v9, s55, v5
	v_cmp_le_u32_e32 vcc, s55, v5
	v_cndmask_b32_e32 v5, v5, v9, vcc
	v_cndmask_b32_e32 v3, v3, v7, vcc
	v_add_u32_e32 v7, 1, v3
	v_cmp_le_u32_e32 vcc, s55, v5
	v_cndmask_b32_e32 v16, v3, v7, vcc
.LBB64_43:                              ;   in Loop: Header=BB64_23 Depth=2
	s_or_b64 exec, exec, s[0:1]
	s_add_u32 s0, s4, s34
	s_addc_u32 s1, s5, s35
	s_add_i32 s16, s30, 2
	s_lshl_b64 s[34:35], s[16:17], 2
	s_add_u32 s36, s42, s34
	s_addc_u32 s37, s43, s35
	s_load_dword s58, s[36:37], 0x8
	s_load_dword s57, s[0:1], 0x6c
                                        ; implicit-def: $vgpr18_vgpr19
	s_waitcnt lgkmcnt(0)
	s_ashr_i32 s0, s58, 31
	v_or_b32_e32 v3, s0, v17
	v_cmp_ne_u64_e32 vcc, 0, v[2:3]
	s_and_saveexec_b64 s[36:37], vcc
	s_xor_b64 s[36:37], exec, s[36:37]
	s_cbranch_execz .LBB64_45
; %bb.44:                               ;   in Loop: Header=BB64_23 Depth=2
	s_ashr_i32 s38, s0, 31
	s_add_u32 s40, s58, s38
	s_mov_b32 s39, s38
	s_addc_u32 s41, s0, s38
	s_xor_b64 s[40:41], s[40:41], s[38:39]
	v_cvt_f32_u32_e32 v3, s40
	v_cvt_f32_u32_e32 v5, s41
	s_sub_u32 s16, 0, s40
	s_subb_u32 s31, 0, s41
	v_mac_f32_e32 v3, 0x4f800000, v5
	v_rcp_f32_e32 v3, v3
	v_mul_f32_e32 v3, 0x5f7ffffc, v3
	v_mul_f32_e32 v5, 0x2f800000, v3
	v_trunc_f32_e32 v5, v5
	v_mac_f32_e32 v3, 0xcf800000, v5
	v_cvt_u32_f32_e32 v5, v5
	v_cvt_u32_f32_e32 v3, v3
	v_readfirstlane_b32 s39, v5
	v_readfirstlane_b32 s0, v3
	s_mul_i32 s1, s16, s39
	s_mul_hi_u32 s60, s16, s0
	s_mul_i32 s59, s31, s0
	s_add_i32 s1, s60, s1
	s_add_i32 s1, s1, s59
	s_mul_i32 s61, s16, s0
	s_mul_i32 s60, s0, s1
	s_mul_hi_u32 s62, s0, s61
	s_mul_hi_u32 s59, s0, s1
	s_add_u32 s60, s62, s60
	s_addc_u32 s59, 0, s59
	s_mul_hi_u32 s63, s39, s61
	s_mul_i32 s61, s39, s61
	s_add_u32 s60, s60, s61
	s_mul_hi_u32 s62, s39, s1
	s_addc_u32 s59, s59, s63
	s_addc_u32 s60, s62, 0
	s_mul_i32 s1, s39, s1
	s_add_u32 s1, s59, s1
	s_addc_u32 s59, 0, s60
	s_add_u32 s60, s0, s1
	s_cselect_b64 s[0:1], -1, 0
	s_cmp_lg_u64 s[0:1], 0
	s_addc_u32 s39, s39, s59
	s_mul_i32 s0, s16, s39
	s_mul_hi_u32 s1, s16, s60
	s_add_i32 s0, s1, s0
	s_mul_i32 s31, s31, s60
	s_add_i32 s0, s0, s31
	s_mul_i32 s16, s16, s60
	s_mul_hi_u32 s31, s39, s16
	s_mul_i32 s59, s39, s16
	s_mul_i32 s62, s60, s0
	s_mul_hi_u32 s16, s60, s16
	s_mul_hi_u32 s61, s60, s0
	s_add_u32 s16, s16, s62
	s_addc_u32 s61, 0, s61
	s_add_u32 s16, s16, s59
	s_mul_hi_u32 s1, s39, s0
	s_addc_u32 s16, s61, s31
	s_addc_u32 s1, s1, 0
	s_mul_i32 s0, s39, s0
	s_add_u32 s0, s16, s0
	s_addc_u32 s16, 0, s1
	s_add_u32 s31, s60, s0
	s_cselect_b64 s[0:1], -1, 0
	v_ashrrev_i32_e32 v3, 31, v17
	s_cmp_lg_u64 s[0:1], 0
	v_add_co_u32_e32 v5, vcc, v16, v3
	s_addc_u32 s16, s39, s16
	v_xor_b32_e32 v5, v5, v3
	v_addc_co_u32_e32 v7, vcc, v17, v3, vcc
	v_mad_u64_u32 v[17:18], s[0:1], v5, s16, 0
	v_mul_hi_u32 v9, v5, s31
	v_xor_b32_e32 v7, v7, v3
	v_mad_u64_u32 v[19:20], s[0:1], v7, s16, 0
	v_add_co_u32_e32 v9, vcc, v9, v17
	v_addc_co_u32_e32 v11, vcc, 0, v18, vcc
	v_mad_u64_u32 v[17:18], s[0:1], v7, s31, 0
	v_xor_b32_e32 v3, s38, v3
	v_add_co_u32_e32 v9, vcc, v9, v17
	v_addc_co_u32_e32 v9, vcc, v11, v18, vcc
	v_addc_co_u32_e32 v11, vcc, 0, v20, vcc
	v_add_co_u32_e32 v9, vcc, v9, v19
	v_addc_co_u32_e32 v11, vcc, 0, v11, vcc
	v_mul_lo_u32 v13, s41, v9
	v_mul_lo_u32 v15, s40, v11
	v_mad_u64_u32 v[17:18], s[0:1], s40, v9, 0
	v_add3_u32 v13, v18, v15, v13
	v_sub_u32_e32 v15, v7, v13
	v_mov_b32_e32 v18, s41
	v_sub_co_u32_e32 v5, vcc, v5, v17
	v_subb_co_u32_e64 v15, s[0:1], v15, v18, vcc
	v_subrev_co_u32_e64 v17, s[0:1], s40, v5
	v_subbrev_co_u32_e64 v15, s[0:1], 0, v15, s[0:1]
	v_cmp_le_u32_e64 s[0:1], s41, v15
	v_cndmask_b32_e64 v18, 0, -1, s[0:1]
	v_cmp_le_u32_e64 s[0:1], s40, v17
	v_cndmask_b32_e64 v17, 0, -1, s[0:1]
	v_cmp_eq_u32_e64 s[0:1], s41, v15
	v_cndmask_b32_e64 v15, v18, v17, s[0:1]
	v_add_co_u32_e64 v17, s[0:1], 2, v9
	v_subb_co_u32_e32 v7, vcc, v7, v13, vcc
	v_addc_co_u32_e64 v18, s[0:1], 0, v11, s[0:1]
	v_cmp_le_u32_e32 vcc, s41, v7
	v_add_co_u32_e64 v19, s[0:1], 1, v9
	v_cndmask_b32_e64 v13, 0, -1, vcc
	v_cmp_le_u32_e32 vcc, s40, v5
	v_addc_co_u32_e64 v20, s[0:1], 0, v11, s[0:1]
	v_cndmask_b32_e64 v5, 0, -1, vcc
	v_cmp_eq_u32_e32 vcc, s41, v7
	v_cmp_ne_u32_e64 s[0:1], 0, v15
	v_cndmask_b32_e32 v5, v13, v5, vcc
	v_cmp_ne_u32_e32 vcc, 0, v5
	v_cndmask_b32_e64 v7, v19, v17, s[0:1]
	v_cndmask_b32_e64 v15, v20, v18, s[0:1]
	v_cndmask_b32_e32 v7, v9, v7, vcc
	v_cndmask_b32_e32 v5, v11, v15, vcc
	v_xor_b32_e32 v7, v7, v3
	v_xor_b32_e32 v5, v5, v3
	v_sub_co_u32_e32 v18, vcc, v7, v3
	v_subb_co_u32_e32 v19, vcc, v5, v3, vcc
.LBB64_45:                              ;   in Loop: Header=BB64_23 Depth=2
	s_andn2_saveexec_b64 s[0:1], s[36:37]
	s_cbranch_execz .LBB64_47
; %bb.46:                               ;   in Loop: Header=BB64_23 Depth=2
	v_cvt_f32_u32_e32 v3, s58
	s_sub_i32 s16, 0, s58
	v_mov_b32_e32 v19, v2
	v_rcp_iflag_f32_e32 v3, v3
	v_mul_f32_e32 v3, 0x4f7ffffe, v3
	v_cvt_u32_f32_e32 v3, v3
	v_mul_lo_u32 v5, s16, v3
	v_mul_hi_u32 v5, v3, v5
	v_add_u32_e32 v3, v3, v5
	v_mul_hi_u32 v3, v16, v3
	v_mul_lo_u32 v5, v3, s58
	v_add_u32_e32 v7, 1, v3
	v_sub_u32_e32 v5, v16, v5
	v_subrev_u32_e32 v9, s58, v5
	v_cmp_le_u32_e32 vcc, s58, v5
	v_cndmask_b32_e32 v5, v5, v9, vcc
	v_cndmask_b32_e32 v3, v3, v7, vcc
	v_add_u32_e32 v7, 1, v3
	v_cmp_le_u32_e32 vcc, s58, v5
	v_cndmask_b32_e32 v18, v3, v7, vcc
.LBB64_47:                              ;   in Loop: Header=BB64_23 Depth=2
	s_or_b64 exec, exec, s[0:1]
	s_add_u32 s0, s4, s34
	s_addc_u32 s1, s5, s35
	s_add_i32 s16, s30, 1
	s_lshl_b64 s[34:35], s[16:17], 2
	s_add_u32 s36, s42, s34
	s_addc_u32 s37, s43, s35
	s_load_dword s59, s[36:37], 0x8
	s_load_dword s16, s[0:1], 0x6c
                                        ; implicit-def: $vgpr20_vgpr21
	s_waitcnt lgkmcnt(0)
	s_ashr_i32 s0, s59, 31
	v_or_b32_e32 v3, s0, v19
	v_cmp_ne_u64_e32 vcc, 0, v[2:3]
	s_and_saveexec_b64 s[36:37], vcc
	s_xor_b64 s[36:37], exec, s[36:37]
	s_cbranch_execz .LBB64_49
; %bb.48:                               ;   in Loop: Header=BB64_23 Depth=2
	s_ashr_i32 s38, s0, 31
	s_add_u32 s40, s59, s38
	s_mov_b32 s39, s38
	s_addc_u32 s41, s0, s38
	s_xor_b64 s[40:41], s[40:41], s[38:39]
	v_cvt_f32_u32_e32 v3, s40
	v_cvt_f32_u32_e32 v5, s41
	s_sub_u32 s31, 0, s40
	s_subb_u32 s39, 0, s41
	v_mov_b32_e32 v17, s41
	v_mac_f32_e32 v3, 0x4f800000, v5
	v_rcp_f32_e32 v3, v3
	v_mul_f32_e32 v3, 0x5f7ffffc, v3
	v_mul_f32_e32 v5, 0x2f800000, v3
	v_trunc_f32_e32 v5, v5
	v_mac_f32_e32 v3, 0xcf800000, v5
	v_cvt_u32_f32_e32 v5, v5
	v_cvt_u32_f32_e32 v3, v3
	v_readfirstlane_b32 s60, v5
	v_readfirstlane_b32 s0, v3
	s_mul_i32 s1, s31, s60
	s_mul_hi_u32 s62, s31, s0
	s_mul_i32 s61, s39, s0
	s_add_i32 s1, s62, s1
	s_add_i32 s1, s1, s61
	s_mul_i32 s63, s31, s0
	s_mul_i32 s62, s0, s1
	s_mul_hi_u32 s64, s0, s63
	s_mul_hi_u32 s61, s0, s1
	s_add_u32 s62, s64, s62
	s_addc_u32 s61, 0, s61
	s_mul_hi_u32 s65, s60, s63
	s_mul_i32 s63, s60, s63
	s_add_u32 s62, s62, s63
	s_mul_hi_u32 s64, s60, s1
	s_addc_u32 s61, s61, s65
	s_addc_u32 s62, s64, 0
	s_mul_i32 s1, s60, s1
	s_add_u32 s1, s61, s1
	s_addc_u32 s61, 0, s62
	s_add_u32 s62, s0, s1
	s_cselect_b64 s[0:1], -1, 0
	s_cmp_lg_u64 s[0:1], 0
	s_addc_u32 s60, s60, s61
	s_mul_i32 s0, s31, s60
	s_mul_hi_u32 s1, s31, s62
	s_add_i32 s0, s1, s0
	s_mul_i32 s39, s39, s62
	s_add_i32 s0, s0, s39
	s_mul_i32 s31, s31, s62
	s_mul_hi_u32 s39, s60, s31
	s_mul_i32 s61, s60, s31
	s_mul_i32 s64, s62, s0
	s_mul_hi_u32 s31, s62, s31
	s_mul_hi_u32 s63, s62, s0
	s_add_u32 s31, s31, s64
	s_addc_u32 s63, 0, s63
	s_add_u32 s31, s31, s61
	s_mul_hi_u32 s1, s60, s0
	s_addc_u32 s31, s63, s39
	s_addc_u32 s1, s1, 0
	s_mul_i32 s0, s60, s0
	s_add_u32 s0, s31, s0
	s_addc_u32 s31, 0, s1
	s_add_u32 s39, s62, s0
	s_cselect_b64 s[0:1], -1, 0
	v_ashrrev_i32_e32 v3, 31, v19
	s_cmp_lg_u64 s[0:1], 0
	v_add_co_u32_e32 v5, vcc, v18, v3
	s_addc_u32 s31, s60, s31
	v_xor_b32_e32 v5, v5, v3
	v_addc_co_u32_e32 v7, vcc, v19, v3, vcc
	v_mad_u64_u32 v[19:20], s[0:1], v5, s31, 0
	v_mul_hi_u32 v9, v5, s39
	v_xor_b32_e32 v7, v7, v3
	v_mad_u64_u32 v[21:22], s[0:1], v7, s31, 0
	v_add_co_u32_e32 v9, vcc, v9, v19
	v_addc_co_u32_e32 v11, vcc, 0, v20, vcc
	v_mad_u64_u32 v[19:20], s[0:1], v7, s39, 0
	v_xor_b32_e32 v3, s38, v3
	v_add_co_u32_e32 v9, vcc, v9, v19
	v_addc_co_u32_e32 v9, vcc, v11, v20, vcc
	v_addc_co_u32_e32 v11, vcc, 0, v22, vcc
	v_add_co_u32_e32 v9, vcc, v9, v21
	v_addc_co_u32_e32 v11, vcc, 0, v11, vcc
	v_mul_lo_u32 v13, s41, v9
	v_mul_lo_u32 v15, s40, v11
	v_mad_u64_u32 v[19:20], s[0:1], s40, v9, 0
	v_add3_u32 v13, v20, v15, v13
	v_sub_u32_e32 v15, v7, v13
	v_sub_co_u32_e32 v5, vcc, v5, v19
	v_subb_co_u32_e64 v15, s[0:1], v15, v17, vcc
	v_subrev_co_u32_e64 v17, s[0:1], s40, v5
	v_subbrev_co_u32_e64 v15, s[0:1], 0, v15, s[0:1]
	v_cmp_le_u32_e64 s[0:1], s41, v15
	v_cndmask_b32_e64 v19, 0, -1, s[0:1]
	v_cmp_le_u32_e64 s[0:1], s40, v17
	v_cndmask_b32_e64 v17, 0, -1, s[0:1]
	v_cmp_eq_u32_e64 s[0:1], s41, v15
	v_cndmask_b32_e64 v15, v19, v17, s[0:1]
	v_add_co_u32_e64 v17, s[0:1], 2, v9
	v_subb_co_u32_e32 v7, vcc, v7, v13, vcc
	v_addc_co_u32_e64 v19, s[0:1], 0, v11, s[0:1]
	v_cmp_le_u32_e32 vcc, s41, v7
	v_add_co_u32_e64 v20, s[0:1], 1, v9
	v_cndmask_b32_e64 v13, 0, -1, vcc
	v_cmp_le_u32_e32 vcc, s40, v5
	v_addc_co_u32_e64 v21, s[0:1], 0, v11, s[0:1]
	v_cndmask_b32_e64 v5, 0, -1, vcc
	v_cmp_eq_u32_e32 vcc, s41, v7
	v_cmp_ne_u32_e64 s[0:1], 0, v15
	v_cndmask_b32_e32 v5, v13, v5, vcc
	v_cmp_ne_u32_e32 vcc, 0, v5
	v_cndmask_b32_e64 v7, v20, v17, s[0:1]
	v_cndmask_b32_e64 v15, v21, v19, s[0:1]
	v_cndmask_b32_e32 v7, v9, v7, vcc
	v_cndmask_b32_e32 v5, v11, v15, vcc
	v_xor_b32_e32 v7, v7, v3
	v_xor_b32_e32 v5, v5, v3
	v_sub_co_u32_e32 v20, vcc, v7, v3
	v_subb_co_u32_e32 v21, vcc, v5, v3, vcc
.LBB64_49:                              ;   in Loop: Header=BB64_23 Depth=2
	s_andn2_saveexec_b64 s[0:1], s[36:37]
	s_cbranch_execz .LBB64_51
; %bb.50:                               ;   in Loop: Header=BB64_23 Depth=2
	v_cvt_f32_u32_e32 v3, s59
	s_sub_i32 s31, 0, s59
	v_mov_b32_e32 v21, v2
	v_rcp_iflag_f32_e32 v3, v3
	v_mul_f32_e32 v3, 0x4f7ffffe, v3
	v_cvt_u32_f32_e32 v3, v3
	v_mul_lo_u32 v5, s31, v3
	v_mul_hi_u32 v5, v3, v5
	v_add_u32_e32 v3, v3, v5
	v_mul_hi_u32 v3, v18, v3
	v_mul_lo_u32 v5, v3, s59
	v_add_u32_e32 v7, 1, v3
	v_sub_u32_e32 v5, v18, v5
	v_subrev_u32_e32 v9, s59, v5
	v_cmp_le_u32_e32 vcc, s59, v5
	v_cndmask_b32_e32 v5, v5, v9, vcc
	v_cndmask_b32_e32 v3, v3, v7, vcc
	v_add_u32_e32 v7, 1, v3
	v_cmp_le_u32_e32 vcc, s59, v5
	v_cndmask_b32_e32 v20, v3, v7, vcc
.LBB64_51:                              ;   in Loop: Header=BB64_23 Depth=2
	s_or_b64 exec, exec, s[0:1]
	s_add_u32 s0, s4, s34
	s_mov_b32 s31, s17
	s_addc_u32 s1, s5, s35
	s_lshl_b64 s[34:35], s[30:31], 2
	s_add_u32 s36, s42, s34
	s_addc_u32 s37, s43, s35
	s_load_dword s60, s[36:37], 0x8
	s_load_dword s31, s[0:1], 0x6c
                                        ; implicit-def: $vgpr22_vgpr23
	s_waitcnt lgkmcnt(0)
	s_ashr_i32 s0, s60, 31
	v_or_b32_e32 v3, s0, v21
	v_cmp_ne_u64_e32 vcc, 0, v[2:3]
	s_and_saveexec_b64 s[36:37], vcc
	s_xor_b64 s[36:37], exec, s[36:37]
	s_cbranch_execz .LBB64_53
; %bb.52:                               ;   in Loop: Header=BB64_23 Depth=2
	s_ashr_i32 s38, s0, 31
	s_add_u32 s40, s60, s38
	s_mov_b32 s39, s38
	s_addc_u32 s41, s0, s38
	s_xor_b64 s[40:41], s[40:41], s[38:39]
	v_cvt_f32_u32_e32 v3, s40
	v_cvt_f32_u32_e32 v5, s41
	s_sub_u32 s39, 0, s40
	s_subb_u32 s61, 0, s41
	v_mov_b32_e32 v17, s41
	v_mac_f32_e32 v3, 0x4f800000, v5
	v_rcp_f32_e32 v3, v3
	v_mul_f32_e32 v3, 0x5f7ffffc, v3
	v_mul_f32_e32 v5, 0x2f800000, v3
	v_trunc_f32_e32 v5, v5
	v_mac_f32_e32 v3, 0xcf800000, v5
	v_cvt_u32_f32_e32 v5, v5
	v_cvt_u32_f32_e32 v3, v3
	v_readfirstlane_b32 s62, v5
	v_readfirstlane_b32 s0, v3
	s_mul_i32 s1, s39, s62
	s_mul_hi_u32 s64, s39, s0
	s_mul_i32 s63, s61, s0
	s_add_i32 s1, s64, s1
	s_add_i32 s1, s1, s63
	s_mul_i32 s65, s39, s0
	s_mul_i32 s64, s0, s1
	s_mul_hi_u32 s66, s0, s65
	s_mul_hi_u32 s63, s0, s1
	s_add_u32 s64, s66, s64
	s_addc_u32 s63, 0, s63
	s_mul_hi_u32 s67, s62, s65
	s_mul_i32 s65, s62, s65
	s_add_u32 s64, s64, s65
	s_mul_hi_u32 s66, s62, s1
	s_addc_u32 s63, s63, s67
	s_addc_u32 s64, s66, 0
	s_mul_i32 s1, s62, s1
	s_add_u32 s1, s63, s1
	s_addc_u32 s63, 0, s64
	s_add_u32 s64, s0, s1
	s_cselect_b64 s[0:1], -1, 0
	s_cmp_lg_u64 s[0:1], 0
	s_addc_u32 s62, s62, s63
	s_mul_i32 s0, s39, s62
	s_mul_hi_u32 s1, s39, s64
	s_add_i32 s0, s1, s0
	s_mul_i32 s61, s61, s64
	s_add_i32 s0, s0, s61
	s_mul_i32 s39, s39, s64
	s_mul_hi_u32 s61, s62, s39
	s_mul_i32 s63, s62, s39
	s_mul_i32 s66, s64, s0
	s_mul_hi_u32 s39, s64, s39
	s_mul_hi_u32 s65, s64, s0
	s_add_u32 s39, s39, s66
	s_addc_u32 s65, 0, s65
	s_add_u32 s39, s39, s63
	s_mul_hi_u32 s1, s62, s0
	s_addc_u32 s39, s65, s61
	s_addc_u32 s1, s1, 0
	s_mul_i32 s0, s62, s0
	s_add_u32 s0, s39, s0
	s_addc_u32 s39, 0, s1
	s_add_u32 s61, s64, s0
	s_cselect_b64 s[0:1], -1, 0
	v_ashrrev_i32_e32 v3, 31, v21
	s_cmp_lg_u64 s[0:1], 0
	v_add_co_u32_e32 v5, vcc, v20, v3
	s_addc_u32 s39, s62, s39
	v_xor_b32_e32 v5, v5, v3
	v_addc_co_u32_e32 v7, vcc, v21, v3, vcc
	v_mad_u64_u32 v[21:22], s[0:1], v5, s39, 0
	v_mul_hi_u32 v9, v5, s61
	v_xor_b32_e32 v7, v7, v3
	v_mad_u64_u32 v[26:27], s[0:1], v7, s39, 0
	v_add_co_u32_e32 v9, vcc, v9, v21
	v_addc_co_u32_e32 v11, vcc, 0, v22, vcc
	v_mad_u64_u32 v[21:22], s[0:1], v7, s61, 0
	v_xor_b32_e32 v3, s38, v3
	v_add_co_u32_e32 v9, vcc, v9, v21
	v_addc_co_u32_e32 v9, vcc, v11, v22, vcc
	v_addc_co_u32_e32 v11, vcc, 0, v27, vcc
	v_add_co_u32_e32 v9, vcc, v9, v26
	v_addc_co_u32_e32 v11, vcc, 0, v11, vcc
	v_mul_lo_u32 v13, s41, v9
	v_mul_lo_u32 v15, s40, v11
	v_mad_u64_u32 v[21:22], s[0:1], s40, v9, 0
	v_add3_u32 v13, v22, v15, v13
	v_sub_u32_e32 v15, v7, v13
	v_sub_co_u32_e32 v5, vcc, v5, v21
	v_subb_co_u32_e64 v15, s[0:1], v15, v17, vcc
	v_subrev_co_u32_e64 v17, s[0:1], s40, v5
	v_subbrev_co_u32_e64 v15, s[0:1], 0, v15, s[0:1]
	v_cmp_le_u32_e64 s[0:1], s41, v15
	v_cndmask_b32_e64 v19, 0, -1, s[0:1]
	v_cmp_le_u32_e64 s[0:1], s40, v17
	v_cndmask_b32_e64 v17, 0, -1, s[0:1]
	v_cmp_eq_u32_e64 s[0:1], s41, v15
	v_cndmask_b32_e64 v15, v19, v17, s[0:1]
	v_add_co_u32_e64 v17, s[0:1], 2, v9
	v_subb_co_u32_e32 v7, vcc, v7, v13, vcc
	v_addc_co_u32_e64 v19, s[0:1], 0, v11, s[0:1]
	v_cmp_le_u32_e32 vcc, s41, v7
	v_add_co_u32_e64 v21, s[0:1], 1, v9
	v_cndmask_b32_e64 v13, 0, -1, vcc
	v_cmp_le_u32_e32 vcc, s40, v5
	v_addc_co_u32_e64 v22, s[0:1], 0, v11, s[0:1]
	v_cndmask_b32_e64 v5, 0, -1, vcc
	v_cmp_eq_u32_e32 vcc, s41, v7
	v_cmp_ne_u32_e64 s[0:1], 0, v15
	v_cndmask_b32_e32 v5, v13, v5, vcc
	v_cmp_ne_u32_e32 vcc, 0, v5
	v_cndmask_b32_e64 v7, v21, v17, s[0:1]
	v_cndmask_b32_e64 v15, v22, v19, s[0:1]
	v_cndmask_b32_e32 v7, v9, v7, vcc
	v_cndmask_b32_e32 v5, v11, v15, vcc
	v_xor_b32_e32 v7, v7, v3
	v_xor_b32_e32 v5, v5, v3
	v_sub_co_u32_e32 v22, vcc, v7, v3
	v_subb_co_u32_e32 v23, vcc, v5, v3, vcc
.LBB64_53:                              ;   in Loop: Header=BB64_23 Depth=2
	s_andn2_saveexec_b64 s[0:1], s[36:37]
	s_cbranch_execz .LBB64_55
; %bb.54:                               ;   in Loop: Header=BB64_23 Depth=2
	v_cvt_f32_u32_e32 v3, s60
	s_sub_i32 s36, 0, s60
	v_mov_b32_e32 v23, v2
	v_rcp_iflag_f32_e32 v3, v3
	v_mul_f32_e32 v3, 0x4f7ffffe, v3
	v_cvt_u32_f32_e32 v3, v3
	v_mul_lo_u32 v5, s36, v3
	v_mul_hi_u32 v5, v3, v5
	v_add_u32_e32 v3, v3, v5
	v_mul_hi_u32 v3, v20, v3
	v_mul_lo_u32 v5, v3, s60
	v_add_u32_e32 v7, 1, v3
	v_sub_u32_e32 v5, v20, v5
	v_subrev_u32_e32 v9, s60, v5
	v_cmp_le_u32_e32 vcc, s60, v5
	v_cndmask_b32_e32 v5, v5, v9, vcc
	v_cndmask_b32_e32 v3, v3, v7, vcc
	v_add_u32_e32 v7, 1, v3
	v_cmp_le_u32_e32 vcc, s60, v5
	v_cndmask_b32_e32 v22, v3, v7, vcc
.LBB64_55:                              ;   in Loop: Header=BB64_23 Depth=2
	s_or_b64 exec, exec, s[0:1]
	v_mul_lo_u32 v3, v8, s25
	v_mul_lo_u32 v5, v10, s50
	;; [unrolled: 1-line block ×3, first 2 shown]
	s_add_u32 s0, s4, s34
	v_sub_u32_e32 v3, v6, v3
	v_mul_lo_u32 v6, v14, s54
	v_sub_u32_e32 v5, v8, v5
	v_mul_lo_u32 v3, s28, v3
	v_mul_lo_u32 v5, s51, v5
	v_sub_u32_e32 v7, v10, v7
	v_sub_u32_e32 v6, v12, v6
	v_mul_lo_u32 v7, s53, v7
	v_mul_lo_u32 v6, s56, v6
	;; [unrolled: 1-line block ×3, first 2 shown]
	v_add3_u32 v3, v3, v4, v5
	v_mul_lo_u32 v4, v18, s58
	s_addc_u32 s1, s5, s35
	v_add3_u32 v3, v7, v3, v6
	v_mul_lo_u32 v6, v20, s59
	v_mul_lo_u32 v7, v22, s60
	s_load_dword s0, s[0:1], 0x6c
	v_sub_u32_e32 v5, v14, v8
	v_sub_u32_e32 v4, v16, v4
	v_mul_lo_u32 v5, s57, v5
	v_mul_lo_u32 v4, s16, v4
	v_sub_u32_e32 v6, v18, v6
	v_sub_u32_e32 v7, v20, v7
	v_mul_lo_u32 v6, s31, v6
	s_waitcnt lgkmcnt(0)
	v_mul_lo_u32 v7, s0, v7
	v_add3_u32 v3, v5, v3, v4
	s_add_i32 s30, s30, -8
	s_cmp_eq_u32 s30, -8
	v_add3_u32 v4, v6, v3, v7
	s_cbranch_scc1 .LBB64_57
; %bb.56:                               ;   in Loop: Header=BB64_23 Depth=2
	v_mov_b32_e32 v6, v22
	v_mov_b32_e32 v7, v23
	s_branch .LBB64_23
.LBB64_57:                              ;   in Loop: Header=BB64_3 Depth=1
	s_load_dword s0, s[2:3], 0x4
	s_waitcnt lgkmcnt(0)
	v_cmp_gt_i32_e32 vcc, s0, v25
	s_and_b64 exec, exec, vcc
	s_cbranch_execz .LBB64_2
; %bb.58:                               ;   in Loop: Header=BB64_3 Depth=1
	v_ashrrev_i32_e32 v5, 31, v4
	v_lshlrev_b64 v[5:6], 3, v[4:5]
	v_mov_b32_e32 v3, s13
	v_add_co_u32_e32 v5, vcc, s12, v5
	v_addc_co_u32_e32 v6, vcc, v3, v6, vcc
	v_mov_b32_e32 v3, v2
	global_store_dwordx2 v[5:6], v[2:3], off
	v_add_u32_e32 v3, 1, v25
	v_cmp_gt_i32_e32 vcc, s0, v3
	s_and_b64 exec, exec, vcc
	s_cbranch_execz .LBB64_2
; %bb.59:                               ;   in Loop: Header=BB64_3 Depth=1
	v_sub_u32_e32 v5, v3, v24
	v_ashrrev_i32_e32 v6, 31, v5
	v_cmp_gt_i64_e32 vcc, s[8:9], v[5:6]
	s_and_b64 exec, exec, vcc
	s_cbranch_execz .LBB64_2
; %bb.60:                               ;   in Loop: Header=BB64_3 Depth=1
	v_add_u32_e32 v3, s29, v4
	v_ashrrev_i32_e32 v4, 31, v3
	v_lshlrev_b64 v[3:4], 3, v[3:4]
	v_mov_b32_e32 v6, s13
	v_add_co_u32_e32 v5, vcc, s12, v3
	v_addc_co_u32_e32 v6, vcc, v6, v4, vcc
	v_mov_b32_e32 v3, v2
	global_store_dwordx2 v[5:6], v[2:3], off
	s_branch .LBB64_2
.LBB64_61:
	s_endpgm
	.section	.rodata,"a",@progbits
	.p2align	6, 0x0
	.amdhsa_kernel _ZN2at6native16triu_tril_kernelIliLb1ELi2ELb1EEEvNS_4cuda6detail10TensorInfoIT_T0_EENS4_IKS5_S6_EEllS6_
		.amdhsa_group_segment_fixed_size 0
		.amdhsa_private_segment_fixed_size 0
		.amdhsa_kernarg_size 712
		.amdhsa_user_sgpr_count 6
		.amdhsa_user_sgpr_private_segment_buffer 1
		.amdhsa_user_sgpr_dispatch_ptr 0
		.amdhsa_user_sgpr_queue_ptr 0
		.amdhsa_user_sgpr_kernarg_segment_ptr 1
		.amdhsa_user_sgpr_dispatch_id 0
		.amdhsa_user_sgpr_flat_scratch_init 0
		.amdhsa_user_sgpr_private_segment_size 0
		.amdhsa_uses_dynamic_stack 0
		.amdhsa_system_sgpr_private_segment_wavefront_offset 0
		.amdhsa_system_sgpr_workgroup_id_x 1
		.amdhsa_system_sgpr_workgroup_id_y 0
		.amdhsa_system_sgpr_workgroup_id_z 0
		.amdhsa_system_sgpr_workgroup_info 0
		.amdhsa_system_vgpr_workitem_id 0
		.amdhsa_next_free_vgpr 28
		.amdhsa_next_free_sgpr 68
		.amdhsa_reserve_vcc 1
		.amdhsa_reserve_flat_scratch 0
		.amdhsa_float_round_mode_32 0
		.amdhsa_float_round_mode_16_64 0
		.amdhsa_float_denorm_mode_32 3
		.amdhsa_float_denorm_mode_16_64 3
		.amdhsa_dx10_clamp 1
		.amdhsa_ieee_mode 1
		.amdhsa_fp16_overflow 0
		.amdhsa_exception_fp_ieee_invalid_op 0
		.amdhsa_exception_fp_denorm_src 0
		.amdhsa_exception_fp_ieee_div_zero 0
		.amdhsa_exception_fp_ieee_overflow 0
		.amdhsa_exception_fp_ieee_underflow 0
		.amdhsa_exception_fp_ieee_inexact 0
		.amdhsa_exception_int_div_zero 0
	.end_amdhsa_kernel
	.section	.text._ZN2at6native16triu_tril_kernelIliLb1ELi2ELb1EEEvNS_4cuda6detail10TensorInfoIT_T0_EENS4_IKS5_S6_EEllS6_,"axG",@progbits,_ZN2at6native16triu_tril_kernelIliLb1ELi2ELb1EEEvNS_4cuda6detail10TensorInfoIT_T0_EENS4_IKS5_S6_EEllS6_,comdat
.Lfunc_end64:
	.size	_ZN2at6native16triu_tril_kernelIliLb1ELi2ELb1EEEvNS_4cuda6detail10TensorInfoIT_T0_EENS4_IKS5_S6_EEllS6_, .Lfunc_end64-_ZN2at6native16triu_tril_kernelIliLb1ELi2ELb1EEEvNS_4cuda6detail10TensorInfoIT_T0_EENS4_IKS5_S6_EEllS6_
                                        ; -- End function
	.set _ZN2at6native16triu_tril_kernelIliLb1ELi2ELb1EEEvNS_4cuda6detail10TensorInfoIT_T0_EENS4_IKS5_S6_EEllS6_.num_vgpr, 28
	.set _ZN2at6native16triu_tril_kernelIliLb1ELi2ELb1EEEvNS_4cuda6detail10TensorInfoIT_T0_EENS4_IKS5_S6_EEllS6_.num_agpr, 0
	.set _ZN2at6native16triu_tril_kernelIliLb1ELi2ELb1EEEvNS_4cuda6detail10TensorInfoIT_T0_EENS4_IKS5_S6_EEllS6_.numbered_sgpr, 68
	.set _ZN2at6native16triu_tril_kernelIliLb1ELi2ELb1EEEvNS_4cuda6detail10TensorInfoIT_T0_EENS4_IKS5_S6_EEllS6_.num_named_barrier, 0
	.set _ZN2at6native16triu_tril_kernelIliLb1ELi2ELb1EEEvNS_4cuda6detail10TensorInfoIT_T0_EENS4_IKS5_S6_EEllS6_.private_seg_size, 0
	.set _ZN2at6native16triu_tril_kernelIliLb1ELi2ELb1EEEvNS_4cuda6detail10TensorInfoIT_T0_EENS4_IKS5_S6_EEllS6_.uses_vcc, 1
	.set _ZN2at6native16triu_tril_kernelIliLb1ELi2ELb1EEEvNS_4cuda6detail10TensorInfoIT_T0_EENS4_IKS5_S6_EEllS6_.uses_flat_scratch, 0
	.set _ZN2at6native16triu_tril_kernelIliLb1ELi2ELb1EEEvNS_4cuda6detail10TensorInfoIT_T0_EENS4_IKS5_S6_EEllS6_.has_dyn_sized_stack, 0
	.set _ZN2at6native16triu_tril_kernelIliLb1ELi2ELb1EEEvNS_4cuda6detail10TensorInfoIT_T0_EENS4_IKS5_S6_EEllS6_.has_recursion, 0
	.set _ZN2at6native16triu_tril_kernelIliLb1ELi2ELb1EEEvNS_4cuda6detail10TensorInfoIT_T0_EENS4_IKS5_S6_EEllS6_.has_indirect_call, 0
	.section	.AMDGPU.csdata,"",@progbits
; Kernel info:
; codeLenInByte = 9324
; TotalNumSgprs: 72
; NumVgprs: 28
; ScratchSize: 0
; MemoryBound: 0
; FloatMode: 240
; IeeeMode: 1
; LDSByteSize: 0 bytes/workgroup (compile time only)
; SGPRBlocks: 8
; VGPRBlocks: 6
; NumSGPRsForWavesPerEU: 72
; NumVGPRsForWavesPerEU: 28
; Occupancy: 9
; WaveLimiterHint : 0
; COMPUTE_PGM_RSRC2:SCRATCH_EN: 0
; COMPUTE_PGM_RSRC2:USER_SGPR: 6
; COMPUTE_PGM_RSRC2:TRAP_HANDLER: 0
; COMPUTE_PGM_RSRC2:TGID_X_EN: 1
; COMPUTE_PGM_RSRC2:TGID_Y_EN: 0
; COMPUTE_PGM_RSRC2:TGID_Z_EN: 0
; COMPUTE_PGM_RSRC2:TIDIG_COMP_CNT: 0
	.section	.text._ZN2at6native16triu_tril_kernelIliLb1ELi2ELb0EEEvNS_4cuda6detail10TensorInfoIT_T0_EENS4_IKS5_S6_EEllS6_,"axG",@progbits,_ZN2at6native16triu_tril_kernelIliLb1ELi2ELb0EEEvNS_4cuda6detail10TensorInfoIT_T0_EENS4_IKS5_S6_EEllS6_,comdat
	.protected	_ZN2at6native16triu_tril_kernelIliLb1ELi2ELb0EEEvNS_4cuda6detail10TensorInfoIT_T0_EENS4_IKS5_S6_EEllS6_ ; -- Begin function _ZN2at6native16triu_tril_kernelIliLb1ELi2ELb0EEEvNS_4cuda6detail10TensorInfoIT_T0_EENS4_IKS5_S6_EEllS6_
	.globl	_ZN2at6native16triu_tril_kernelIliLb1ELi2ELb0EEEvNS_4cuda6detail10TensorInfoIT_T0_EENS4_IKS5_S6_EEllS6_
	.p2align	8
	.type	_ZN2at6native16triu_tril_kernelIliLb1ELi2ELb0EEEvNS_4cuda6detail10TensorInfoIT_T0_EENS4_IKS5_S6_EEllS6_,@function
_ZN2at6native16triu_tril_kernelIliLb1ELi2ELb0EEEvNS_4cuda6detail10TensorInfoIT_T0_EENS4_IKS5_S6_EEllS6_: ; @_ZN2at6native16triu_tril_kernelIliLb1ELi2ELb0EEEvNS_4cuda6detail10TensorInfoIT_T0_EENS4_IKS5_S6_EEllS6_
; %bb.0:
	s_load_dword s2, s[4:5], 0x1d4
	s_load_dwordx4 s[8:11], s[4:5], 0x1b0
	s_add_u32 s0, s4, 0x1c8
	v_mov_b32_e32 v2, 0
	s_addc_u32 s1, s5, 0
	s_waitcnt lgkmcnt(0)
	s_and_b32 s12, s2, 0xffff
	v_mov_b32_e32 v1, v2
	v_mov_b32_e32 v3, s6
	v_mad_u64_u32 v[0:1], s[2:3], s12, v3, v[0:1]
	v_lshlrev_b64 v[0:1], 1, v[0:1]
	v_cmp_gt_i64_e32 vcc, s[10:11], v[0:1]
	s_and_saveexec_b64 s[2:3], vcc
	s_cbranch_execz .LBB65_48
; %bb.1:
	s_load_dword s33, s[4:5], 0x1c0
	s_load_dwordx2 s[2:3], s[4:5], 0xd8
	s_load_dwordx2 s[18:19], s[4:5], 0x0
	s_load_dword s20, s[4:5], 0x1a8
	s_load_dword s13, s[0:1], 0x0
	s_add_u32 s46, s4, 0xd8
	s_addc_u32 s47, s5, 0
	s_waitcnt lgkmcnt(0)
	s_ashr_i32 s48, s33, 31
	s_ashr_i32 s21, s20, 31
	s_lshl_b64 s[0:1], s[20:21], 2
	s_add_u32 s16, s46, s0
	s_addc_u32 s17, s47, s1
	s_load_dwordx2 s[6:7], s[16:17], 0x0
	s_load_dwordx2 s[14:15], s[16:17], 0x64
	s_mul_i32 s22, s13, s12
	v_cmp_gt_i64_e64 s[12:13], s[20:21], 2
	s_mov_b32 s21, 0
	s_waitcnt lgkmcnt(0)
	s_ashr_i32 s49, s6, 31
	s_add_u32 s0, s4, s0
	s_addc_u32 s1, s5, s1
	s_load_dwordx2 s[16:17], s[0:1], 0x64
	s_add_i32 s50, s20, -3
	s_lshl_b32 s51, s22, 1
	s_and_b32 s52, s20, 3
	s_cmp_lg_u32 s52, 2
	s_cselect_b64 s[22:23], -1, 0
	s_cmp_gt_u32 s50, 2
	s_cselect_b64 s[24:25], -1, 0
	s_ashr_i32 s27, s15, 31
	s_mov_b32 s26, s15
	s_waitcnt lgkmcnt(0)
	s_ashr_i32 s29, s17, 31
	s_mov_b32 s28, s17
	s_mov_b64 s[30:31], 0
	s_ashr_i32 s34, s48, 31
	s_branch .LBB65_3
.LBB65_2:                               ;   in Loop: Header=BB65_3 Depth=1
	s_or_b64 exec, exec, s[0:1]
	v_add_co_u32_e32 v0, vcc, s51, v0
	v_addc_co_u32_e32 v1, vcc, 0, v1, vcc
	v_cmp_le_i64_e32 vcc, s[10:11], v[0:1]
	s_or_b64 s[30:31], vcc, s[30:31]
	s_andn2_b64 exec, exec, s[30:31]
	s_cbranch_execz .LBB65_48
.LBB65_3:                               ; =>This Loop Header: Depth=1
                                        ;     Child Loop BB65_13 Depth 2
                                        ;     Child Loop BB65_21 Depth 2
	v_or_b32_e32 v3, s48, v1
	v_cmp_ne_u64_e32 vcc, 0, v[2:3]
                                        ; implicit-def: $vgpr4_vgpr5
	s_and_saveexec_b64 s[0:1], vcc
	s_xor_b64 s[36:37], exec, s[0:1]
	s_cbranch_execz .LBB65_5
; %bb.4:                                ;   in Loop: Header=BB65_3 Depth=1
	s_add_u32 s0, s33, s34
	s_mov_b32 s35, s34
	s_addc_u32 s1, s48, s34
	s_xor_b64 s[38:39], s[0:1], s[34:35]
	v_cvt_f32_u32_e32 v3, s38
	v_cvt_f32_u32_e32 v4, s39
	s_sub_u32 s15, 0, s38
	s_subb_u32 s17, 0, s39
	v_ashrrev_i32_e32 v7, 31, v1
	v_mac_f32_e32 v3, 0x4f800000, v4
	v_rcp_f32_e32 v3, v3
	v_mul_f32_e32 v3, 0x5f7ffffc, v3
	v_mul_f32_e32 v4, 0x2f800000, v3
	v_trunc_f32_e32 v4, v4
	v_mac_f32_e32 v3, 0xcf800000, v4
	v_cvt_u32_f32_e32 v4, v4
	v_cvt_u32_f32_e32 v3, v3
	v_readfirstlane_b32 s20, v4
	v_readfirstlane_b32 s0, v3
	s_mul_i32 s1, s15, s20
	s_mul_hi_u32 s40, s15, s0
	s_mul_i32 s35, s17, s0
	s_add_i32 s1, s40, s1
	s_add_i32 s1, s1, s35
	s_mul_i32 s41, s15, s0
	s_mul_i32 s40, s0, s1
	s_mul_hi_u32 s42, s0, s41
	s_mul_hi_u32 s35, s0, s1
	s_add_u32 s40, s42, s40
	s_addc_u32 s35, 0, s35
	s_mul_hi_u32 s43, s20, s41
	s_mul_i32 s41, s20, s41
	s_add_u32 s40, s40, s41
	s_mul_hi_u32 s42, s20, s1
	s_addc_u32 s35, s35, s43
	s_addc_u32 s40, s42, 0
	s_mul_i32 s1, s20, s1
	s_add_u32 s1, s35, s1
	s_addc_u32 s35, 0, s40
	s_add_u32 s40, s0, s1
	s_cselect_b64 s[0:1], -1, 0
	s_cmp_lg_u64 s[0:1], 0
	s_addc_u32 s20, s20, s35
	s_mul_i32 s0, s15, s20
	s_mul_hi_u32 s1, s15, s40
	s_add_i32 s0, s1, s0
	s_mul_i32 s17, s17, s40
	s_add_i32 s0, s0, s17
	s_mul_i32 s15, s15, s40
	s_mul_hi_u32 s17, s20, s15
	s_mul_i32 s35, s20, s15
	s_mul_i32 s42, s40, s0
	s_mul_hi_u32 s15, s40, s15
	s_mul_hi_u32 s41, s40, s0
	s_add_u32 s15, s15, s42
	s_addc_u32 s41, 0, s41
	s_add_u32 s15, s15, s35
	s_mul_hi_u32 s1, s20, s0
	s_addc_u32 s15, s41, s17
	s_addc_u32 s1, s1, 0
	s_mul_i32 s0, s20, s0
	s_add_u32 s0, s15, s0
	s_addc_u32 s15, 0, s1
	s_add_u32 s17, s40, s0
	s_cselect_b64 s[0:1], -1, 0
	s_cmp_lg_u64 s[0:1], 0
	v_add_co_u32_e32 v3, vcc, v0, v7
	s_addc_u32 s15, s20, s15
	v_xor_b32_e32 v8, v3, v7
	v_mad_u64_u32 v[3:4], s[0:1], v8, s15, 0
	v_mul_hi_u32 v6, v8, s17
	v_addc_co_u32_e32 v5, vcc, v1, v7, vcc
	v_xor_b32_e32 v9, v5, v7
	v_add_co_u32_e32 v10, vcc, v6, v3
	v_addc_co_u32_e32 v11, vcc, 0, v4, vcc
	v_mad_u64_u32 v[3:4], s[0:1], v9, s17, 0
	v_mad_u64_u32 v[5:6], s[0:1], v9, s15, 0
	v_add_co_u32_e32 v3, vcc, v10, v3
	v_addc_co_u32_e32 v3, vcc, v11, v4, vcc
	v_addc_co_u32_e32 v4, vcc, 0, v6, vcc
	v_add_co_u32_e32 v5, vcc, v3, v5
	v_addc_co_u32_e32 v6, vcc, 0, v4, vcc
	v_mul_lo_u32 v10, s39, v5
	v_mul_lo_u32 v11, s38, v6
	v_mad_u64_u32 v[3:4], s[0:1], s38, v5, 0
	v_add3_u32 v4, v4, v11, v10
	v_sub_u32_e32 v10, v9, v4
	v_mov_b32_e32 v11, s39
	v_sub_co_u32_e32 v3, vcc, v8, v3
	v_subb_co_u32_e64 v8, s[0:1], v10, v11, vcc
	v_subrev_co_u32_e64 v10, s[0:1], s38, v3
	v_subbrev_co_u32_e64 v8, s[0:1], 0, v8, s[0:1]
	v_cmp_le_u32_e64 s[0:1], s39, v8
	v_cndmask_b32_e64 v11, 0, -1, s[0:1]
	v_cmp_le_u32_e64 s[0:1], s38, v10
	v_cndmask_b32_e64 v10, 0, -1, s[0:1]
	v_cmp_eq_u32_e64 s[0:1], s39, v8
	v_cndmask_b32_e64 v8, v11, v10, s[0:1]
	v_add_co_u32_e64 v10, s[0:1], 2, v5
	v_subb_co_u32_e32 v4, vcc, v9, v4, vcc
	v_addc_co_u32_e64 v11, s[0:1], 0, v6, s[0:1]
	v_cmp_le_u32_e32 vcc, s39, v4
	v_add_co_u32_e64 v12, s[0:1], 1, v5
	v_cndmask_b32_e64 v9, 0, -1, vcc
	v_cmp_le_u32_e32 vcc, s38, v3
	v_addc_co_u32_e64 v13, s[0:1], 0, v6, s[0:1]
	v_cndmask_b32_e64 v3, 0, -1, vcc
	v_cmp_eq_u32_e32 vcc, s39, v4
	v_cmp_ne_u32_e64 s[0:1], 0, v8
	v_cndmask_b32_e32 v3, v9, v3, vcc
	v_cmp_ne_u32_e32 vcc, 0, v3
	v_cndmask_b32_e64 v4, v12, v10, s[0:1]
	v_cndmask_b32_e64 v8, v13, v11, s[0:1]
	v_cndmask_b32_e32 v4, v5, v4, vcc
	v_xor_b32_e32 v5, s34, v7
	v_cndmask_b32_e32 v3, v6, v8, vcc
	v_xor_b32_e32 v4, v4, v5
	v_xor_b32_e32 v3, v3, v5
	v_sub_co_u32_e32 v4, vcc, v4, v5
	v_subb_co_u32_e32 v5, vcc, v3, v5, vcc
.LBB65_5:                               ;   in Loop: Header=BB65_3 Depth=1
	s_andn2_saveexec_b64 s[0:1], s[36:37]
	s_cbranch_execz .LBB65_7
; %bb.6:                                ;   in Loop: Header=BB65_3 Depth=1
	v_cvt_f32_u32_e32 v3, s33
	s_sub_i32 s15, 0, s33
	v_rcp_iflag_f32_e32 v3, v3
	v_mul_f32_e32 v3, 0x4f7ffffe, v3
	v_cvt_u32_f32_e32 v3, v3
	v_mul_lo_u32 v4, s15, v3
	v_mul_hi_u32 v4, v3, v4
	v_add_u32_e32 v3, v3, v4
	v_mul_hi_u32 v3, v0, v3
	v_mul_lo_u32 v4, v3, s33
	v_add_u32_e32 v5, 1, v3
	v_sub_u32_e32 v4, v0, v4
	v_subrev_u32_e32 v6, s33, v4
	v_cmp_le_u32_e32 vcc, s33, v4
	v_cndmask_b32_e32 v4, v4, v6, vcc
	v_cndmask_b32_e32 v3, v3, v5, vcc
	v_add_u32_e32 v5, 1, v3
	v_cmp_le_u32_e32 vcc, s33, v4
	v_cndmask_b32_e32 v4, v3, v5, vcc
	v_mov_b32_e32 v5, v2
.LBB65_7:                               ;   in Loop: Header=BB65_3 Depth=1
	s_or_b64 exec, exec, s[0:1]
	v_or_b32_e32 v3, s49, v5
	v_cmp_ne_u64_e32 vcc, 0, v[2:3]
                                        ; implicit-def: $vgpr8_vgpr9
	s_and_saveexec_b64 s[0:1], vcc
	s_xor_b64 s[36:37], exec, s[0:1]
	s_cbranch_execz .LBB65_9
; %bb.8:                                ;   in Loop: Header=BB65_3 Depth=1
	s_ashr_i32 s38, s49, 31
	s_add_u32 s0, s6, s38
	s_mov_b32 s39, s38
	s_addc_u32 s1, s49, s38
	s_xor_b64 s[40:41], s[0:1], s[38:39]
	v_cvt_f32_u32_e32 v3, s40
	v_cvt_f32_u32_e32 v6, s41
	s_sub_u32 s15, 0, s40
	s_subb_u32 s17, 0, s41
	v_mac_f32_e32 v3, 0x4f800000, v6
	v_rcp_f32_e32 v3, v3
	v_mul_f32_e32 v3, 0x5f7ffffc, v3
	v_mul_f32_e32 v6, 0x2f800000, v3
	v_trunc_f32_e32 v6, v6
	v_mac_f32_e32 v3, 0xcf800000, v6
	v_cvt_u32_f32_e32 v6, v6
	v_cvt_u32_f32_e32 v3, v3
	v_readfirstlane_b32 s20, v6
	v_readfirstlane_b32 s0, v3
	s_mul_i32 s1, s15, s20
	s_mul_hi_u32 s39, s15, s0
	s_mul_i32 s35, s17, s0
	s_add_i32 s1, s39, s1
	s_add_i32 s1, s1, s35
	s_mul_i32 s42, s15, s0
	s_mul_i32 s39, s0, s1
	s_mul_hi_u32 s43, s0, s42
	s_mul_hi_u32 s35, s0, s1
	s_add_u32 s39, s43, s39
	s_addc_u32 s35, 0, s35
	s_mul_hi_u32 s44, s20, s42
	s_mul_i32 s42, s20, s42
	s_add_u32 s39, s39, s42
	s_mul_hi_u32 s43, s20, s1
	s_addc_u32 s35, s35, s44
	s_addc_u32 s39, s43, 0
	s_mul_i32 s1, s20, s1
	s_add_u32 s1, s35, s1
	s_addc_u32 s35, 0, s39
	s_add_u32 s39, s0, s1
	s_cselect_b64 s[0:1], -1, 0
	s_cmp_lg_u64 s[0:1], 0
	s_addc_u32 s20, s20, s35
	s_mul_i32 s0, s15, s20
	s_mul_hi_u32 s1, s15, s39
	s_add_i32 s0, s1, s0
	s_mul_i32 s17, s17, s39
	s_add_i32 s0, s0, s17
	s_mul_i32 s15, s15, s39
	s_mul_hi_u32 s17, s20, s15
	s_mul_i32 s35, s20, s15
	s_mul_i32 s43, s39, s0
	s_mul_hi_u32 s15, s39, s15
	s_mul_hi_u32 s42, s39, s0
	s_add_u32 s15, s15, s43
	s_addc_u32 s42, 0, s42
	s_add_u32 s15, s15, s35
	s_mul_hi_u32 s1, s20, s0
	s_addc_u32 s15, s42, s17
	s_addc_u32 s1, s1, 0
	s_mul_i32 s0, s20, s0
	s_add_u32 s0, s15, s0
	s_addc_u32 s15, 0, s1
	s_add_u32 s17, s39, s0
	s_cselect_b64 s[0:1], -1, 0
	v_ashrrev_i32_e32 v3, 31, v5
	s_cmp_lg_u64 s[0:1], 0
	v_add_co_u32_e32 v6, vcc, v4, v3
	s_addc_u32 s15, s20, s15
	v_xor_b32_e32 v9, v6, v3
	v_addc_co_u32_e32 v7, vcc, v5, v3, vcc
	v_mad_u64_u32 v[5:6], s[0:1], v9, s15, 0
	v_mul_hi_u32 v8, v9, s17
	v_xor_b32_e32 v10, v7, v3
	v_xor_b32_e32 v3, s38, v3
	v_add_co_u32_e32 v11, vcc, v8, v5
	v_addc_co_u32_e32 v12, vcc, 0, v6, vcc
	v_mad_u64_u32 v[5:6], s[0:1], v10, s17, 0
	v_mad_u64_u32 v[7:8], s[0:1], v10, s15, 0
	v_add_co_u32_e32 v5, vcc, v11, v5
	v_addc_co_u32_e32 v5, vcc, v12, v6, vcc
	v_addc_co_u32_e32 v6, vcc, 0, v8, vcc
	v_add_co_u32_e32 v7, vcc, v5, v7
	v_addc_co_u32_e32 v8, vcc, 0, v6, vcc
	v_mul_lo_u32 v11, s41, v7
	v_mul_lo_u32 v12, s40, v8
	v_mad_u64_u32 v[5:6], s[0:1], s40, v7, 0
	v_add3_u32 v6, v6, v12, v11
	v_sub_u32_e32 v11, v10, v6
	v_mov_b32_e32 v12, s41
	v_sub_co_u32_e32 v5, vcc, v9, v5
	v_subb_co_u32_e64 v9, s[0:1], v11, v12, vcc
	v_subrev_co_u32_e64 v11, s[0:1], s40, v5
	v_subbrev_co_u32_e64 v9, s[0:1], 0, v9, s[0:1]
	v_cmp_le_u32_e64 s[0:1], s41, v9
	v_cndmask_b32_e64 v12, 0, -1, s[0:1]
	v_cmp_le_u32_e64 s[0:1], s40, v11
	v_cndmask_b32_e64 v11, 0, -1, s[0:1]
	v_cmp_eq_u32_e64 s[0:1], s41, v9
	v_cndmask_b32_e64 v9, v12, v11, s[0:1]
	v_add_co_u32_e64 v11, s[0:1], 2, v7
	v_subb_co_u32_e32 v6, vcc, v10, v6, vcc
	v_addc_co_u32_e64 v12, s[0:1], 0, v8, s[0:1]
	v_cmp_le_u32_e32 vcc, s41, v6
	v_add_co_u32_e64 v13, s[0:1], 1, v7
	v_cndmask_b32_e64 v10, 0, -1, vcc
	v_cmp_le_u32_e32 vcc, s40, v5
	v_addc_co_u32_e64 v14, s[0:1], 0, v8, s[0:1]
	v_cndmask_b32_e64 v5, 0, -1, vcc
	v_cmp_eq_u32_e32 vcc, s41, v6
	v_cmp_ne_u32_e64 s[0:1], 0, v9
	v_cndmask_b32_e32 v5, v10, v5, vcc
	v_cmp_ne_u32_e32 vcc, 0, v5
	v_cndmask_b32_e64 v6, v13, v11, s[0:1]
	v_cndmask_b32_e64 v9, v14, v12, s[0:1]
	v_cndmask_b32_e32 v6, v7, v6, vcc
	v_cndmask_b32_e32 v5, v8, v9, vcc
	v_xor_b32_e32 v6, v6, v3
	v_xor_b32_e32 v5, v5, v3
	v_sub_co_u32_e32 v8, vcc, v6, v3
	v_subb_co_u32_e32 v9, vcc, v5, v3, vcc
.LBB65_9:                               ;   in Loop: Header=BB65_3 Depth=1
	s_andn2_saveexec_b64 s[0:1], s[36:37]
	s_cbranch_execz .LBB65_11
; %bb.10:                               ;   in Loop: Header=BB65_3 Depth=1
	v_cvt_f32_u32_e32 v3, s6
	s_sub_i32 s15, 0, s6
	v_mov_b32_e32 v9, v2
	v_rcp_iflag_f32_e32 v3, v3
	v_mul_f32_e32 v3, 0x4f7ffffe, v3
	v_cvt_u32_f32_e32 v3, v3
	v_mul_lo_u32 v5, s15, v3
	v_mul_hi_u32 v5, v3, v5
	v_add_u32_e32 v3, v3, v5
	v_mul_hi_u32 v3, v4, v3
	v_mul_lo_u32 v5, v3, s6
	v_add_u32_e32 v6, 1, v3
	v_sub_u32_e32 v5, v4, v5
	v_subrev_u32_e32 v7, s6, v5
	v_cmp_le_u32_e32 vcc, s6, v5
	v_cndmask_b32_e32 v5, v5, v7, vcc
	v_cndmask_b32_e32 v3, v3, v6, vcc
	v_add_u32_e32 v6, 1, v3
	v_cmp_le_u32_e32 vcc, s6, v5
	v_cndmask_b32_e32 v8, v3, v6, vcc
.LBB65_11:                              ;   in Loop: Header=BB65_3 Depth=1
	s_or_b64 exec, exec, s[0:1]
	v_mad_u64_u32 v[5:6], s[0:1], v4, s33, 0
	v_mad_u64_u32 v[6:7], s[0:1], v8, s6, 0
	v_sub_co_u32_e32 v18, vcc, v0, v5
	v_mul_lo_u32 v3, s26, v18
	v_sub_co_u32_e32 v19, vcc, v4, v6
	v_mul_lo_u32 v4, s28, v18
	s_andn2_b64 vcc, exec, s[12:13]
	v_mad_u64_u32 v[6:7], s[0:1], s14, v19, v[3:4]
	v_mad_u64_u32 v[4:5], s[0:1], s16, v19, v[4:5]
	s_cbranch_vccnz .LBB65_39
; %bb.12:                               ;   in Loop: Header=BB65_3 Depth=1
	s_mov_b32 s15, 1
	s_andn2_b64 vcc, exec, s[22:23]
	s_mov_b32 s20, s50
	s_mov_b32 s0, s50
	s_cbranch_vccnz .LBB65_20
.LBB65_13:                              ;   Parent Loop BB65_3 Depth=1
                                        ; =>  This Inner Loop Header: Depth=2
	s_lshl_b64 s[36:37], s[20:21], 2
	s_add_u32 s38, s46, s36
	s_addc_u32 s39, s47, s37
	s_load_dword s17, s[38:39], 0x8
                                        ; implicit-def: $vgpr10_vgpr11
	s_waitcnt lgkmcnt(0)
	s_ashr_i32 s0, s17, 31
	v_or_b32_e32 v3, s0, v9
	v_cmp_ne_u64_e32 vcc, 0, v[2:3]
	s_and_saveexec_b64 s[40:41], vcc
	s_xor_b64 s[40:41], exec, s[40:41]
	s_cbranch_execz .LBB65_15
; %bb.14:                               ;   in Loop: Header=BB65_13 Depth=2
	s_ashr_i32 s42, s0, 31
	s_add_u32 s44, s17, s42
	s_mov_b32 s43, s42
	s_addc_u32 s45, s0, s42
	s_xor_b64 s[44:45], s[44:45], s[42:43]
	v_cvt_f32_u32_e32 v3, s44
	v_cvt_f32_u32_e32 v5, s45
	s_sub_u32 s35, 0, s44
	s_subb_u32 s43, 0, s45
	v_mac_f32_e32 v3, 0x4f800000, v5
	v_rcp_f32_e32 v3, v3
	v_mul_f32_e32 v3, 0x5f7ffffc, v3
	v_mul_f32_e32 v5, 0x2f800000, v3
	v_trunc_f32_e32 v5, v5
	v_mac_f32_e32 v3, 0xcf800000, v5
	v_cvt_u32_f32_e32 v5, v5
	v_cvt_u32_f32_e32 v3, v3
	v_readfirstlane_b32 s53, v5
	v_readfirstlane_b32 s0, v3
	s_mul_i32 s1, s35, s53
	s_mul_hi_u32 s55, s35, s0
	s_mul_i32 s54, s43, s0
	s_add_i32 s1, s55, s1
	s_add_i32 s1, s1, s54
	s_mul_i32 s56, s35, s0
	s_mul_i32 s55, s0, s1
	s_mul_hi_u32 s57, s0, s56
	s_mul_hi_u32 s54, s0, s1
	s_add_u32 s55, s57, s55
	s_addc_u32 s54, 0, s54
	s_mul_hi_u32 s58, s53, s56
	s_mul_i32 s56, s53, s56
	s_add_u32 s55, s55, s56
	s_mul_hi_u32 s57, s53, s1
	s_addc_u32 s54, s54, s58
	s_addc_u32 s55, s57, 0
	s_mul_i32 s1, s53, s1
	s_add_u32 s1, s54, s1
	s_addc_u32 s54, 0, s55
	s_add_u32 s55, s0, s1
	s_cselect_b64 s[0:1], -1, 0
	s_cmp_lg_u64 s[0:1], 0
	s_addc_u32 s53, s53, s54
	s_mul_i32 s0, s35, s53
	s_mul_hi_u32 s1, s35, s55
	s_add_i32 s0, s1, s0
	s_mul_i32 s43, s43, s55
	s_add_i32 s0, s0, s43
	s_mul_i32 s35, s35, s55
	s_mul_hi_u32 s43, s53, s35
	s_mul_i32 s54, s53, s35
	s_mul_i32 s57, s55, s0
	s_mul_hi_u32 s35, s55, s35
	s_mul_hi_u32 s56, s55, s0
	s_add_u32 s35, s35, s57
	s_addc_u32 s56, 0, s56
	s_add_u32 s35, s35, s54
	s_mul_hi_u32 s1, s53, s0
	s_addc_u32 s35, s56, s43
	s_addc_u32 s1, s1, 0
	s_mul_i32 s0, s53, s0
	s_add_u32 s0, s35, s0
	s_addc_u32 s35, 0, s1
	s_add_u32 s43, s55, s0
	s_cselect_b64 s[0:1], -1, 0
	v_ashrrev_i32_e32 v3, 31, v9
	s_cmp_lg_u64 s[0:1], 0
	v_add_co_u32_e32 v5, vcc, v8, v3
	s_addc_u32 s35, s53, s35
	v_xor_b32_e32 v5, v5, v3
	v_addc_co_u32_e32 v7, vcc, v9, v3, vcc
	v_mad_u64_u32 v[9:10], s[0:1], v5, s35, 0
	v_mul_hi_u32 v11, v5, s43
	v_xor_b32_e32 v7, v7, v3
	v_xor_b32_e32 v3, s42, v3
	v_add_co_u32_e32 v13, vcc, v11, v9
	v_addc_co_u32_e32 v14, vcc, 0, v10, vcc
	v_mad_u64_u32 v[9:10], s[0:1], v7, s43, 0
	v_mad_u64_u32 v[11:12], s[0:1], v7, s35, 0
	v_add_co_u32_e32 v9, vcc, v13, v9
	v_addc_co_u32_e32 v9, vcc, v14, v10, vcc
	v_addc_co_u32_e32 v10, vcc, 0, v12, vcc
	v_add_co_u32_e32 v11, vcc, v9, v11
	v_addc_co_u32_e32 v12, vcc, 0, v10, vcc
	v_mul_lo_u32 v13, s45, v11
	v_mul_lo_u32 v14, s44, v12
	v_mad_u64_u32 v[9:10], s[0:1], s44, v11, 0
	v_add3_u32 v10, v10, v14, v13
	v_sub_u32_e32 v13, v7, v10
	v_mov_b32_e32 v14, s45
	v_sub_co_u32_e32 v5, vcc, v5, v9
	v_subb_co_u32_e64 v9, s[0:1], v13, v14, vcc
	v_subrev_co_u32_e64 v13, s[0:1], s44, v5
	v_subbrev_co_u32_e64 v9, s[0:1], 0, v9, s[0:1]
	v_cmp_le_u32_e64 s[0:1], s45, v9
	v_cndmask_b32_e64 v14, 0, -1, s[0:1]
	v_cmp_le_u32_e64 s[0:1], s44, v13
	v_cndmask_b32_e64 v13, 0, -1, s[0:1]
	v_cmp_eq_u32_e64 s[0:1], s45, v9
	v_cndmask_b32_e64 v9, v14, v13, s[0:1]
	v_add_co_u32_e64 v13, s[0:1], 2, v11
	v_subb_co_u32_e32 v7, vcc, v7, v10, vcc
	v_addc_co_u32_e64 v14, s[0:1], 0, v12, s[0:1]
	v_cmp_le_u32_e32 vcc, s45, v7
	v_add_co_u32_e64 v15, s[0:1], 1, v11
	v_cndmask_b32_e64 v10, 0, -1, vcc
	v_cmp_le_u32_e32 vcc, s44, v5
	v_addc_co_u32_e64 v16, s[0:1], 0, v12, s[0:1]
	v_cndmask_b32_e64 v5, 0, -1, vcc
	v_cmp_eq_u32_e32 vcc, s45, v7
	v_cmp_ne_u32_e64 s[0:1], 0, v9
	v_cndmask_b32_e32 v5, v10, v5, vcc
	v_cmp_ne_u32_e32 vcc, 0, v5
	v_cndmask_b32_e64 v7, v15, v13, s[0:1]
	v_cndmask_b32_e64 v9, v16, v14, s[0:1]
	v_cndmask_b32_e32 v7, v11, v7, vcc
	v_cndmask_b32_e32 v5, v12, v9, vcc
	v_xor_b32_e32 v7, v7, v3
	v_xor_b32_e32 v5, v5, v3
	v_sub_co_u32_e32 v10, vcc, v7, v3
	v_subb_co_u32_e32 v11, vcc, v5, v3, vcc
.LBB65_15:                              ;   in Loop: Header=BB65_13 Depth=2
	s_andn2_saveexec_b64 s[0:1], s[40:41]
	s_cbranch_execz .LBB65_17
; %bb.16:                               ;   in Loop: Header=BB65_13 Depth=2
	v_cvt_f32_u32_e32 v3, s17
	s_sub_i32 s35, 0, s17
	v_mov_b32_e32 v11, v2
	v_rcp_iflag_f32_e32 v3, v3
	v_mul_f32_e32 v3, 0x4f7ffffe, v3
	v_cvt_u32_f32_e32 v3, v3
	v_mul_lo_u32 v5, s35, v3
	v_mul_hi_u32 v5, v3, v5
	v_add_u32_e32 v3, v3, v5
	v_mul_hi_u32 v3, v8, v3
	v_mul_lo_u32 v5, v3, s17
	v_add_u32_e32 v7, 1, v3
	v_sub_u32_e32 v5, v8, v5
	v_subrev_u32_e32 v9, s17, v5
	v_cmp_le_u32_e32 vcc, s17, v5
	v_cndmask_b32_e32 v5, v5, v9, vcc
	v_cndmask_b32_e32 v3, v3, v7, vcc
	v_add_u32_e32 v7, 1, v3
	v_cmp_le_u32_e32 vcc, s17, v5
	v_cndmask_b32_e32 v10, v3, v7, vcc
.LBB65_17:                              ;   in Loop: Header=BB65_13 Depth=2
	s_or_b64 exec, exec, s[0:1]
	s_add_u32 s0, s4, s36
	s_addc_u32 s1, s5, s37
	v_mul_lo_u32 v3, v10, s17
	s_load_dword s17, s[38:39], 0x6c
	s_load_dword s35, s[0:1], 0x6c
	s_add_i32 s20, s20, -1
	v_sub_u32_e32 v3, v8, v3
	s_waitcnt lgkmcnt(0)
	v_mad_u64_u32 v[6:7], s[0:1], s17, v3, v[6:7]
	v_mad_u64_u32 v[4:5], s[0:1], s35, v3, v[4:5]
	s_xor_b32 s0, s52, s15
	s_add_i32 s15, s15, 1
	s_cmp_lg_u32 s0, 2
	s_cbranch_scc0 .LBB65_19
; %bb.18:                               ;   in Loop: Header=BB65_13 Depth=2
	v_mov_b32_e32 v8, v10
	v_mov_b32_e32 v9, v11
	s_branch .LBB65_13
.LBB65_19:                              ;   in Loop: Header=BB65_3 Depth=1
	v_mov_b32_e32 v8, v10
	s_mov_b32 s0, s20
	v_mov_b32_e32 v9, v11
.LBB65_20:                              ;   in Loop: Header=BB65_3 Depth=1
	s_and_b64 vcc, exec, s[24:25]
	s_mov_b32 s20, s0
	s_cbranch_vccz .LBB65_39
.LBB65_21:                              ;   Parent Loop BB65_3 Depth=1
                                        ; =>  This Inner Loop Header: Depth=2
	s_lshl_b64 s[36:37], s[20:21], 2
	s_add_u32 s38, s46, s36
	s_addc_u32 s39, s47, s37
	s_load_dword s15, s[38:39], 0x8
                                        ; implicit-def: $vgpr10_vgpr11
	s_waitcnt lgkmcnt(0)
	s_ashr_i32 s0, s15, 31
	v_or_b32_e32 v3, s0, v9
	v_cmp_ne_u64_e32 vcc, 0, v[2:3]
	s_and_saveexec_b64 s[40:41], vcc
	s_xor_b64 s[40:41], exec, s[40:41]
	s_cbranch_execz .LBB65_23
; %bb.22:                               ;   in Loop: Header=BB65_21 Depth=2
	s_ashr_i32 s42, s0, 31
	s_add_u32 s44, s15, s42
	s_mov_b32 s43, s42
	s_addc_u32 s45, s0, s42
	s_xor_b64 s[44:45], s[44:45], s[42:43]
	v_cvt_f32_u32_e32 v3, s44
	v_cvt_f32_u32_e32 v5, s45
	s_sub_u32 s17, 0, s44
	s_subb_u32 s35, 0, s45
	v_mac_f32_e32 v3, 0x4f800000, v5
	v_rcp_f32_e32 v3, v3
	v_mul_f32_e32 v3, 0x5f7ffffc, v3
	v_mul_f32_e32 v5, 0x2f800000, v3
	v_trunc_f32_e32 v5, v5
	v_mac_f32_e32 v3, 0xcf800000, v5
	v_cvt_u32_f32_e32 v5, v5
	v_cvt_u32_f32_e32 v3, v3
	v_readfirstlane_b32 s43, v5
	v_readfirstlane_b32 s0, v3
	s_mul_i32 s1, s17, s43
	s_mul_hi_u32 s54, s17, s0
	s_mul_i32 s53, s35, s0
	s_add_i32 s1, s54, s1
	s_add_i32 s1, s1, s53
	s_mul_i32 s55, s17, s0
	s_mul_i32 s54, s0, s1
	s_mul_hi_u32 s56, s0, s55
	s_mul_hi_u32 s53, s0, s1
	s_add_u32 s54, s56, s54
	s_addc_u32 s53, 0, s53
	s_mul_hi_u32 s57, s43, s55
	s_mul_i32 s55, s43, s55
	s_add_u32 s54, s54, s55
	s_mul_hi_u32 s56, s43, s1
	s_addc_u32 s53, s53, s57
	s_addc_u32 s54, s56, 0
	s_mul_i32 s1, s43, s1
	s_add_u32 s1, s53, s1
	s_addc_u32 s53, 0, s54
	s_add_u32 s54, s0, s1
	s_cselect_b64 s[0:1], -1, 0
	s_cmp_lg_u64 s[0:1], 0
	s_addc_u32 s43, s43, s53
	s_mul_i32 s0, s17, s43
	s_mul_hi_u32 s1, s17, s54
	s_add_i32 s0, s1, s0
	s_mul_i32 s35, s35, s54
	s_add_i32 s0, s0, s35
	s_mul_i32 s17, s17, s54
	s_mul_hi_u32 s35, s43, s17
	s_mul_i32 s53, s43, s17
	s_mul_i32 s56, s54, s0
	s_mul_hi_u32 s17, s54, s17
	s_mul_hi_u32 s55, s54, s0
	s_add_u32 s17, s17, s56
	s_addc_u32 s55, 0, s55
	s_add_u32 s17, s17, s53
	s_mul_hi_u32 s1, s43, s0
	s_addc_u32 s17, s55, s35
	s_addc_u32 s1, s1, 0
	s_mul_i32 s0, s43, s0
	s_add_u32 s0, s17, s0
	s_addc_u32 s17, 0, s1
	s_add_u32 s35, s54, s0
	s_cselect_b64 s[0:1], -1, 0
	v_ashrrev_i32_e32 v3, 31, v9
	s_cmp_lg_u64 s[0:1], 0
	v_add_co_u32_e32 v5, vcc, v8, v3
	s_addc_u32 s17, s43, s17
	v_xor_b32_e32 v5, v5, v3
	v_addc_co_u32_e32 v7, vcc, v9, v3, vcc
	v_mad_u64_u32 v[9:10], s[0:1], v5, s17, 0
	v_mul_hi_u32 v11, v5, s35
	v_xor_b32_e32 v7, v7, v3
	v_xor_b32_e32 v3, s42, v3
	v_add_co_u32_e32 v13, vcc, v11, v9
	v_addc_co_u32_e32 v14, vcc, 0, v10, vcc
	v_mad_u64_u32 v[9:10], s[0:1], v7, s35, 0
	v_mad_u64_u32 v[11:12], s[0:1], v7, s17, 0
	v_add_co_u32_e32 v9, vcc, v13, v9
	v_addc_co_u32_e32 v9, vcc, v14, v10, vcc
	v_addc_co_u32_e32 v10, vcc, 0, v12, vcc
	v_add_co_u32_e32 v11, vcc, v9, v11
	v_addc_co_u32_e32 v12, vcc, 0, v10, vcc
	v_mul_lo_u32 v13, s45, v11
	v_mul_lo_u32 v14, s44, v12
	v_mad_u64_u32 v[9:10], s[0:1], s44, v11, 0
	v_add3_u32 v10, v10, v14, v13
	v_sub_u32_e32 v13, v7, v10
	v_mov_b32_e32 v14, s45
	v_sub_co_u32_e32 v5, vcc, v5, v9
	v_subb_co_u32_e64 v9, s[0:1], v13, v14, vcc
	v_subrev_co_u32_e64 v13, s[0:1], s44, v5
	v_subbrev_co_u32_e64 v9, s[0:1], 0, v9, s[0:1]
	v_cmp_le_u32_e64 s[0:1], s45, v9
	v_cndmask_b32_e64 v14, 0, -1, s[0:1]
	v_cmp_le_u32_e64 s[0:1], s44, v13
	v_cndmask_b32_e64 v13, 0, -1, s[0:1]
	v_cmp_eq_u32_e64 s[0:1], s45, v9
	v_cndmask_b32_e64 v9, v14, v13, s[0:1]
	v_add_co_u32_e64 v13, s[0:1], 2, v11
	v_subb_co_u32_e32 v7, vcc, v7, v10, vcc
	v_addc_co_u32_e64 v14, s[0:1], 0, v12, s[0:1]
	v_cmp_le_u32_e32 vcc, s45, v7
	v_add_co_u32_e64 v15, s[0:1], 1, v11
	v_cndmask_b32_e64 v10, 0, -1, vcc
	v_cmp_le_u32_e32 vcc, s44, v5
	v_addc_co_u32_e64 v16, s[0:1], 0, v12, s[0:1]
	v_cndmask_b32_e64 v5, 0, -1, vcc
	v_cmp_eq_u32_e32 vcc, s45, v7
	v_cmp_ne_u32_e64 s[0:1], 0, v9
	v_cndmask_b32_e32 v5, v10, v5, vcc
	v_cmp_ne_u32_e32 vcc, 0, v5
	v_cndmask_b32_e64 v7, v15, v13, s[0:1]
	v_cndmask_b32_e64 v9, v16, v14, s[0:1]
	v_cndmask_b32_e32 v7, v11, v7, vcc
	v_cndmask_b32_e32 v5, v12, v9, vcc
	v_xor_b32_e32 v7, v7, v3
	v_xor_b32_e32 v5, v5, v3
	v_sub_co_u32_e32 v10, vcc, v7, v3
	v_subb_co_u32_e32 v11, vcc, v5, v3, vcc
.LBB65_23:                              ;   in Loop: Header=BB65_21 Depth=2
	s_andn2_saveexec_b64 s[0:1], s[40:41]
	s_cbranch_execz .LBB65_25
; %bb.24:                               ;   in Loop: Header=BB65_21 Depth=2
	v_cvt_f32_u32_e32 v3, s15
	s_sub_i32 s17, 0, s15
	v_mov_b32_e32 v11, v2
	v_rcp_iflag_f32_e32 v3, v3
	v_mul_f32_e32 v3, 0x4f7ffffe, v3
	v_cvt_u32_f32_e32 v3, v3
	v_mul_lo_u32 v5, s17, v3
	v_mul_hi_u32 v5, v3, v5
	v_add_u32_e32 v3, v3, v5
	v_mul_hi_u32 v3, v8, v3
	v_mul_lo_u32 v5, v3, s15
	v_add_u32_e32 v7, 1, v3
	v_sub_u32_e32 v5, v8, v5
	v_subrev_u32_e32 v9, s15, v5
	v_cmp_le_u32_e32 vcc, s15, v5
	v_cndmask_b32_e32 v5, v5, v9, vcc
	v_cndmask_b32_e32 v3, v3, v7, vcc
	v_add_u32_e32 v7, 1, v3
	v_cmp_le_u32_e32 vcc, s15, v5
	v_cndmask_b32_e32 v10, v3, v7, vcc
.LBB65_25:                              ;   in Loop: Header=BB65_21 Depth=2
	s_or_b64 exec, exec, s[0:1]
	s_add_u32 s0, s4, s36
	s_addc_u32 s1, s5, s37
	s_add_i32 s36, s20, -1
	s_mov_b32 s37, s21
	s_lshl_b64 s[40:41], s[36:37], 2
	s_add_u32 s36, s46, s40
	s_addc_u32 s37, s47, s41
	s_load_dword s53, s[36:37], 0x8
	s_load_dword s35, s[38:39], 0x6c
	;; [unrolled: 1-line block ×3, first 2 shown]
                                        ; implicit-def: $vgpr12_vgpr13
	s_waitcnt lgkmcnt(0)
	s_ashr_i32 s0, s53, 31
	v_or_b32_e32 v3, s0, v11
	v_cmp_ne_u64_e32 vcc, 0, v[2:3]
	s_and_saveexec_b64 s[38:39], vcc
	s_xor_b64 s[38:39], exec, s[38:39]
	s_cbranch_execz .LBB65_27
; %bb.26:                               ;   in Loop: Header=BB65_21 Depth=2
	s_ashr_i32 s42, s0, 31
	s_add_u32 s44, s53, s42
	s_mov_b32 s43, s42
	s_addc_u32 s45, s0, s42
	s_xor_b64 s[44:45], s[44:45], s[42:43]
	v_cvt_f32_u32_e32 v3, s44
	v_cvt_f32_u32_e32 v5, s45
	s_sub_u32 s43, 0, s44
	s_subb_u32 s54, 0, s45
	v_mac_f32_e32 v3, 0x4f800000, v5
	v_rcp_f32_e32 v3, v3
	v_mul_f32_e32 v3, 0x5f7ffffc, v3
	v_mul_f32_e32 v5, 0x2f800000, v3
	v_trunc_f32_e32 v5, v5
	v_mac_f32_e32 v3, 0xcf800000, v5
	v_cvt_u32_f32_e32 v5, v5
	v_cvt_u32_f32_e32 v3, v3
	v_readfirstlane_b32 s55, v5
	v_readfirstlane_b32 s0, v3
	s_mul_i32 s1, s43, s55
	s_mul_hi_u32 s57, s43, s0
	s_mul_i32 s56, s54, s0
	s_add_i32 s1, s57, s1
	s_add_i32 s1, s1, s56
	s_mul_i32 s58, s43, s0
	s_mul_i32 s57, s0, s1
	s_mul_hi_u32 s59, s0, s58
	s_mul_hi_u32 s56, s0, s1
	s_add_u32 s57, s59, s57
	s_addc_u32 s56, 0, s56
	s_mul_hi_u32 s60, s55, s58
	s_mul_i32 s58, s55, s58
	s_add_u32 s57, s57, s58
	s_mul_hi_u32 s59, s55, s1
	s_addc_u32 s56, s56, s60
	s_addc_u32 s57, s59, 0
	s_mul_i32 s1, s55, s1
	s_add_u32 s1, s56, s1
	s_addc_u32 s56, 0, s57
	s_add_u32 s57, s0, s1
	s_cselect_b64 s[0:1], -1, 0
	s_cmp_lg_u64 s[0:1], 0
	s_addc_u32 s55, s55, s56
	s_mul_i32 s0, s43, s55
	s_mul_hi_u32 s1, s43, s57
	s_add_i32 s0, s1, s0
	s_mul_i32 s54, s54, s57
	s_add_i32 s0, s0, s54
	s_mul_i32 s43, s43, s57
	s_mul_hi_u32 s54, s55, s43
	s_mul_i32 s56, s55, s43
	s_mul_i32 s59, s57, s0
	s_mul_hi_u32 s43, s57, s43
	s_mul_hi_u32 s58, s57, s0
	s_add_u32 s43, s43, s59
	s_addc_u32 s58, 0, s58
	s_add_u32 s43, s43, s56
	s_mul_hi_u32 s1, s55, s0
	s_addc_u32 s43, s58, s54
	s_addc_u32 s1, s1, 0
	s_mul_i32 s0, s55, s0
	s_add_u32 s0, s43, s0
	s_addc_u32 s43, 0, s1
	s_add_u32 s54, s57, s0
	s_cselect_b64 s[0:1], -1, 0
	v_ashrrev_i32_e32 v3, 31, v11
	s_cmp_lg_u64 s[0:1], 0
	v_add_co_u32_e32 v5, vcc, v10, v3
	s_addc_u32 s43, s55, s43
	v_xor_b32_e32 v5, v5, v3
	v_addc_co_u32_e32 v7, vcc, v11, v3, vcc
	v_mad_u64_u32 v[11:12], s[0:1], v5, s43, 0
	v_mul_hi_u32 v9, v5, s54
	v_xor_b32_e32 v7, v7, v3
	v_mad_u64_u32 v[13:14], s[0:1], v7, s43, 0
	v_add_co_u32_e32 v9, vcc, v9, v11
	v_addc_co_u32_e32 v15, vcc, 0, v12, vcc
	v_mad_u64_u32 v[11:12], s[0:1], v7, s54, 0
	v_xor_b32_e32 v3, s42, v3
	v_add_co_u32_e32 v9, vcc, v9, v11
	v_addc_co_u32_e32 v9, vcc, v15, v12, vcc
	v_addc_co_u32_e32 v11, vcc, 0, v14, vcc
	v_add_co_u32_e32 v9, vcc, v9, v13
	v_addc_co_u32_e32 v13, vcc, 0, v11, vcc
	v_mul_lo_u32 v14, s45, v9
	v_mul_lo_u32 v15, s44, v13
	v_mad_u64_u32 v[11:12], s[0:1], s44, v9, 0
	v_add3_u32 v12, v12, v15, v14
	v_sub_u32_e32 v14, v7, v12
	v_mov_b32_e32 v15, s45
	v_sub_co_u32_e32 v5, vcc, v5, v11
	v_subb_co_u32_e64 v11, s[0:1], v14, v15, vcc
	v_subrev_co_u32_e64 v14, s[0:1], s44, v5
	v_subbrev_co_u32_e64 v11, s[0:1], 0, v11, s[0:1]
	v_cmp_le_u32_e64 s[0:1], s45, v11
	v_cndmask_b32_e64 v15, 0, -1, s[0:1]
	v_cmp_le_u32_e64 s[0:1], s44, v14
	v_cndmask_b32_e64 v14, 0, -1, s[0:1]
	v_cmp_eq_u32_e64 s[0:1], s45, v11
	v_cndmask_b32_e64 v11, v15, v14, s[0:1]
	v_add_co_u32_e64 v14, s[0:1], 2, v9
	v_subb_co_u32_e32 v7, vcc, v7, v12, vcc
	v_addc_co_u32_e64 v15, s[0:1], 0, v13, s[0:1]
	v_cmp_le_u32_e32 vcc, s45, v7
	v_add_co_u32_e64 v16, s[0:1], 1, v9
	v_cndmask_b32_e64 v12, 0, -1, vcc
	v_cmp_le_u32_e32 vcc, s44, v5
	v_addc_co_u32_e64 v17, s[0:1], 0, v13, s[0:1]
	v_cndmask_b32_e64 v5, 0, -1, vcc
	v_cmp_eq_u32_e32 vcc, s45, v7
	v_cmp_ne_u32_e64 s[0:1], 0, v11
	v_cndmask_b32_e32 v5, v12, v5, vcc
	v_cmp_ne_u32_e32 vcc, 0, v5
	v_cndmask_b32_e64 v7, v16, v14, s[0:1]
	v_cndmask_b32_e64 v11, v17, v15, s[0:1]
	v_cndmask_b32_e32 v7, v9, v7, vcc
	v_cndmask_b32_e32 v5, v13, v11, vcc
	v_xor_b32_e32 v7, v7, v3
	v_xor_b32_e32 v5, v5, v3
	v_sub_co_u32_e32 v12, vcc, v7, v3
	v_subb_co_u32_e32 v13, vcc, v5, v3, vcc
.LBB65_27:                              ;   in Loop: Header=BB65_21 Depth=2
	s_andn2_saveexec_b64 s[0:1], s[38:39]
	s_cbranch_execz .LBB65_29
; %bb.28:                               ;   in Loop: Header=BB65_21 Depth=2
	v_cvt_f32_u32_e32 v3, s53
	s_sub_i32 s38, 0, s53
	v_mov_b32_e32 v13, v2
	v_rcp_iflag_f32_e32 v3, v3
	v_mul_f32_e32 v3, 0x4f7ffffe, v3
	v_cvt_u32_f32_e32 v3, v3
	v_mul_lo_u32 v5, s38, v3
	v_mul_hi_u32 v5, v3, v5
	v_add_u32_e32 v3, v3, v5
	v_mul_hi_u32 v3, v10, v3
	v_mul_lo_u32 v5, v3, s53
	v_add_u32_e32 v7, 1, v3
	v_sub_u32_e32 v5, v10, v5
	v_subrev_u32_e32 v9, s53, v5
	v_cmp_le_u32_e32 vcc, s53, v5
	v_cndmask_b32_e32 v5, v5, v9, vcc
	v_cndmask_b32_e32 v3, v3, v7, vcc
	v_add_u32_e32 v7, 1, v3
	v_cmp_le_u32_e32 vcc, s53, v5
	v_cndmask_b32_e32 v12, v3, v7, vcc
.LBB65_29:                              ;   in Loop: Header=BB65_21 Depth=2
	s_or_b64 exec, exec, s[0:1]
	s_add_u32 s0, s4, s40
	s_addc_u32 s1, s5, s41
	s_add_i32 s38, s20, -2
	s_mov_b32 s39, s21
	s_lshl_b64 s[38:39], s[38:39], 2
	s_add_u32 s40, s46, s38
	s_addc_u32 s41, s47, s39
	s_load_dword s55, s[40:41], 0x8
	s_load_dword s56, s[36:37], 0x6c
	;; [unrolled: 1-line block ×3, first 2 shown]
                                        ; implicit-def: $vgpr14_vgpr15
	s_waitcnt lgkmcnt(0)
	s_ashr_i32 s0, s55, 31
	v_or_b32_e32 v3, s0, v13
	v_cmp_ne_u64_e32 vcc, 0, v[2:3]
	s_and_saveexec_b64 s[36:37], vcc
	s_xor_b64 s[36:37], exec, s[36:37]
	s_cbranch_execz .LBB65_31
; %bb.30:                               ;   in Loop: Header=BB65_21 Depth=2
	s_ashr_i32 s42, s0, 31
	s_add_u32 s44, s55, s42
	s_mov_b32 s43, s42
	s_addc_u32 s45, s0, s42
	s_xor_b64 s[44:45], s[44:45], s[42:43]
	v_cvt_f32_u32_e32 v3, s44
	v_cvt_f32_u32_e32 v5, s45
	s_sub_u32 s43, 0, s44
	s_subb_u32 s57, 0, s45
	v_mac_f32_e32 v3, 0x4f800000, v5
	v_rcp_f32_e32 v3, v3
	v_mul_f32_e32 v3, 0x5f7ffffc, v3
	v_mul_f32_e32 v5, 0x2f800000, v3
	v_trunc_f32_e32 v5, v5
	v_mac_f32_e32 v3, 0xcf800000, v5
	v_cvt_u32_f32_e32 v5, v5
	v_cvt_u32_f32_e32 v3, v3
	v_readfirstlane_b32 s58, v5
	v_readfirstlane_b32 s0, v3
	s_mul_i32 s1, s43, s58
	s_mul_hi_u32 s60, s43, s0
	s_mul_i32 s59, s57, s0
	s_add_i32 s1, s60, s1
	s_add_i32 s1, s1, s59
	s_mul_i32 s61, s43, s0
	s_mul_i32 s60, s0, s1
	s_mul_hi_u32 s62, s0, s61
	s_mul_hi_u32 s59, s0, s1
	s_add_u32 s60, s62, s60
	s_addc_u32 s59, 0, s59
	s_mul_hi_u32 s63, s58, s61
	s_mul_i32 s61, s58, s61
	s_add_u32 s60, s60, s61
	s_mul_hi_u32 s62, s58, s1
	s_addc_u32 s59, s59, s63
	s_addc_u32 s60, s62, 0
	s_mul_i32 s1, s58, s1
	s_add_u32 s1, s59, s1
	s_addc_u32 s59, 0, s60
	s_add_u32 s60, s0, s1
	s_cselect_b64 s[0:1], -1, 0
	s_cmp_lg_u64 s[0:1], 0
	s_addc_u32 s58, s58, s59
	s_mul_i32 s0, s43, s58
	s_mul_hi_u32 s1, s43, s60
	s_add_i32 s0, s1, s0
	s_mul_i32 s57, s57, s60
	s_add_i32 s0, s0, s57
	s_mul_i32 s43, s43, s60
	s_mul_hi_u32 s57, s58, s43
	s_mul_i32 s59, s58, s43
	s_mul_i32 s62, s60, s0
	s_mul_hi_u32 s43, s60, s43
	s_mul_hi_u32 s61, s60, s0
	s_add_u32 s43, s43, s62
	s_addc_u32 s61, 0, s61
	s_add_u32 s43, s43, s59
	s_mul_hi_u32 s1, s58, s0
	s_addc_u32 s43, s61, s57
	s_addc_u32 s1, s1, 0
	s_mul_i32 s0, s58, s0
	s_add_u32 s0, s43, s0
	s_addc_u32 s43, 0, s1
	s_add_u32 s57, s60, s0
	s_cselect_b64 s[0:1], -1, 0
	v_ashrrev_i32_e32 v3, 31, v13
	s_cmp_lg_u64 s[0:1], 0
	v_add_co_u32_e32 v5, vcc, v12, v3
	s_addc_u32 s43, s58, s43
	v_xor_b32_e32 v5, v5, v3
	v_addc_co_u32_e32 v7, vcc, v13, v3, vcc
	v_mad_u64_u32 v[13:14], s[0:1], v5, s43, 0
	v_mul_hi_u32 v9, v5, s57
	v_xor_b32_e32 v7, v7, v3
	v_mad_u64_u32 v[15:16], s[0:1], v7, s43, 0
	v_add_co_u32_e32 v9, vcc, v9, v13
	v_addc_co_u32_e32 v11, vcc, 0, v14, vcc
	v_mad_u64_u32 v[13:14], s[0:1], v7, s57, 0
	v_xor_b32_e32 v3, s42, v3
	v_add_co_u32_e32 v9, vcc, v9, v13
	v_addc_co_u32_e32 v9, vcc, v11, v14, vcc
	v_addc_co_u32_e32 v11, vcc, 0, v16, vcc
	v_add_co_u32_e32 v9, vcc, v9, v15
	v_addc_co_u32_e32 v11, vcc, 0, v11, vcc
	v_mul_lo_u32 v15, s45, v9
	v_mul_lo_u32 v16, s44, v11
	v_mad_u64_u32 v[13:14], s[0:1], s44, v9, 0
	v_add3_u32 v14, v14, v16, v15
	v_sub_u32_e32 v15, v7, v14
	v_mov_b32_e32 v16, s45
	v_sub_co_u32_e32 v5, vcc, v5, v13
	v_subb_co_u32_e64 v13, s[0:1], v15, v16, vcc
	v_subrev_co_u32_e64 v15, s[0:1], s44, v5
	v_subbrev_co_u32_e64 v13, s[0:1], 0, v13, s[0:1]
	v_cmp_le_u32_e64 s[0:1], s45, v13
	v_cndmask_b32_e64 v16, 0, -1, s[0:1]
	v_cmp_le_u32_e64 s[0:1], s44, v15
	v_cndmask_b32_e64 v15, 0, -1, s[0:1]
	v_cmp_eq_u32_e64 s[0:1], s45, v13
	v_cndmask_b32_e64 v13, v16, v15, s[0:1]
	v_add_co_u32_e64 v15, s[0:1], 2, v9
	v_subb_co_u32_e32 v7, vcc, v7, v14, vcc
	v_addc_co_u32_e64 v16, s[0:1], 0, v11, s[0:1]
	v_cmp_le_u32_e32 vcc, s45, v7
	v_add_co_u32_e64 v17, s[0:1], 1, v9
	v_cndmask_b32_e64 v14, 0, -1, vcc
	v_cmp_le_u32_e32 vcc, s44, v5
	v_addc_co_u32_e64 v20, s[0:1], 0, v11, s[0:1]
	v_cndmask_b32_e64 v5, 0, -1, vcc
	v_cmp_eq_u32_e32 vcc, s45, v7
	v_cmp_ne_u32_e64 s[0:1], 0, v13
	v_cndmask_b32_e32 v5, v14, v5, vcc
	v_cmp_ne_u32_e32 vcc, 0, v5
	v_cndmask_b32_e64 v7, v17, v15, s[0:1]
	v_cndmask_b32_e64 v13, v20, v16, s[0:1]
	v_cndmask_b32_e32 v7, v9, v7, vcc
	v_cndmask_b32_e32 v5, v11, v13, vcc
	v_xor_b32_e32 v7, v7, v3
	v_xor_b32_e32 v5, v5, v3
	v_sub_co_u32_e32 v14, vcc, v7, v3
	v_subb_co_u32_e32 v15, vcc, v5, v3, vcc
.LBB65_31:                              ;   in Loop: Header=BB65_21 Depth=2
	s_andn2_saveexec_b64 s[0:1], s[36:37]
	s_cbranch_execz .LBB65_33
; %bb.32:                               ;   in Loop: Header=BB65_21 Depth=2
	v_cvt_f32_u32_e32 v3, s55
	s_sub_i32 s36, 0, s55
	v_mov_b32_e32 v15, v2
	v_rcp_iflag_f32_e32 v3, v3
	v_mul_f32_e32 v3, 0x4f7ffffe, v3
	v_cvt_u32_f32_e32 v3, v3
	v_mul_lo_u32 v5, s36, v3
	v_mul_hi_u32 v5, v3, v5
	v_add_u32_e32 v3, v3, v5
	v_mul_hi_u32 v3, v12, v3
	v_mul_lo_u32 v5, v3, s55
	v_add_u32_e32 v7, 1, v3
	v_sub_u32_e32 v5, v12, v5
	v_subrev_u32_e32 v9, s55, v5
	v_cmp_le_u32_e32 vcc, s55, v5
	v_cndmask_b32_e32 v5, v5, v9, vcc
	v_cndmask_b32_e32 v3, v3, v7, vcc
	v_add_u32_e32 v7, 1, v3
	v_cmp_le_u32_e32 vcc, s55, v5
	v_cndmask_b32_e32 v14, v3, v7, vcc
.LBB65_33:                              ;   in Loop: Header=BB65_21 Depth=2
	s_or_b64 exec, exec, s[0:1]
	s_add_u32 s0, s4, s38
	s_addc_u32 s1, s5, s39
	s_add_i32 s36, s20, -3
	s_mov_b32 s37, s21
	s_lshl_b64 s[36:37], s[36:37], 2
	s_add_u32 s38, s46, s36
	s_addc_u32 s39, s47, s37
	s_load_dword s58, s[38:39], 0x8
	s_load_dword s59, s[40:41], 0x6c
	s_load_dword s57, s[0:1], 0x6c
                                        ; implicit-def: $vgpr16_vgpr17
	s_waitcnt lgkmcnt(0)
	s_ashr_i32 s0, s58, 31
	v_or_b32_e32 v3, s0, v15
	v_cmp_ne_u64_e32 vcc, 0, v[2:3]
	s_and_saveexec_b64 s[40:41], vcc
	s_xor_b64 s[40:41], exec, s[40:41]
	s_cbranch_execz .LBB65_35
; %bb.34:                               ;   in Loop: Header=BB65_21 Depth=2
	s_ashr_i32 s42, s0, 31
	s_add_u32 s44, s58, s42
	s_mov_b32 s43, s42
	s_addc_u32 s45, s0, s42
	s_xor_b64 s[44:45], s[44:45], s[42:43]
	v_cvt_f32_u32_e32 v3, s44
	v_cvt_f32_u32_e32 v5, s45
	s_sub_u32 s43, 0, s44
	s_subb_u32 s60, 0, s45
	v_mac_f32_e32 v3, 0x4f800000, v5
	v_rcp_f32_e32 v3, v3
	v_mul_f32_e32 v3, 0x5f7ffffc, v3
	v_mul_f32_e32 v5, 0x2f800000, v3
	v_trunc_f32_e32 v5, v5
	v_mac_f32_e32 v3, 0xcf800000, v5
	v_cvt_u32_f32_e32 v5, v5
	v_cvt_u32_f32_e32 v3, v3
	v_readfirstlane_b32 s61, v5
	v_readfirstlane_b32 s0, v3
	s_mul_i32 s1, s43, s61
	s_mul_hi_u32 s63, s43, s0
	s_mul_i32 s62, s60, s0
	s_add_i32 s1, s63, s1
	s_add_i32 s1, s1, s62
	s_mul_i32 s64, s43, s0
	s_mul_i32 s63, s0, s1
	s_mul_hi_u32 s65, s0, s64
	s_mul_hi_u32 s62, s0, s1
	s_add_u32 s63, s65, s63
	s_addc_u32 s62, 0, s62
	s_mul_hi_u32 s66, s61, s64
	s_mul_i32 s64, s61, s64
	s_add_u32 s63, s63, s64
	s_mul_hi_u32 s65, s61, s1
	s_addc_u32 s62, s62, s66
	s_addc_u32 s63, s65, 0
	s_mul_i32 s1, s61, s1
	s_add_u32 s1, s62, s1
	s_addc_u32 s62, 0, s63
	s_add_u32 s63, s0, s1
	s_cselect_b64 s[0:1], -1, 0
	s_cmp_lg_u64 s[0:1], 0
	s_addc_u32 s61, s61, s62
	s_mul_i32 s0, s43, s61
	s_mul_hi_u32 s1, s43, s63
	s_add_i32 s0, s1, s0
	s_mul_i32 s60, s60, s63
	s_add_i32 s0, s0, s60
	s_mul_i32 s43, s43, s63
	s_mul_hi_u32 s60, s61, s43
	s_mul_i32 s62, s61, s43
	s_mul_i32 s65, s63, s0
	s_mul_hi_u32 s43, s63, s43
	s_mul_hi_u32 s64, s63, s0
	s_add_u32 s43, s43, s65
	s_addc_u32 s64, 0, s64
	s_add_u32 s43, s43, s62
	s_mul_hi_u32 s1, s61, s0
	s_addc_u32 s43, s64, s60
	s_addc_u32 s1, s1, 0
	s_mul_i32 s0, s61, s0
	s_add_u32 s0, s43, s0
	s_addc_u32 s43, 0, s1
	s_add_u32 s60, s63, s0
	s_cselect_b64 s[0:1], -1, 0
	v_ashrrev_i32_e32 v3, 31, v15
	s_cmp_lg_u64 s[0:1], 0
	v_add_co_u32_e32 v5, vcc, v14, v3
	s_addc_u32 s43, s61, s43
	v_xor_b32_e32 v5, v5, v3
	v_addc_co_u32_e32 v7, vcc, v15, v3, vcc
	v_mad_u64_u32 v[15:16], s[0:1], v5, s43, 0
	v_mul_hi_u32 v9, v5, s60
	v_xor_b32_e32 v7, v7, v3
	v_mad_u64_u32 v[20:21], s[0:1], v7, s43, 0
	v_add_co_u32_e32 v9, vcc, v9, v15
	v_addc_co_u32_e32 v11, vcc, 0, v16, vcc
	v_mad_u64_u32 v[15:16], s[0:1], v7, s60, 0
	v_xor_b32_e32 v3, s42, v3
	v_add_co_u32_e32 v9, vcc, v9, v15
	v_addc_co_u32_e32 v9, vcc, v11, v16, vcc
	v_addc_co_u32_e32 v11, vcc, 0, v21, vcc
	v_add_co_u32_e32 v9, vcc, v9, v20
	v_addc_co_u32_e32 v11, vcc, 0, v11, vcc
	v_mul_lo_u32 v13, s45, v9
	v_mul_lo_u32 v17, s44, v11
	v_mad_u64_u32 v[15:16], s[0:1], s44, v9, 0
	v_add3_u32 v13, v16, v17, v13
	v_sub_u32_e32 v16, v7, v13
	v_mov_b32_e32 v17, s45
	v_sub_co_u32_e32 v5, vcc, v5, v15
	v_subb_co_u32_e64 v15, s[0:1], v16, v17, vcc
	v_subrev_co_u32_e64 v16, s[0:1], s44, v5
	v_subbrev_co_u32_e64 v15, s[0:1], 0, v15, s[0:1]
	v_cmp_le_u32_e64 s[0:1], s45, v15
	v_cndmask_b32_e64 v17, 0, -1, s[0:1]
	v_cmp_le_u32_e64 s[0:1], s44, v16
	v_cndmask_b32_e64 v16, 0, -1, s[0:1]
	v_cmp_eq_u32_e64 s[0:1], s45, v15
	v_cndmask_b32_e64 v15, v17, v16, s[0:1]
	v_add_co_u32_e64 v16, s[0:1], 2, v9
	v_subb_co_u32_e32 v7, vcc, v7, v13, vcc
	v_addc_co_u32_e64 v17, s[0:1], 0, v11, s[0:1]
	v_cmp_le_u32_e32 vcc, s45, v7
	v_add_co_u32_e64 v20, s[0:1], 1, v9
	v_cndmask_b32_e64 v13, 0, -1, vcc
	v_cmp_le_u32_e32 vcc, s44, v5
	v_addc_co_u32_e64 v21, s[0:1], 0, v11, s[0:1]
	v_cndmask_b32_e64 v5, 0, -1, vcc
	v_cmp_eq_u32_e32 vcc, s45, v7
	v_cmp_ne_u32_e64 s[0:1], 0, v15
	v_cndmask_b32_e32 v5, v13, v5, vcc
	v_cmp_ne_u32_e32 vcc, 0, v5
	v_cndmask_b32_e64 v7, v20, v16, s[0:1]
	v_cndmask_b32_e64 v15, v21, v17, s[0:1]
	v_cndmask_b32_e32 v7, v9, v7, vcc
	v_cndmask_b32_e32 v5, v11, v15, vcc
	v_xor_b32_e32 v7, v7, v3
	v_xor_b32_e32 v5, v5, v3
	v_sub_co_u32_e32 v16, vcc, v7, v3
	v_subb_co_u32_e32 v17, vcc, v5, v3, vcc
.LBB65_35:                              ;   in Loop: Header=BB65_21 Depth=2
	s_andn2_saveexec_b64 s[0:1], s[40:41]
	s_cbranch_execz .LBB65_37
; %bb.36:                               ;   in Loop: Header=BB65_21 Depth=2
	v_cvt_f32_u32_e32 v3, s58
	s_sub_i32 s40, 0, s58
	v_mov_b32_e32 v17, v2
	v_rcp_iflag_f32_e32 v3, v3
	v_mul_f32_e32 v3, 0x4f7ffffe, v3
	v_cvt_u32_f32_e32 v3, v3
	v_mul_lo_u32 v5, s40, v3
	v_mul_hi_u32 v5, v3, v5
	v_add_u32_e32 v3, v3, v5
	v_mul_hi_u32 v3, v14, v3
	v_mul_lo_u32 v5, v3, s58
	v_add_u32_e32 v7, 1, v3
	v_sub_u32_e32 v5, v14, v5
	v_subrev_u32_e32 v9, s58, v5
	v_cmp_le_u32_e32 vcc, s58, v5
	v_cndmask_b32_e32 v5, v5, v9, vcc
	v_cndmask_b32_e32 v3, v3, v7, vcc
	v_add_u32_e32 v7, 1, v3
	v_cmp_le_u32_e32 vcc, s58, v5
	v_cndmask_b32_e32 v16, v3, v7, vcc
.LBB65_37:                              ;   in Loop: Header=BB65_21 Depth=2
	s_or_b64 exec, exec, s[0:1]
	v_mul_lo_u32 v3, v10, s15
	v_mul_lo_u32 v5, v12, s53
	;; [unrolled: 1-line block ×3, first 2 shown]
	s_add_u32 s0, s4, s36
	v_sub_u32_e32 v3, v8, v3
	v_sub_u32_e32 v5, v10, v5
	v_mul_lo_u32 v7, s35, v3
	v_mul_lo_u32 v8, s56, v5
	s_addc_u32 s1, s5, s37
	s_load_dword s15, s[38:39], 0x6c
	v_mul_lo_u32 v3, s17, v3
	v_add3_u32 v6, v7, v6, v8
	v_sub_u32_e32 v7, v12, v9
	v_mul_lo_u32 v9, v16, s58
	s_load_dword s0, s[0:1], 0x6c
	v_mul_lo_u32 v5, s54, v5
	v_mul_lo_u32 v8, s59, v7
	v_sub_u32_e32 v9, v14, v9
	s_waitcnt lgkmcnt(0)
	v_mul_lo_u32 v10, s15, v9
	v_add3_u32 v3, v3, v4, v5
	v_mul_lo_u32 v4, s57, v7
	v_mul_lo_u32 v5, s0, v9
	s_add_i32 s20, s20, -4
	v_add3_u32 v6, v8, v6, v10
	s_cmp_eq_u32 s20, -1
	v_add3_u32 v4, v4, v3, v5
	s_cbranch_scc1 .LBB65_39
; %bb.38:                               ;   in Loop: Header=BB65_21 Depth=2
	v_mov_b32_e32 v8, v16
	v_mov_b32_e32 v9, v17
	s_branch .LBB65_21
.LBB65_39:                              ;   in Loop: Header=BB65_3 Depth=1
	v_sub_u32_e32 v5, v18, v19
	v_add_u32_e32 v7, 2, v5
	v_ashrrev_i32_e32 v8, 31, v7
	v_cmp_le_i64_e32 vcc, s[8:9], v[7:8]
	v_mov_b32_e32 v7, 0
	v_mov_b32_e32 v9, 0
	;; [unrolled: 1-line block ×4, first 2 shown]
	s_and_saveexec_b64 s[0:1], vcc
	s_cbranch_execz .LBB65_45
; %bb.40:                               ;   in Loop: Header=BB65_3 Depth=1
	v_mov_b32_e32 v7, 0
	v_mov_b32_e32 v11, 0
	;; [unrolled: 1-line block ×4, first 2 shown]
	v_cmp_gt_i32_e32 vcc, s7, v18
	s_and_saveexec_b64 s[36:37], vcc
	s_cbranch_execz .LBB65_44
; %bb.41:                               ;   in Loop: Header=BB65_3 Depth=1
	v_ashrrev_i32_e32 v7, 31, v6
	v_lshlrev_b64 v[6:7], 3, v[6:7]
	v_mov_b32_e32 v3, s3
	v_add_co_u32_e32 v9, vcc, s2, v6
	v_addc_co_u32_e32 v10, vcc, v3, v7, vcc
	global_load_dwordx2 v[7:8], v[9:10], off
	v_add_u32_e32 v3, 1, v18
	v_mov_b32_e32 v11, 0
	v_mov_b32_e32 v12, 0
	v_cmp_gt_i32_e32 vcc, s7, v3
	s_and_saveexec_b64 s[38:39], vcc
	s_xor_b64 s[38:39], exec, s[38:39]
	s_cbranch_execz .LBB65_43
; %bb.42:                               ;   in Loop: Header=BB65_3 Depth=1
	s_lshl_b64 s[40:41], s[26:27], 3
	v_mov_b32_e32 v3, s41
	v_add_co_u32_e32 v9, vcc, s40, v9
	v_addc_co_u32_e32 v10, vcc, v10, v3, vcc
	global_load_dwordx2 v[11:12], v[9:10], off
.LBB65_43:                              ;   in Loop: Header=BB65_3 Depth=1
	s_or_b64 exec, exec, s[38:39]
.LBB65_44:                              ;   in Loop: Header=BB65_3 Depth=1
	s_or_b64 exec, exec, s[36:37]
	v_ashrrev_i32_e32 v6, 31, v5
	v_cmp_le_i64_e32 vcc, s[8:9], v[5:6]
	v_add_u32_e32 v5, 1, v5
	v_ashrrev_i32_e32 v6, 31, v5
	s_waitcnt vmcnt(0)
	v_cndmask_b32_e32 v10, 0, v8, vcc
	v_cndmask_b32_e32 v9, 0, v7, vcc
	v_cmp_le_i64_e32 vcc, s[8:9], v[5:6]
	v_cndmask_b32_e32 v8, 0, v12, vcc
	v_cndmask_b32_e32 v7, 0, v11, vcc
.LBB65_45:                              ;   in Loop: Header=BB65_3 Depth=1
	s_or_b64 exec, exec, s[0:1]
	v_cmp_gt_i32_e32 vcc, s7, v18
	s_and_saveexec_b64 s[0:1], vcc
	s_cbranch_execz .LBB65_2
; %bb.46:                               ;   in Loop: Header=BB65_3 Depth=1
	v_ashrrev_i32_e32 v5, 31, v4
	v_lshlrev_b64 v[3:4], 3, v[4:5]
	v_mov_b32_e32 v5, s19
	v_add_co_u32_e32 v3, vcc, s18, v3
	v_addc_co_u32_e32 v4, vcc, v5, v4, vcc
	v_add_u32_e32 v5, 1, v18
	v_cmp_gt_i32_e32 vcc, s7, v5
	global_store_dwordx2 v[3:4], v[9:10], off
	s_and_saveexec_b64 s[36:37], vcc
	s_xor_b64 s[36:37], exec, s[36:37]
	s_cbranch_execz .LBB65_2
; %bb.47:                               ;   in Loop: Header=BB65_3 Depth=1
	s_lshl_b64 s[36:37], s[28:29], 3
	v_mov_b32_e32 v5, s37
	v_add_co_u32_e32 v3, vcc, s36, v3
	v_addc_co_u32_e32 v4, vcc, v4, v5, vcc
	global_store_dwordx2 v[3:4], v[7:8], off
	s_branch .LBB65_2
.LBB65_48:
	s_endpgm
	.section	.rodata,"a",@progbits
	.p2align	6, 0x0
	.amdhsa_kernel _ZN2at6native16triu_tril_kernelIliLb1ELi2ELb0EEEvNS_4cuda6detail10TensorInfoIT_T0_EENS4_IKS5_S6_EEllS6_
		.amdhsa_group_segment_fixed_size 0
		.amdhsa_private_segment_fixed_size 0
		.amdhsa_kernarg_size 712
		.amdhsa_user_sgpr_count 6
		.amdhsa_user_sgpr_private_segment_buffer 1
		.amdhsa_user_sgpr_dispatch_ptr 0
		.amdhsa_user_sgpr_queue_ptr 0
		.amdhsa_user_sgpr_kernarg_segment_ptr 1
		.amdhsa_user_sgpr_dispatch_id 0
		.amdhsa_user_sgpr_flat_scratch_init 0
		.amdhsa_user_sgpr_private_segment_size 0
		.amdhsa_uses_dynamic_stack 0
		.amdhsa_system_sgpr_private_segment_wavefront_offset 0
		.amdhsa_system_sgpr_workgroup_id_x 1
		.amdhsa_system_sgpr_workgroup_id_y 0
		.amdhsa_system_sgpr_workgroup_id_z 0
		.amdhsa_system_sgpr_workgroup_info 0
		.amdhsa_system_vgpr_workitem_id 0
		.amdhsa_next_free_vgpr 22
		.amdhsa_next_free_sgpr 67
		.amdhsa_reserve_vcc 1
		.amdhsa_reserve_flat_scratch 0
		.amdhsa_float_round_mode_32 0
		.amdhsa_float_round_mode_16_64 0
		.amdhsa_float_denorm_mode_32 3
		.amdhsa_float_denorm_mode_16_64 3
		.amdhsa_dx10_clamp 1
		.amdhsa_ieee_mode 1
		.amdhsa_fp16_overflow 0
		.amdhsa_exception_fp_ieee_invalid_op 0
		.amdhsa_exception_fp_denorm_src 0
		.amdhsa_exception_fp_ieee_div_zero 0
		.amdhsa_exception_fp_ieee_overflow 0
		.amdhsa_exception_fp_ieee_underflow 0
		.amdhsa_exception_fp_ieee_inexact 0
		.amdhsa_exception_int_div_zero 0
	.end_amdhsa_kernel
	.section	.text._ZN2at6native16triu_tril_kernelIliLb1ELi2ELb0EEEvNS_4cuda6detail10TensorInfoIT_T0_EENS4_IKS5_S6_EEllS6_,"axG",@progbits,_ZN2at6native16triu_tril_kernelIliLb1ELi2ELb0EEEvNS_4cuda6detail10TensorInfoIT_T0_EENS4_IKS5_S6_EEllS6_,comdat
.Lfunc_end65:
	.size	_ZN2at6native16triu_tril_kernelIliLb1ELi2ELb0EEEvNS_4cuda6detail10TensorInfoIT_T0_EENS4_IKS5_S6_EEllS6_, .Lfunc_end65-_ZN2at6native16triu_tril_kernelIliLb1ELi2ELb0EEEvNS_4cuda6detail10TensorInfoIT_T0_EENS4_IKS5_S6_EEllS6_
                                        ; -- End function
	.set _ZN2at6native16triu_tril_kernelIliLb1ELi2ELb0EEEvNS_4cuda6detail10TensorInfoIT_T0_EENS4_IKS5_S6_EEllS6_.num_vgpr, 22
	.set _ZN2at6native16triu_tril_kernelIliLb1ELi2ELb0EEEvNS_4cuda6detail10TensorInfoIT_T0_EENS4_IKS5_S6_EEllS6_.num_agpr, 0
	.set _ZN2at6native16triu_tril_kernelIliLb1ELi2ELb0EEEvNS_4cuda6detail10TensorInfoIT_T0_EENS4_IKS5_S6_EEllS6_.numbered_sgpr, 67
	.set _ZN2at6native16triu_tril_kernelIliLb1ELi2ELb0EEEvNS_4cuda6detail10TensorInfoIT_T0_EENS4_IKS5_S6_EEllS6_.num_named_barrier, 0
	.set _ZN2at6native16triu_tril_kernelIliLb1ELi2ELb0EEEvNS_4cuda6detail10TensorInfoIT_T0_EENS4_IKS5_S6_EEllS6_.private_seg_size, 0
	.set _ZN2at6native16triu_tril_kernelIliLb1ELi2ELb0EEEvNS_4cuda6detail10TensorInfoIT_T0_EENS4_IKS5_S6_EEllS6_.uses_vcc, 1
	.set _ZN2at6native16triu_tril_kernelIliLb1ELi2ELb0EEEvNS_4cuda6detail10TensorInfoIT_T0_EENS4_IKS5_S6_EEllS6_.uses_flat_scratch, 0
	.set _ZN2at6native16triu_tril_kernelIliLb1ELi2ELb0EEEvNS_4cuda6detail10TensorInfoIT_T0_EENS4_IKS5_S6_EEllS6_.has_dyn_sized_stack, 0
	.set _ZN2at6native16triu_tril_kernelIliLb1ELi2ELb0EEEvNS_4cuda6detail10TensorInfoIT_T0_EENS4_IKS5_S6_EEllS6_.has_recursion, 0
	.set _ZN2at6native16triu_tril_kernelIliLb1ELi2ELb0EEEvNS_4cuda6detail10TensorInfoIT_T0_EENS4_IKS5_S6_EEllS6_.has_indirect_call, 0
	.section	.AMDGPU.csdata,"",@progbits
; Kernel info:
; codeLenInByte = 6376
; TotalNumSgprs: 71
; NumVgprs: 22
; ScratchSize: 0
; MemoryBound: 0
; FloatMode: 240
; IeeeMode: 1
; LDSByteSize: 0 bytes/workgroup (compile time only)
; SGPRBlocks: 8
; VGPRBlocks: 5
; NumSGPRsForWavesPerEU: 71
; NumVGPRsForWavesPerEU: 22
; Occupancy: 10
; WaveLimiterHint : 1
; COMPUTE_PGM_RSRC2:SCRATCH_EN: 0
; COMPUTE_PGM_RSRC2:USER_SGPR: 6
; COMPUTE_PGM_RSRC2:TRAP_HANDLER: 0
; COMPUTE_PGM_RSRC2:TGID_X_EN: 1
; COMPUTE_PGM_RSRC2:TGID_Y_EN: 0
; COMPUTE_PGM_RSRC2:TGID_Z_EN: 0
; COMPUTE_PGM_RSRC2:TIDIG_COMP_CNT: 0
	.section	.text._ZN2at6native16triu_tril_kernelIllLb1ELi2ELb1EEEvNS_4cuda6detail10TensorInfoIT_T0_EENS4_IKS5_S6_EEllS6_,"axG",@progbits,_ZN2at6native16triu_tril_kernelIllLb1ELi2ELb1EEEvNS_4cuda6detail10TensorInfoIT_T0_EENS4_IKS5_S6_EEllS6_,comdat
	.protected	_ZN2at6native16triu_tril_kernelIllLb1ELi2ELb1EEEvNS_4cuda6detail10TensorInfoIT_T0_EENS4_IKS5_S6_EEllS6_ ; -- Begin function _ZN2at6native16triu_tril_kernelIllLb1ELi2ELb1EEEvNS_4cuda6detail10TensorInfoIT_T0_EENS4_IKS5_S6_EEllS6_
	.globl	_ZN2at6native16triu_tril_kernelIllLb1ELi2ELb1EEEvNS_4cuda6detail10TensorInfoIT_T0_EENS4_IKS5_S6_EEllS6_
	.p2align	8
	.type	_ZN2at6native16triu_tril_kernelIllLb1ELi2ELb1EEEvNS_4cuda6detail10TensorInfoIT_T0_EENS4_IKS5_S6_EEllS6_,@function
_ZN2at6native16triu_tril_kernelIllLb1ELi2ELb1EEEvNS_4cuda6detail10TensorInfoIT_T0_EENS4_IKS5_S6_EEllS6_: ; @_ZN2at6native16triu_tril_kernelIllLb1ELi2ELb1EEEvNS_4cuda6detail10TensorInfoIT_T0_EENS4_IKS5_S6_EEllS6_
; %bb.0:
	s_load_dword s2, s[4:5], 0x364
	s_load_dwordx4 s[8:11], s[4:5], 0x340
	s_add_u32 s0, s4, 0x358
	v_mov_b32_e32 v2, 0
	s_addc_u32 s1, s5, 0
	s_waitcnt lgkmcnt(0)
	s_and_b32 s2, s2, 0xffff
	v_mov_b32_e32 v1, v2
	v_mov_b32_e32 v3, s6
	v_mad_u64_u32 v[0:1], s[6:7], s2, v3, v[0:1]
	v_lshlrev_b64 v[0:1], 1, v[0:1]
	v_cmp_gt_i64_e32 vcc, s[10:11], v[0:1]
	s_and_saveexec_b64 s[6:7], vcc
	s_cbranch_execz .LBB66_41
; %bb.1:
	s_load_dword s1, s[0:1], 0x0
	s_add_u32 s34, s4, 0x1a0
	s_load_dword s0, s[4:5], 0x338
	s_addc_u32 s35, s5, 0
	s_load_dwordx2 s[6:7], s[4:5], 0x350
	s_load_dwordx2 s[12:13], s[4:5], 0x0
	s_waitcnt lgkmcnt(0)
	s_mul_i32 s24, s1, s2
	s_mov_b32 s25, 0
	s_add_i32 s2, s0, -2
	s_ashr_i32 s3, s2, 31
	s_ashr_i32 s1, s0, 31
	s_lshl_b64 s[16:17], s[2:3], 3
	s_add_u32 s16, s34, s16
	s_addc_u32 s17, s35, s17
	s_lshl_b64 s[22:23], s[0:1], 3
	s_add_u32 s18, s4, s22
	s_addc_u32 s19, s5, s23
	s_add_i32 s20, s0, -3
	s_ashr_i32 s21, s20, 31
	s_add_u32 s22, s34, s22
	v_cmp_gt_i64_e64 s[14:15], s[0:1], 2
	s_addc_u32 s23, s35, s23
	s_lshl_b32 s33, s24, 1
	s_and_b32 s24, s2, 3
	s_and_b32 s0, s20, 3
	s_cmp_lg_u32 s0, 3
	s_cselect_b64 s[26:27], -1, 0
	s_cmp_gt_u32 s20, 2
	s_cselect_b64 s[28:29], -1, 0
	s_lshl_b64 s[0:1], s[20:21], 3
	s_add_u32 s2, s4, s0
	s_addc_u32 s3, s5, s1
	s_add_u32 s30, s2, 0xd0
	s_addc_u32 s31, s3, 0
	;; [unrolled: 2-line block ×3, first 2 shown]
	s_add_u32 s34, s0, 8
	s_load_dwordx2 s[16:17], s[16:17], 0x8
	s_addc_u32 s35, s1, 0
	s_add_u32 s64, s4, 0xb8
	s_addc_u32 s65, s5, 0
	s_add_u32 s66, s4, 0x190
	s_addc_u32 s67, s5, 0
	s_mov_b64 s[4:5], 0
	s_branch .LBB66_3
.LBB66_2:                               ;   in Loop: Header=BB66_3 Depth=1
	s_or_b64 exec, exec, s[36:37]
	v_add_co_u32_e32 v0, vcc, s33, v0
	v_addc_co_u32_e32 v1, vcc, 0, v1, vcc
	v_cmp_le_i64_e32 vcc, s[10:11], v[0:1]
	s_or_b64 s[4:5], vcc, s[4:5]
	s_andn2_b64 exec, exec, s[4:5]
	s_cbranch_execz .LBB66_41
.LBB66_3:                               ; =>This Loop Header: Depth=1
                                        ;     Child Loop BB66_17 Depth 2
                                        ;     Child Loop BB66_22 Depth 2
	v_or_b32_e32 v3, s7, v1
	v_cmp_ne_u64_e32 vcc, 0, v[2:3]
                                        ; implicit-def: $vgpr6_vgpr7
	s_and_saveexec_b64 s[0:1], vcc
	s_xor_b64 s[2:3], exec, s[0:1]
	s_cbranch_execz .LBB66_5
; %bb.4:                                ;   in Loop: Header=BB66_3 Depth=1
	s_ashr_i32 s36, s7, 31
	s_add_u32 s0, s6, s36
	s_mov_b32 s37, s36
	s_addc_u32 s1, s7, s36
	s_xor_b64 s[38:39], s[0:1], s[36:37]
	v_cvt_f32_u32_e32 v3, s38
	v_cvt_f32_u32_e32 v4, s39
	s_sub_u32 s37, 0, s38
	s_subb_u32 s40, 0, s39
	v_ashrrev_i32_e32 v7, 31, v1
	v_mac_f32_e32 v3, 0x4f800000, v4
	v_rcp_f32_e32 v3, v3
	v_mul_f32_e32 v3, 0x5f7ffffc, v3
	v_mul_f32_e32 v4, 0x2f800000, v3
	v_trunc_f32_e32 v4, v4
	v_mac_f32_e32 v3, 0xcf800000, v4
	v_cvt_u32_f32_e32 v4, v4
	v_cvt_u32_f32_e32 v3, v3
	v_readfirstlane_b32 s41, v4
	v_readfirstlane_b32 s0, v3
	s_mul_i32 s1, s37, s41
	s_mul_hi_u32 s43, s37, s0
	s_mul_i32 s42, s40, s0
	s_add_i32 s1, s43, s1
	s_add_i32 s1, s1, s42
	s_mul_i32 s44, s37, s0
	s_mul_i32 s43, s0, s1
	s_mul_hi_u32 s45, s0, s44
	s_mul_hi_u32 s42, s0, s1
	s_add_u32 s43, s45, s43
	s_addc_u32 s42, 0, s42
	s_mul_hi_u32 s46, s41, s44
	s_mul_i32 s44, s41, s44
	s_add_u32 s43, s43, s44
	s_mul_hi_u32 s45, s41, s1
	s_addc_u32 s42, s42, s46
	s_addc_u32 s43, s45, 0
	s_mul_i32 s1, s41, s1
	s_add_u32 s1, s42, s1
	s_addc_u32 s42, 0, s43
	s_add_u32 s43, s0, s1
	s_cselect_b64 s[0:1], -1, 0
	s_cmp_lg_u64 s[0:1], 0
	s_addc_u32 s41, s41, s42
	s_mul_i32 s0, s37, s41
	s_mul_hi_u32 s1, s37, s43
	s_add_i32 s0, s1, s0
	s_mul_i32 s40, s40, s43
	s_add_i32 s0, s0, s40
	s_mul_i32 s37, s37, s43
	s_mul_hi_u32 s40, s41, s37
	s_mul_i32 s42, s41, s37
	s_mul_i32 s45, s43, s0
	s_mul_hi_u32 s37, s43, s37
	s_mul_hi_u32 s44, s43, s0
	s_add_u32 s37, s37, s45
	s_addc_u32 s44, 0, s44
	s_add_u32 s37, s37, s42
	s_mul_hi_u32 s1, s41, s0
	s_addc_u32 s37, s44, s40
	s_addc_u32 s1, s1, 0
	s_mul_i32 s0, s41, s0
	s_add_u32 s0, s37, s0
	s_addc_u32 s37, 0, s1
	s_add_u32 s40, s43, s0
	s_cselect_b64 s[0:1], -1, 0
	s_cmp_lg_u64 s[0:1], 0
	v_add_co_u32_e32 v3, vcc, v0, v7
	s_addc_u32 s37, s41, s37
	v_xor_b32_e32 v8, v3, v7
	v_mad_u64_u32 v[3:4], s[0:1], v8, s37, 0
	v_mul_hi_u32 v6, v8, s40
	v_addc_co_u32_e32 v5, vcc, v1, v7, vcc
	v_xor_b32_e32 v9, v5, v7
	v_add_co_u32_e32 v10, vcc, v6, v3
	v_addc_co_u32_e32 v11, vcc, 0, v4, vcc
	v_mad_u64_u32 v[3:4], s[0:1], v9, s40, 0
	v_mad_u64_u32 v[5:6], s[0:1], v9, s37, 0
	v_add_co_u32_e32 v3, vcc, v10, v3
	v_addc_co_u32_e32 v3, vcc, v11, v4, vcc
	v_addc_co_u32_e32 v4, vcc, 0, v6, vcc
	v_add_co_u32_e32 v5, vcc, v3, v5
	v_addc_co_u32_e32 v6, vcc, 0, v4, vcc
	v_mul_lo_u32 v10, s39, v5
	v_mul_lo_u32 v11, s38, v6
	v_mad_u64_u32 v[3:4], s[0:1], s38, v5, 0
	v_add3_u32 v4, v4, v11, v10
	v_sub_u32_e32 v10, v9, v4
	v_mov_b32_e32 v11, s39
	v_sub_co_u32_e32 v3, vcc, v8, v3
	v_subb_co_u32_e64 v8, s[0:1], v10, v11, vcc
	v_subrev_co_u32_e64 v10, s[0:1], s38, v3
	v_subbrev_co_u32_e64 v8, s[0:1], 0, v8, s[0:1]
	v_cmp_le_u32_e64 s[0:1], s39, v8
	v_cndmask_b32_e64 v11, 0, -1, s[0:1]
	v_cmp_le_u32_e64 s[0:1], s38, v10
	v_cndmask_b32_e64 v10, 0, -1, s[0:1]
	v_cmp_eq_u32_e64 s[0:1], s39, v8
	v_cndmask_b32_e64 v8, v11, v10, s[0:1]
	v_add_co_u32_e64 v10, s[0:1], 2, v5
	v_subb_co_u32_e32 v4, vcc, v9, v4, vcc
	v_addc_co_u32_e64 v11, s[0:1], 0, v6, s[0:1]
	v_cmp_le_u32_e32 vcc, s39, v4
	v_add_co_u32_e64 v12, s[0:1], 1, v5
	v_cndmask_b32_e64 v9, 0, -1, vcc
	v_cmp_le_u32_e32 vcc, s38, v3
	v_addc_co_u32_e64 v13, s[0:1], 0, v6, s[0:1]
	v_cndmask_b32_e64 v3, 0, -1, vcc
	v_cmp_eq_u32_e32 vcc, s39, v4
	v_cmp_ne_u32_e64 s[0:1], 0, v8
	v_cndmask_b32_e32 v3, v9, v3, vcc
	v_cmp_ne_u32_e32 vcc, 0, v3
	v_cndmask_b32_e64 v4, v12, v10, s[0:1]
	v_cndmask_b32_e64 v8, v13, v11, s[0:1]
	v_cndmask_b32_e32 v4, v5, v4, vcc
	v_xor_b32_e32 v5, s36, v7
	v_cndmask_b32_e32 v3, v6, v8, vcc
	v_xor_b32_e32 v4, v4, v5
	v_xor_b32_e32 v3, v3, v5
	v_sub_co_u32_e32 v6, vcc, v4, v5
	v_subb_co_u32_e32 v7, vcc, v3, v5, vcc
.LBB66_5:                               ;   in Loop: Header=BB66_3 Depth=1
	s_andn2_saveexec_b64 s[0:1], s[2:3]
	s_cbranch_execz .LBB66_7
; %bb.6:                                ;   in Loop: Header=BB66_3 Depth=1
	v_cvt_f32_u32_e32 v3, s6
	s_sub_i32 s2, 0, s6
	v_mov_b32_e32 v7, v2
	v_rcp_iflag_f32_e32 v3, v3
	v_mul_f32_e32 v3, 0x4f7ffffe, v3
	v_cvt_u32_f32_e32 v3, v3
	v_mul_lo_u32 v4, s2, v3
	v_mul_hi_u32 v4, v3, v4
	v_add_u32_e32 v3, v3, v4
	v_mul_hi_u32 v3, v0, v3
	v_mul_lo_u32 v4, v3, s6
	v_add_u32_e32 v5, 1, v3
	v_sub_u32_e32 v4, v0, v4
	v_subrev_u32_e32 v6, s6, v4
	v_cmp_le_u32_e32 vcc, s6, v4
	v_cndmask_b32_e32 v4, v4, v6, vcc
	v_cndmask_b32_e32 v3, v3, v5, vcc
	v_add_u32_e32 v5, 1, v3
	v_cmp_le_u32_e32 vcc, s6, v4
	v_cndmask_b32_e32 v6, v3, v5, vcc
.LBB66_7:                               ;   in Loop: Header=BB66_3 Depth=1
	s_or_b64 exec, exec, s[0:1]
	s_waitcnt lgkmcnt(0)
	v_or_b32_e32 v3, s17, v7
	v_cmp_ne_u64_e32 vcc, 0, v[2:3]
                                        ; implicit-def: $vgpr8_vgpr9
	s_and_saveexec_b64 s[0:1], vcc
	s_xor_b64 s[2:3], exec, s[0:1]
	s_cbranch_execz .LBB66_9
; %bb.8:                                ;   in Loop: Header=BB66_3 Depth=1
	s_ashr_i32 s36, s17, 31
	s_add_u32 s0, s16, s36
	s_mov_b32 s37, s36
	s_addc_u32 s1, s17, s36
	s_xor_b64 s[38:39], s[0:1], s[36:37]
	v_cvt_f32_u32_e32 v3, s38
	v_cvt_f32_u32_e32 v4, s39
	s_sub_u32 s37, 0, s38
	s_subb_u32 s40, 0, s39
	v_ashrrev_i32_e32 v5, 31, v7
	v_mac_f32_e32 v3, 0x4f800000, v4
	v_rcp_f32_e32 v3, v3
	v_mul_f32_e32 v3, 0x5f7ffffc, v3
	v_mul_f32_e32 v4, 0x2f800000, v3
	v_trunc_f32_e32 v4, v4
	v_mac_f32_e32 v3, 0xcf800000, v4
	v_cvt_u32_f32_e32 v4, v4
	v_cvt_u32_f32_e32 v3, v3
	v_readfirstlane_b32 s41, v4
	v_readfirstlane_b32 s0, v3
	s_mul_i32 s1, s37, s41
	s_mul_hi_u32 s43, s37, s0
	s_mul_i32 s42, s40, s0
	s_add_i32 s1, s43, s1
	s_add_i32 s1, s1, s42
	s_mul_i32 s44, s37, s0
	s_mul_i32 s43, s0, s1
	s_mul_hi_u32 s45, s0, s44
	s_mul_hi_u32 s42, s0, s1
	s_add_u32 s43, s45, s43
	s_addc_u32 s42, 0, s42
	s_mul_hi_u32 s46, s41, s44
	s_mul_i32 s44, s41, s44
	s_add_u32 s43, s43, s44
	s_mul_hi_u32 s45, s41, s1
	s_addc_u32 s42, s42, s46
	s_addc_u32 s43, s45, 0
	s_mul_i32 s1, s41, s1
	s_add_u32 s1, s42, s1
	s_addc_u32 s42, 0, s43
	s_add_u32 s43, s0, s1
	s_cselect_b64 s[0:1], -1, 0
	s_cmp_lg_u64 s[0:1], 0
	s_addc_u32 s41, s41, s42
	s_mul_i32 s0, s37, s41
	s_mul_hi_u32 s1, s37, s43
	s_add_i32 s0, s1, s0
	s_mul_i32 s40, s40, s43
	s_add_i32 s0, s0, s40
	s_mul_i32 s37, s37, s43
	s_mul_hi_u32 s40, s41, s37
	s_mul_i32 s42, s41, s37
	s_mul_i32 s45, s43, s0
	s_mul_hi_u32 s37, s43, s37
	s_mul_hi_u32 s44, s43, s0
	s_add_u32 s37, s37, s45
	s_addc_u32 s44, 0, s44
	s_add_u32 s37, s37, s42
	s_mul_hi_u32 s1, s41, s0
	s_addc_u32 s37, s44, s40
	s_addc_u32 s1, s1, 0
	s_mul_i32 s0, s41, s0
	s_add_u32 s0, s37, s0
	s_addc_u32 s37, 0, s1
	s_add_u32 s40, s43, s0
	s_cselect_b64 s[0:1], -1, 0
	s_cmp_lg_u64 s[0:1], 0
	v_add_co_u32_e32 v3, vcc, v6, v5
	s_addc_u32 s37, s41, s37
	v_xor_b32_e32 v10, v3, v5
	v_mad_u64_u32 v[3:4], s[0:1], v10, s37, 0
	v_mul_hi_u32 v9, v10, s40
	v_addc_co_u32_e32 v8, vcc, v7, v5, vcc
	v_xor_b32_e32 v11, v8, v5
	v_add_co_u32_e32 v12, vcc, v9, v3
	v_addc_co_u32_e32 v13, vcc, 0, v4, vcc
	v_mad_u64_u32 v[3:4], s[0:1], v11, s40, 0
	v_mad_u64_u32 v[8:9], s[0:1], v11, s37, 0
	v_add_co_u32_e32 v3, vcc, v12, v3
	v_addc_co_u32_e32 v3, vcc, v13, v4, vcc
	v_addc_co_u32_e32 v4, vcc, 0, v9, vcc
	v_add_co_u32_e32 v8, vcc, v3, v8
	v_addc_co_u32_e32 v9, vcc, 0, v4, vcc
	v_mul_lo_u32 v12, s39, v8
	v_mul_lo_u32 v13, s38, v9
	v_mad_u64_u32 v[3:4], s[0:1], s38, v8, 0
	v_xor_b32_e32 v5, s36, v5
	v_add3_u32 v4, v4, v13, v12
	v_sub_u32_e32 v12, v11, v4
	v_mov_b32_e32 v13, s39
	v_sub_co_u32_e32 v3, vcc, v10, v3
	v_subb_co_u32_e64 v10, s[0:1], v12, v13, vcc
	v_subrev_co_u32_e64 v12, s[0:1], s38, v3
	v_subbrev_co_u32_e64 v10, s[0:1], 0, v10, s[0:1]
	v_cmp_le_u32_e64 s[0:1], s39, v10
	v_cndmask_b32_e64 v13, 0, -1, s[0:1]
	v_cmp_le_u32_e64 s[0:1], s38, v12
	v_cndmask_b32_e64 v12, 0, -1, s[0:1]
	v_cmp_eq_u32_e64 s[0:1], s39, v10
	v_cndmask_b32_e64 v10, v13, v12, s[0:1]
	v_add_co_u32_e64 v12, s[0:1], 2, v8
	v_subb_co_u32_e32 v4, vcc, v11, v4, vcc
	v_addc_co_u32_e64 v13, s[0:1], 0, v9, s[0:1]
	v_cmp_le_u32_e32 vcc, s39, v4
	v_add_co_u32_e64 v14, s[0:1], 1, v8
	v_cndmask_b32_e64 v11, 0, -1, vcc
	v_cmp_le_u32_e32 vcc, s38, v3
	v_addc_co_u32_e64 v15, s[0:1], 0, v9, s[0:1]
	v_cndmask_b32_e64 v3, 0, -1, vcc
	v_cmp_eq_u32_e32 vcc, s39, v4
	v_cmp_ne_u32_e64 s[0:1], 0, v10
	v_cndmask_b32_e32 v3, v11, v3, vcc
	v_cmp_ne_u32_e32 vcc, 0, v3
	v_cndmask_b32_e64 v4, v14, v12, s[0:1]
	v_cndmask_b32_e64 v10, v15, v13, s[0:1]
	v_cndmask_b32_e32 v4, v8, v4, vcc
	v_cndmask_b32_e32 v3, v9, v10, vcc
	v_xor_b32_e32 v4, v4, v5
	v_xor_b32_e32 v3, v3, v5
	v_sub_co_u32_e32 v8, vcc, v4, v5
	v_subb_co_u32_e32 v9, vcc, v3, v5, vcc
.LBB66_9:                               ;   in Loop: Header=BB66_3 Depth=1
	s_andn2_saveexec_b64 s[0:1], s[2:3]
	s_cbranch_execz .LBB66_11
; %bb.10:                               ;   in Loop: Header=BB66_3 Depth=1
	v_cvt_f32_u32_e32 v3, s16
	s_sub_i32 s2, 0, s16
	v_mov_b32_e32 v9, v2
	v_rcp_iflag_f32_e32 v3, v3
	v_mul_f32_e32 v3, 0x4f7ffffe, v3
	v_cvt_u32_f32_e32 v3, v3
	v_mul_lo_u32 v4, s2, v3
	v_mul_hi_u32 v4, v3, v4
	v_add_u32_e32 v3, v3, v4
	v_mul_hi_u32 v3, v6, v3
	v_mul_lo_u32 v4, v3, s16
	v_add_u32_e32 v5, 1, v3
	v_sub_u32_e32 v4, v6, v4
	v_subrev_u32_e32 v8, s16, v4
	v_cmp_le_u32_e32 vcc, s16, v4
	v_cndmask_b32_e32 v4, v4, v8, vcc
	v_cndmask_b32_e32 v3, v3, v5, vcc
	v_add_u32_e32 v5, 1, v3
	v_cmp_le_u32_e32 vcc, s16, v4
	v_cndmask_b32_e32 v8, v3, v5, vcc
.LBB66_11:                              ;   in Loop: Header=BB66_3 Depth=1
	s_or_b64 exec, exec, s[0:1]
	v_mul_lo_u32 v5, v7, s6
	v_mul_lo_u32 v10, v6, s7
	v_mad_u64_u32 v[3:4], s[0:1], v6, s6, 0
	v_mul_lo_u32 v12, v9, s16
	v_mul_lo_u32 v13, v8, s17
	v_add3_u32 v5, v4, v10, v5
	v_mad_u64_u32 v[10:11], s[0:1], v8, s16, 0
	v_sub_co_u32_e32 v4, vcc, v0, v3
	v_subb_co_u32_e32 v5, vcc, v1, v5, vcc
	v_add3_u32 v3, v11, v13, v12
	v_sub_co_u32_e32 v18, vcc, v6, v10
	v_subb_co_u32_e32 v19, vcc, v7, v3, vcc
	v_sub_co_u32_e32 v6, vcc, v4, v18
	v_subb_co_u32_e32 v7, vcc, v5, v19, vcc
	v_cmp_gt_i64_e32 vcc, s[8:9], v[6:7]
	s_and_saveexec_b64 s[36:37], vcc
	s_cbranch_execz .LBB66_2
; %bb.12:                               ;   in Loop: Header=BB66_3 Depth=1
	s_load_dwordx4 s[0:3], s[18:19], 0xc0
	s_andn2_b64 vcc, exec, s[14:15]
	s_waitcnt lgkmcnt(0)
	v_mul_lo_u32 v3, s3, v4
	v_mul_lo_u32 v10, s2, v5
	v_mad_u64_u32 v[6:7], s[38:39], s2, v4, 0
	v_mul_lo_u32 v11, s0, v19
	v_add3_u32 v7, v7, v10, v3
	v_mad_u64_u32 v[6:7], s[38:39], s0, v18, v[6:7]
	v_mul_lo_u32 v3, s1, v18
	v_add3_u32 v7, v3, v7, v11
	s_cbranch_vccnz .LBB66_38
; %bb.13:                               ;   in Loop: Header=BB66_3 Depth=1
	s_andn2_b64 vcc, exec, s[26:27]
	s_mov_b64 s[38:39], s[24:25]
	s_mov_b64 s[40:41], s[34:35]
	;; [unrolled: 1-line block ×4, first 2 shown]
	s_cbranch_vccz .LBB66_17
.LBB66_14:                              ;   in Loop: Header=BB66_3 Depth=1
	s_andn2_b64 vcc, exec, s[28:29]
	s_cbranch_vccnz .LBB66_38
; %bb.15:                               ;   in Loop: Header=BB66_3 Depth=1
	s_lshl_b64 s[0:1], s[42:43], 3
	s_add_u32 s38, s64, s0
	s_addc_u32 s39, s65, s1
	s_add_u32 s40, s66, s0
	s_addc_u32 s41, s67, s1
	;; [unrolled: 2-line block ×3, first 2 shown]
	s_branch .LBB66_22
.LBB66_16:                              ;   in Loop: Header=BB66_17 Depth=2
	s_or_b64 exec, exec, s[0:1]
	v_mul_lo_u32 v3, v11, s46
	v_mul_lo_u32 v14, v10, s47
	v_mad_u64_u32 v[12:13], s[0:1], v10, s46, 0
	s_load_dwordx2 s[0:1], s[44:45], 0x0
	s_add_u32 s42, s42, -1
	v_add3_u32 v3, v13, v14, v3
	v_sub_co_u32_e32 v8, vcc, v8, v12
	s_addc_u32 s43, s43, -1
	v_subb_co_u32_e32 v3, vcc, v9, v3, vcc
	s_add_u32 s44, s44, -8
	s_waitcnt lgkmcnt(0)
	v_mul_lo_u32 v3, s0, v3
	v_mul_lo_u32 v9, s1, v8
	v_mad_u64_u32 v[6:7], s[0:1], s0, v8, v[6:7]
	s_addc_u32 s45, s45, -1
	s_add_u32 s40, s40, -8
	s_addc_u32 s41, s41, -1
	s_add_u32 s38, s38, -1
	s_addc_u32 s39, s39, -1
	v_add3_u32 v7, v9, v7, v3
	v_mov_b32_e32 v8, v10
	s_cmp_lg_u64 s[38:39], 0
	v_mov_b32_e32 v9, v11
	s_cbranch_scc0 .LBB66_14
.LBB66_17:                              ;   Parent Loop BB66_3 Depth=1
                                        ; =>  This Inner Loop Header: Depth=2
	s_load_dwordx2 s[46:47], s[40:41], 0x0
                                        ; implicit-def: $vgpr10_vgpr11
	s_waitcnt lgkmcnt(0)
	v_or_b32_e32 v3, s47, v9
	v_cmp_ne_u64_e32 vcc, 0, v[2:3]
	s_and_saveexec_b64 s[0:1], vcc
	s_xor_b64 s[48:49], exec, s[0:1]
	s_cbranch_execz .LBB66_19
; %bb.18:                               ;   in Loop: Header=BB66_17 Depth=2
	s_ashr_i32 s50, s47, 31
	s_add_u32 s0, s46, s50
	s_mov_b32 s51, s50
	s_addc_u32 s1, s47, s50
	s_xor_b64 s[52:53], s[0:1], s[50:51]
	v_cvt_f32_u32_e32 v3, s52
	v_cvt_f32_u32_e32 v10, s53
	s_sub_u32 s51, 0, s52
	s_subb_u32 s54, 0, s53
	v_mac_f32_e32 v3, 0x4f800000, v10
	v_rcp_f32_e32 v3, v3
	v_mul_f32_e32 v3, 0x5f7ffffc, v3
	v_mul_f32_e32 v10, 0x2f800000, v3
	v_trunc_f32_e32 v10, v10
	v_mac_f32_e32 v3, 0xcf800000, v10
	v_cvt_u32_f32_e32 v10, v10
	v_cvt_u32_f32_e32 v3, v3
	v_readfirstlane_b32 s55, v10
	v_readfirstlane_b32 s0, v3
	s_mul_i32 s1, s51, s55
	s_mul_hi_u32 s57, s51, s0
	s_mul_i32 s56, s54, s0
	s_add_i32 s1, s57, s1
	s_add_i32 s1, s1, s56
	s_mul_i32 s58, s51, s0
	s_mul_i32 s57, s0, s1
	s_mul_hi_u32 s59, s0, s58
	s_mul_hi_u32 s56, s0, s1
	s_add_u32 s57, s59, s57
	s_addc_u32 s56, 0, s56
	s_mul_hi_u32 s60, s55, s58
	s_mul_i32 s58, s55, s58
	s_add_u32 s57, s57, s58
	s_mul_hi_u32 s59, s55, s1
	s_addc_u32 s56, s56, s60
	s_addc_u32 s57, s59, 0
	s_mul_i32 s1, s55, s1
	s_add_u32 s1, s56, s1
	s_addc_u32 s56, 0, s57
	s_add_u32 s57, s0, s1
	s_cselect_b64 s[0:1], -1, 0
	s_cmp_lg_u64 s[0:1], 0
	s_addc_u32 s55, s55, s56
	s_mul_i32 s0, s51, s55
	s_mul_hi_u32 s1, s51, s57
	s_add_i32 s0, s1, s0
	s_mul_i32 s54, s54, s57
	s_add_i32 s0, s0, s54
	s_mul_i32 s51, s51, s57
	s_mul_hi_u32 s54, s55, s51
	s_mul_i32 s56, s55, s51
	s_mul_i32 s59, s57, s0
	s_mul_hi_u32 s51, s57, s51
	s_mul_hi_u32 s58, s57, s0
	s_add_u32 s51, s51, s59
	s_addc_u32 s58, 0, s58
	s_add_u32 s51, s51, s56
	s_mul_hi_u32 s1, s55, s0
	s_addc_u32 s51, s58, s54
	s_addc_u32 s1, s1, 0
	s_mul_i32 s0, s55, s0
	s_add_u32 s0, s51, s0
	s_addc_u32 s51, 0, s1
	s_add_u32 s54, s57, s0
	s_cselect_b64 s[0:1], -1, 0
	v_ashrrev_i32_e32 v3, 31, v9
	s_cmp_lg_u64 s[0:1], 0
	v_add_co_u32_e32 v10, vcc, v8, v3
	s_addc_u32 s51, s55, s51
	v_xor_b32_e32 v14, v10, v3
	v_mad_u64_u32 v[10:11], s[0:1], v14, s51, 0
	v_mul_hi_u32 v13, v14, s54
	v_addc_co_u32_e32 v12, vcc, v9, v3, vcc
	v_xor_b32_e32 v15, v12, v3
	v_add_co_u32_e32 v16, vcc, v13, v10
	v_addc_co_u32_e32 v17, vcc, 0, v11, vcc
	v_mad_u64_u32 v[10:11], s[0:1], v15, s54, 0
	v_mad_u64_u32 v[12:13], s[0:1], v15, s51, 0
	v_add_co_u32_e32 v10, vcc, v16, v10
	v_addc_co_u32_e32 v10, vcc, v17, v11, vcc
	v_addc_co_u32_e32 v11, vcc, 0, v13, vcc
	v_add_co_u32_e32 v12, vcc, v10, v12
	v_addc_co_u32_e32 v13, vcc, 0, v11, vcc
	v_mul_lo_u32 v16, s53, v12
	v_mul_lo_u32 v17, s52, v13
	v_mad_u64_u32 v[10:11], s[0:1], s52, v12, 0
	v_xor_b32_e32 v3, s50, v3
	v_add3_u32 v11, v11, v17, v16
	v_sub_u32_e32 v16, v15, v11
	v_mov_b32_e32 v17, s53
	v_sub_co_u32_e32 v10, vcc, v14, v10
	v_subb_co_u32_e64 v14, s[0:1], v16, v17, vcc
	v_subrev_co_u32_e64 v16, s[0:1], s52, v10
	v_subbrev_co_u32_e64 v14, s[0:1], 0, v14, s[0:1]
	v_cmp_le_u32_e64 s[0:1], s53, v14
	v_cndmask_b32_e64 v17, 0, -1, s[0:1]
	v_cmp_le_u32_e64 s[0:1], s52, v16
	v_cndmask_b32_e64 v16, 0, -1, s[0:1]
	v_cmp_eq_u32_e64 s[0:1], s53, v14
	v_cndmask_b32_e64 v14, v17, v16, s[0:1]
	v_add_co_u32_e64 v16, s[0:1], 2, v12
	v_subb_co_u32_e32 v11, vcc, v15, v11, vcc
	v_addc_co_u32_e64 v17, s[0:1], 0, v13, s[0:1]
	v_cmp_le_u32_e32 vcc, s53, v11
	v_add_co_u32_e64 v20, s[0:1], 1, v12
	v_cndmask_b32_e64 v15, 0, -1, vcc
	v_cmp_le_u32_e32 vcc, s52, v10
	v_addc_co_u32_e64 v21, s[0:1], 0, v13, s[0:1]
	v_cndmask_b32_e64 v10, 0, -1, vcc
	v_cmp_eq_u32_e32 vcc, s53, v11
	v_cmp_ne_u32_e64 s[0:1], 0, v14
	v_cndmask_b32_e32 v10, v15, v10, vcc
	v_cndmask_b32_e64 v14, v21, v17, s[0:1]
	v_cmp_ne_u32_e32 vcc, 0, v10
	v_cndmask_b32_e64 v11, v20, v16, s[0:1]
	v_cndmask_b32_e32 v10, v13, v14, vcc
	v_cndmask_b32_e32 v11, v12, v11, vcc
	v_xor_b32_e32 v12, v10, v3
	v_xor_b32_e32 v10, v11, v3
	v_sub_co_u32_e32 v10, vcc, v10, v3
	v_subb_co_u32_e32 v11, vcc, v12, v3, vcc
.LBB66_19:                              ;   in Loop: Header=BB66_17 Depth=2
	s_andn2_saveexec_b64 s[0:1], s[48:49]
	s_cbranch_execz .LBB66_16
; %bb.20:                               ;   in Loop: Header=BB66_17 Depth=2
	v_cvt_f32_u32_e32 v3, s46
	s_sub_i32 s48, 0, s46
	v_rcp_iflag_f32_e32 v3, v3
	v_mul_f32_e32 v3, 0x4f7ffffe, v3
	v_cvt_u32_f32_e32 v3, v3
	v_mul_lo_u32 v10, s48, v3
	v_mul_hi_u32 v10, v3, v10
	v_add_u32_e32 v3, v3, v10
	v_mul_hi_u32 v3, v8, v3
	v_mul_lo_u32 v10, v3, s46
	v_add_u32_e32 v11, 1, v3
	v_sub_u32_e32 v10, v8, v10
	v_subrev_u32_e32 v12, s46, v10
	v_cmp_le_u32_e32 vcc, s46, v10
	v_cndmask_b32_e32 v10, v10, v12, vcc
	v_cndmask_b32_e32 v3, v3, v11, vcc
	v_add_u32_e32 v11, 1, v3
	v_cmp_le_u32_e32 vcc, s46, v10
	v_cndmask_b32_e32 v10, v3, v11, vcc
	v_mov_b32_e32 v11, v2
	s_branch .LBB66_16
.LBB66_21:                              ;   in Loop: Header=BB66_22 Depth=2
	s_or_b64 exec, exec, s[0:1]
	v_mul_lo_u32 v3, v11, s44
	v_mul_lo_u32 v22, v10, s45
	v_mad_u64_u32 v[20:21], s[0:1], v10, s44, 0
	v_add3_u32 v3, v21, v22, v3
	v_sub_co_u32_e32 v8, vcc, v8, v20
	v_subb_co_u32_e32 v3, vcc, v9, v3, vcc
	v_mul_lo_u32 v3, s48, v3
	v_mul_lo_u32 v20, s49, v8
	v_mad_u64_u32 v[6:7], s[0:1], s48, v8, v[6:7]
	v_mul_lo_u32 v21, v13, s46
	v_mul_lo_u32 v22, v12, s47
	v_mad_u64_u32 v[8:9], s[0:1], v12, s46, 0
	v_add3_u32 v7, v20, v7, v3
	v_mul_lo_u32 v20, v14, s51
	v_add3_u32 v3, v9, v22, v21
	v_sub_co_u32_e32 v8, vcc, v10, v8
	v_subb_co_u32_e32 v3, vcc, v11, v3, vcc
	v_mad_u64_u32 v[6:7], s[0:1], s52, v8, v[6:7]
	v_mul_lo_u32 v3, s52, v3
	v_mul_lo_u32 v10, s53, v8
	;; [unrolled: 1-line block ×3, first 2 shown]
	v_mad_u64_u32 v[8:9], s[0:1], v14, s50, 0
	v_add3_u32 v7, v10, v7, v3
	v_add3_u32 v3, v9, v20, v11
	v_sub_co_u32_e32 v8, vcc, v12, v8
	v_subb_co_u32_e32 v3, vcc, v13, v3, vcc
	v_mad_u64_u32 v[6:7], s[0:1], s56, v8, v[6:7]
	v_mul_lo_u32 v3, s56, v3
	v_mul_lo_u32 v10, s57, v8
	;; [unrolled: 1-line block ×4, first 2 shown]
	v_mad_u64_u32 v[8:9], s[0:1], v16, s54, 0
	s_load_dwordx2 s[0:1], s[38:39], 0x0
	v_add3_u32 v7, v10, v7, v3
	v_add3_u32 v3, v9, v12, v11
	v_sub_co_u32_e32 v8, vcc, v14, v8
	v_subb_co_u32_e32 v3, vcc, v15, v3, vcc
	s_add_u32 s38, s38, 0xffffffe0
	s_waitcnt lgkmcnt(0)
	v_mad_u64_u32 v[6:7], s[44:45], s0, v8, v[6:7]
	v_mul_lo_u32 v3, s0, v3
	v_mul_lo_u32 v8, s1, v8
	s_addc_u32 s39, s39, -1
	s_add_u32 s40, s40, 0xffffffe0
	s_addc_u32 s41, s41, -1
	s_add_u32 s42, s42, -4
	v_add3_u32 v7, v8, v7, v3
	s_addc_u32 s43, s43, -1
	v_mov_b32_e32 v8, v16
	s_cmp_eq_u64 s[42:43], 0
	v_mov_b32_e32 v9, v17
	s_cbranch_scc1 .LBB66_38
.LBB66_22:                              ;   Parent Loop BB66_3 Depth=1
                                        ; =>  This Inner Loop Header: Depth=2
	s_load_dwordx2 s[44:45], s[40:41], 0x18
                                        ; implicit-def: $vgpr10_vgpr11
	s_waitcnt lgkmcnt(0)
	v_or_b32_e32 v3, s45, v9
	v_cmp_ne_u64_e32 vcc, 0, v[2:3]
	s_and_saveexec_b64 s[0:1], vcc
	s_xor_b64 s[46:47], exec, s[0:1]
	s_cbranch_execz .LBB66_24
; %bb.23:                               ;   in Loop: Header=BB66_22 Depth=2
	s_ashr_i32 s48, s45, 31
	s_add_u32 s0, s44, s48
	s_mov_b32 s49, s48
	s_addc_u32 s1, s45, s48
	s_xor_b64 s[50:51], s[0:1], s[48:49]
	v_cvt_f32_u32_e32 v3, s50
	v_cvt_f32_u32_e32 v10, s51
	s_sub_u32 s49, 0, s50
	s_subb_u32 s52, 0, s51
	v_mac_f32_e32 v3, 0x4f800000, v10
	v_rcp_f32_e32 v3, v3
	v_mul_f32_e32 v3, 0x5f7ffffc, v3
	v_mul_f32_e32 v10, 0x2f800000, v3
	v_trunc_f32_e32 v10, v10
	v_mac_f32_e32 v3, 0xcf800000, v10
	v_cvt_u32_f32_e32 v10, v10
	v_cvt_u32_f32_e32 v3, v3
	v_readfirstlane_b32 s53, v10
	v_readfirstlane_b32 s0, v3
	s_mul_i32 s1, s49, s53
	s_mul_hi_u32 s55, s49, s0
	s_mul_i32 s54, s52, s0
	s_add_i32 s1, s55, s1
	s_add_i32 s1, s1, s54
	s_mul_i32 s56, s49, s0
	s_mul_i32 s55, s0, s1
	s_mul_hi_u32 s57, s0, s56
	s_mul_hi_u32 s54, s0, s1
	s_add_u32 s55, s57, s55
	s_addc_u32 s54, 0, s54
	s_mul_hi_u32 s58, s53, s56
	s_mul_i32 s56, s53, s56
	s_add_u32 s55, s55, s56
	s_mul_hi_u32 s57, s53, s1
	s_addc_u32 s54, s54, s58
	s_addc_u32 s55, s57, 0
	s_mul_i32 s1, s53, s1
	s_add_u32 s1, s54, s1
	s_addc_u32 s54, 0, s55
	s_add_u32 s55, s0, s1
	s_cselect_b64 s[0:1], -1, 0
	s_cmp_lg_u64 s[0:1], 0
	s_addc_u32 s53, s53, s54
	s_mul_i32 s0, s49, s53
	s_mul_hi_u32 s1, s49, s55
	s_add_i32 s0, s1, s0
	s_mul_i32 s52, s52, s55
	s_add_i32 s0, s0, s52
	s_mul_i32 s49, s49, s55
	s_mul_hi_u32 s52, s53, s49
	s_mul_i32 s54, s53, s49
	s_mul_i32 s57, s55, s0
	s_mul_hi_u32 s49, s55, s49
	s_mul_hi_u32 s56, s55, s0
	s_add_u32 s49, s49, s57
	s_addc_u32 s56, 0, s56
	s_add_u32 s49, s49, s54
	s_mul_hi_u32 s1, s53, s0
	s_addc_u32 s49, s56, s52
	s_addc_u32 s1, s1, 0
	s_mul_i32 s0, s53, s0
	s_add_u32 s0, s49, s0
	s_addc_u32 s49, 0, s1
	s_add_u32 s52, s55, s0
	s_cselect_b64 s[0:1], -1, 0
	v_ashrrev_i32_e32 v3, 31, v9
	s_cmp_lg_u64 s[0:1], 0
	v_add_co_u32_e32 v10, vcc, v8, v3
	s_addc_u32 s49, s53, s49
	v_xor_b32_e32 v14, v10, v3
	v_mad_u64_u32 v[10:11], s[0:1], v14, s49, 0
	v_mul_hi_u32 v13, v14, s52
	v_addc_co_u32_e32 v12, vcc, v9, v3, vcc
	v_xor_b32_e32 v15, v12, v3
	v_add_co_u32_e32 v16, vcc, v13, v10
	v_addc_co_u32_e32 v17, vcc, 0, v11, vcc
	v_mad_u64_u32 v[10:11], s[0:1], v15, s52, 0
	v_mad_u64_u32 v[12:13], s[0:1], v15, s49, 0
	v_add_co_u32_e32 v10, vcc, v16, v10
	v_addc_co_u32_e32 v10, vcc, v17, v11, vcc
	v_addc_co_u32_e32 v11, vcc, 0, v13, vcc
	v_add_co_u32_e32 v12, vcc, v10, v12
	v_addc_co_u32_e32 v13, vcc, 0, v11, vcc
	v_mul_lo_u32 v16, s51, v12
	v_mul_lo_u32 v17, s50, v13
	v_mad_u64_u32 v[10:11], s[0:1], s50, v12, 0
	v_xor_b32_e32 v3, s48, v3
	v_add3_u32 v11, v11, v17, v16
	v_sub_u32_e32 v16, v15, v11
	v_mov_b32_e32 v17, s51
	v_sub_co_u32_e32 v10, vcc, v14, v10
	v_subb_co_u32_e64 v14, s[0:1], v16, v17, vcc
	v_subrev_co_u32_e64 v16, s[0:1], s50, v10
	v_subbrev_co_u32_e64 v14, s[0:1], 0, v14, s[0:1]
	v_cmp_le_u32_e64 s[0:1], s51, v14
	v_cndmask_b32_e64 v17, 0, -1, s[0:1]
	v_cmp_le_u32_e64 s[0:1], s50, v16
	v_cndmask_b32_e64 v16, 0, -1, s[0:1]
	v_cmp_eq_u32_e64 s[0:1], s51, v14
	v_cndmask_b32_e64 v14, v17, v16, s[0:1]
	v_add_co_u32_e64 v16, s[0:1], 2, v12
	v_subb_co_u32_e32 v11, vcc, v15, v11, vcc
	v_addc_co_u32_e64 v17, s[0:1], 0, v13, s[0:1]
	v_cmp_le_u32_e32 vcc, s51, v11
	v_add_co_u32_e64 v20, s[0:1], 1, v12
	v_cndmask_b32_e64 v15, 0, -1, vcc
	v_cmp_le_u32_e32 vcc, s50, v10
	v_addc_co_u32_e64 v21, s[0:1], 0, v13, s[0:1]
	v_cndmask_b32_e64 v10, 0, -1, vcc
	v_cmp_eq_u32_e32 vcc, s51, v11
	v_cmp_ne_u32_e64 s[0:1], 0, v14
	v_cndmask_b32_e32 v10, v15, v10, vcc
	v_cndmask_b32_e64 v14, v21, v17, s[0:1]
	v_cmp_ne_u32_e32 vcc, 0, v10
	v_cndmask_b32_e64 v11, v20, v16, s[0:1]
	v_cndmask_b32_e32 v10, v13, v14, vcc
	v_cndmask_b32_e32 v11, v12, v11, vcc
	v_xor_b32_e32 v12, v10, v3
	v_xor_b32_e32 v10, v11, v3
	v_sub_co_u32_e32 v10, vcc, v10, v3
	v_subb_co_u32_e32 v11, vcc, v12, v3, vcc
.LBB66_24:                              ;   in Loop: Header=BB66_22 Depth=2
	s_andn2_saveexec_b64 s[0:1], s[46:47]
	s_cbranch_execz .LBB66_26
; %bb.25:                               ;   in Loop: Header=BB66_22 Depth=2
	v_cvt_f32_u32_e32 v3, s44
	s_sub_i32 s46, 0, s44
	v_rcp_iflag_f32_e32 v3, v3
	v_mul_f32_e32 v3, 0x4f7ffffe, v3
	v_cvt_u32_f32_e32 v3, v3
	v_mul_lo_u32 v10, s46, v3
	v_mul_hi_u32 v10, v3, v10
	v_add_u32_e32 v3, v3, v10
	v_mul_hi_u32 v3, v8, v3
	v_mul_lo_u32 v10, v3, s44
	v_add_u32_e32 v11, 1, v3
	v_sub_u32_e32 v10, v8, v10
	v_subrev_u32_e32 v12, s44, v10
	v_cmp_le_u32_e32 vcc, s44, v10
	v_cndmask_b32_e32 v10, v10, v12, vcc
	v_cndmask_b32_e32 v3, v3, v11, vcc
	v_add_u32_e32 v11, 1, v3
	v_cmp_le_u32_e32 vcc, s44, v10
	v_cndmask_b32_e32 v10, v3, v11, vcc
	v_mov_b32_e32 v11, v2
.LBB66_26:                              ;   in Loop: Header=BB66_22 Depth=2
	s_or_b64 exec, exec, s[0:1]
	s_load_dwordx2 s[46:47], s[40:41], 0x10
	s_load_dwordx2 s[48:49], s[38:39], 0x18
                                        ; implicit-def: $vgpr12_vgpr13
	s_waitcnt lgkmcnt(0)
	v_or_b32_e32 v3, s47, v11
	v_cmp_ne_u64_e32 vcc, 0, v[2:3]
	s_and_saveexec_b64 s[0:1], vcc
	s_xor_b64 s[50:51], exec, s[0:1]
	s_cbranch_execz .LBB66_28
; %bb.27:                               ;   in Loop: Header=BB66_22 Depth=2
	s_ashr_i32 s52, s47, 31
	s_add_u32 s0, s46, s52
	s_mov_b32 s53, s52
	s_addc_u32 s1, s47, s52
	s_xor_b64 s[54:55], s[0:1], s[52:53]
	v_cvt_f32_u32_e32 v3, s54
	v_cvt_f32_u32_e32 v12, s55
	s_sub_u32 s53, 0, s54
	s_subb_u32 s56, 0, s55
	v_mac_f32_e32 v3, 0x4f800000, v12
	v_rcp_f32_e32 v3, v3
	v_mul_f32_e32 v3, 0x5f7ffffc, v3
	v_mul_f32_e32 v12, 0x2f800000, v3
	v_trunc_f32_e32 v12, v12
	v_mac_f32_e32 v3, 0xcf800000, v12
	v_cvt_u32_f32_e32 v12, v12
	v_cvt_u32_f32_e32 v3, v3
	v_readfirstlane_b32 s57, v12
	v_readfirstlane_b32 s0, v3
	s_mul_i32 s1, s53, s57
	s_mul_hi_u32 s59, s53, s0
	s_mul_i32 s58, s56, s0
	s_add_i32 s1, s59, s1
	s_add_i32 s1, s1, s58
	s_mul_i32 s60, s53, s0
	s_mul_i32 s59, s0, s1
	s_mul_hi_u32 s61, s0, s60
	s_mul_hi_u32 s58, s0, s1
	s_add_u32 s59, s61, s59
	s_addc_u32 s58, 0, s58
	s_mul_hi_u32 s62, s57, s60
	s_mul_i32 s60, s57, s60
	s_add_u32 s59, s59, s60
	s_mul_hi_u32 s61, s57, s1
	s_addc_u32 s58, s58, s62
	s_addc_u32 s59, s61, 0
	s_mul_i32 s1, s57, s1
	s_add_u32 s1, s58, s1
	s_addc_u32 s58, 0, s59
	s_add_u32 s59, s0, s1
	s_cselect_b64 s[0:1], -1, 0
	s_cmp_lg_u64 s[0:1], 0
	s_addc_u32 s57, s57, s58
	s_mul_i32 s0, s53, s57
	s_mul_hi_u32 s1, s53, s59
	s_add_i32 s0, s1, s0
	s_mul_i32 s56, s56, s59
	s_add_i32 s0, s0, s56
	s_mul_i32 s53, s53, s59
	s_mul_hi_u32 s56, s57, s53
	s_mul_i32 s58, s57, s53
	s_mul_i32 s61, s59, s0
	s_mul_hi_u32 s53, s59, s53
	s_mul_hi_u32 s60, s59, s0
	s_add_u32 s53, s53, s61
	s_addc_u32 s60, 0, s60
	s_add_u32 s53, s53, s58
	s_mul_hi_u32 s1, s57, s0
	s_addc_u32 s53, s60, s56
	s_addc_u32 s1, s1, 0
	s_mul_i32 s0, s57, s0
	s_add_u32 s0, s53, s0
	s_addc_u32 s53, 0, s1
	s_add_u32 s56, s59, s0
	s_cselect_b64 s[0:1], -1, 0
	v_ashrrev_i32_e32 v3, 31, v11
	s_cmp_lg_u64 s[0:1], 0
	v_add_co_u32_e32 v12, vcc, v10, v3
	s_addc_u32 s53, s57, s53
	v_xor_b32_e32 v16, v12, v3
	v_mad_u64_u32 v[12:13], s[0:1], v16, s53, 0
	v_mul_hi_u32 v15, v16, s56
	v_addc_co_u32_e32 v14, vcc, v11, v3, vcc
	v_xor_b32_e32 v17, v14, v3
	v_add_co_u32_e32 v20, vcc, v15, v12
	v_addc_co_u32_e32 v21, vcc, 0, v13, vcc
	v_mad_u64_u32 v[12:13], s[0:1], v17, s56, 0
	v_mad_u64_u32 v[14:15], s[0:1], v17, s53, 0
	v_add_co_u32_e32 v12, vcc, v20, v12
	v_addc_co_u32_e32 v12, vcc, v21, v13, vcc
	v_addc_co_u32_e32 v13, vcc, 0, v15, vcc
	v_add_co_u32_e32 v14, vcc, v12, v14
	v_addc_co_u32_e32 v15, vcc, 0, v13, vcc
	v_mul_lo_u32 v20, s55, v14
	v_mul_lo_u32 v21, s54, v15
	v_mad_u64_u32 v[12:13], s[0:1], s54, v14, 0
	v_xor_b32_e32 v3, s52, v3
	v_add3_u32 v13, v13, v21, v20
	v_sub_u32_e32 v20, v17, v13
	v_mov_b32_e32 v21, s55
	v_sub_co_u32_e32 v12, vcc, v16, v12
	v_subb_co_u32_e64 v16, s[0:1], v20, v21, vcc
	v_subrev_co_u32_e64 v20, s[0:1], s54, v12
	v_subbrev_co_u32_e64 v16, s[0:1], 0, v16, s[0:1]
	v_cmp_le_u32_e64 s[0:1], s55, v16
	v_cndmask_b32_e64 v21, 0, -1, s[0:1]
	v_cmp_le_u32_e64 s[0:1], s54, v20
	v_cndmask_b32_e64 v20, 0, -1, s[0:1]
	v_cmp_eq_u32_e64 s[0:1], s55, v16
	v_cndmask_b32_e64 v16, v21, v20, s[0:1]
	v_add_co_u32_e64 v20, s[0:1], 2, v14
	v_subb_co_u32_e32 v13, vcc, v17, v13, vcc
	v_addc_co_u32_e64 v21, s[0:1], 0, v15, s[0:1]
	v_cmp_le_u32_e32 vcc, s55, v13
	v_add_co_u32_e64 v22, s[0:1], 1, v14
	v_cndmask_b32_e64 v17, 0, -1, vcc
	v_cmp_le_u32_e32 vcc, s54, v12
	v_addc_co_u32_e64 v23, s[0:1], 0, v15, s[0:1]
	v_cndmask_b32_e64 v12, 0, -1, vcc
	v_cmp_eq_u32_e32 vcc, s55, v13
	v_cmp_ne_u32_e64 s[0:1], 0, v16
	v_cndmask_b32_e32 v12, v17, v12, vcc
	v_cndmask_b32_e64 v16, v23, v21, s[0:1]
	v_cmp_ne_u32_e32 vcc, 0, v12
	v_cndmask_b32_e64 v13, v22, v20, s[0:1]
	v_cndmask_b32_e32 v12, v15, v16, vcc
	v_cndmask_b32_e32 v13, v14, v13, vcc
	v_xor_b32_e32 v14, v12, v3
	v_xor_b32_e32 v12, v13, v3
	v_sub_co_u32_e32 v12, vcc, v12, v3
	v_subb_co_u32_e32 v13, vcc, v14, v3, vcc
.LBB66_28:                              ;   in Loop: Header=BB66_22 Depth=2
	s_andn2_saveexec_b64 s[0:1], s[50:51]
	s_cbranch_execz .LBB66_30
; %bb.29:                               ;   in Loop: Header=BB66_22 Depth=2
	v_cvt_f32_u32_e32 v3, s46
	s_sub_i32 s50, 0, s46
	v_rcp_iflag_f32_e32 v3, v3
	v_mul_f32_e32 v3, 0x4f7ffffe, v3
	v_cvt_u32_f32_e32 v3, v3
	v_mul_lo_u32 v12, s50, v3
	v_mul_hi_u32 v12, v3, v12
	v_add_u32_e32 v3, v3, v12
	v_mul_hi_u32 v3, v10, v3
	v_mul_lo_u32 v12, v3, s46
	v_add_u32_e32 v13, 1, v3
	v_sub_u32_e32 v12, v10, v12
	v_subrev_u32_e32 v14, s46, v12
	v_cmp_le_u32_e32 vcc, s46, v12
	v_cndmask_b32_e32 v12, v12, v14, vcc
	v_cndmask_b32_e32 v3, v3, v13, vcc
	v_add_u32_e32 v13, 1, v3
	v_cmp_le_u32_e32 vcc, s46, v12
	v_cndmask_b32_e32 v12, v3, v13, vcc
	v_mov_b32_e32 v13, v2
.LBB66_30:                              ;   in Loop: Header=BB66_22 Depth=2
	s_or_b64 exec, exec, s[0:1]
	s_load_dwordx2 s[50:51], s[40:41], 0x8
	s_load_dwordx2 s[52:53], s[38:39], 0x10
                                        ; implicit-def: $vgpr14_vgpr15
	s_waitcnt lgkmcnt(0)
	v_or_b32_e32 v3, s51, v13
	v_cmp_ne_u64_e32 vcc, 0, v[2:3]
	s_and_saveexec_b64 s[0:1], vcc
	s_xor_b64 s[54:55], exec, s[0:1]
	s_cbranch_execz .LBB66_32
; %bb.31:                               ;   in Loop: Header=BB66_22 Depth=2
	s_ashr_i32 s56, s51, 31
	s_add_u32 s0, s50, s56
	s_mov_b32 s57, s56
	s_addc_u32 s1, s51, s56
	s_xor_b64 s[58:59], s[0:1], s[56:57]
	v_cvt_f32_u32_e32 v3, s58
	v_cvt_f32_u32_e32 v14, s59
	s_sub_u32 s57, 0, s58
	s_subb_u32 s60, 0, s59
	v_mac_f32_e32 v3, 0x4f800000, v14
	v_rcp_f32_e32 v3, v3
	v_mul_f32_e32 v3, 0x5f7ffffc, v3
	v_mul_f32_e32 v14, 0x2f800000, v3
	v_trunc_f32_e32 v14, v14
	v_mac_f32_e32 v3, 0xcf800000, v14
	v_cvt_u32_f32_e32 v14, v14
	v_cvt_u32_f32_e32 v3, v3
	v_readfirstlane_b32 s61, v14
	v_readfirstlane_b32 s0, v3
	s_mul_i32 s1, s57, s61
	s_mul_hi_u32 s63, s57, s0
	s_mul_i32 s62, s60, s0
	s_add_i32 s1, s63, s1
	s_add_i32 s1, s1, s62
	s_mul_i32 s68, s57, s0
	s_mul_i32 s63, s0, s1
	s_mul_hi_u32 s69, s0, s68
	s_mul_hi_u32 s62, s0, s1
	s_add_u32 s63, s69, s63
	s_addc_u32 s62, 0, s62
	s_mul_hi_u32 s70, s61, s68
	s_mul_i32 s68, s61, s68
	s_add_u32 s63, s63, s68
	s_mul_hi_u32 s69, s61, s1
	s_addc_u32 s62, s62, s70
	s_addc_u32 s63, s69, 0
	s_mul_i32 s1, s61, s1
	s_add_u32 s1, s62, s1
	s_addc_u32 s62, 0, s63
	s_add_u32 s63, s0, s1
	s_cselect_b64 s[0:1], -1, 0
	s_cmp_lg_u64 s[0:1], 0
	s_addc_u32 s61, s61, s62
	s_mul_i32 s0, s57, s61
	s_mul_hi_u32 s1, s57, s63
	s_add_i32 s0, s1, s0
	s_mul_i32 s60, s60, s63
	s_add_i32 s0, s0, s60
	s_mul_i32 s57, s57, s63
	s_mul_hi_u32 s60, s61, s57
	s_mul_i32 s62, s61, s57
	s_mul_i32 s69, s63, s0
	s_mul_hi_u32 s57, s63, s57
	s_mul_hi_u32 s68, s63, s0
	s_add_u32 s57, s57, s69
	s_addc_u32 s68, 0, s68
	s_add_u32 s57, s57, s62
	s_mul_hi_u32 s1, s61, s0
	s_addc_u32 s57, s68, s60
	s_addc_u32 s1, s1, 0
	s_mul_i32 s0, s61, s0
	s_add_u32 s0, s57, s0
	s_addc_u32 s57, 0, s1
	s_add_u32 s60, s63, s0
	s_cselect_b64 s[0:1], -1, 0
	v_ashrrev_i32_e32 v3, 31, v13
	s_cmp_lg_u64 s[0:1], 0
	v_add_co_u32_e32 v14, vcc, v12, v3
	s_addc_u32 s57, s61, s57
	v_xor_b32_e32 v20, v14, v3
	v_mad_u64_u32 v[14:15], s[0:1], v20, s57, 0
	v_mul_hi_u32 v17, v20, s60
	v_addc_co_u32_e32 v16, vcc, v13, v3, vcc
	v_xor_b32_e32 v21, v16, v3
	v_add_co_u32_e32 v22, vcc, v17, v14
	v_addc_co_u32_e32 v23, vcc, 0, v15, vcc
	v_mad_u64_u32 v[14:15], s[0:1], v21, s60, 0
	v_mad_u64_u32 v[16:17], s[0:1], v21, s57, 0
	v_add_co_u32_e32 v14, vcc, v22, v14
	v_addc_co_u32_e32 v14, vcc, v23, v15, vcc
	v_addc_co_u32_e32 v15, vcc, 0, v17, vcc
	v_add_co_u32_e32 v16, vcc, v14, v16
	v_addc_co_u32_e32 v17, vcc, 0, v15, vcc
	v_mul_lo_u32 v22, s59, v16
	v_mul_lo_u32 v23, s58, v17
	v_mad_u64_u32 v[14:15], s[0:1], s58, v16, 0
	v_xor_b32_e32 v3, s56, v3
	v_add3_u32 v15, v15, v23, v22
	v_sub_u32_e32 v22, v21, v15
	v_mov_b32_e32 v23, s59
	v_sub_co_u32_e32 v14, vcc, v20, v14
	v_subb_co_u32_e64 v20, s[0:1], v22, v23, vcc
	v_subrev_co_u32_e64 v22, s[0:1], s58, v14
	v_subbrev_co_u32_e64 v20, s[0:1], 0, v20, s[0:1]
	v_cmp_le_u32_e64 s[0:1], s59, v20
	v_cndmask_b32_e64 v23, 0, -1, s[0:1]
	v_cmp_le_u32_e64 s[0:1], s58, v22
	v_cndmask_b32_e64 v22, 0, -1, s[0:1]
	v_cmp_eq_u32_e64 s[0:1], s59, v20
	v_cndmask_b32_e64 v20, v23, v22, s[0:1]
	v_add_co_u32_e64 v22, s[0:1], 2, v16
	v_subb_co_u32_e32 v15, vcc, v21, v15, vcc
	v_addc_co_u32_e64 v23, s[0:1], 0, v17, s[0:1]
	v_cmp_le_u32_e32 vcc, s59, v15
	v_add_co_u32_e64 v24, s[0:1], 1, v16
	v_cndmask_b32_e64 v21, 0, -1, vcc
	v_cmp_le_u32_e32 vcc, s58, v14
	v_addc_co_u32_e64 v25, s[0:1], 0, v17, s[0:1]
	v_cndmask_b32_e64 v14, 0, -1, vcc
	v_cmp_eq_u32_e32 vcc, s59, v15
	v_cmp_ne_u32_e64 s[0:1], 0, v20
	v_cndmask_b32_e32 v14, v21, v14, vcc
	v_cndmask_b32_e64 v20, v25, v23, s[0:1]
	v_cmp_ne_u32_e32 vcc, 0, v14
	v_cndmask_b32_e64 v15, v24, v22, s[0:1]
	v_cndmask_b32_e32 v14, v17, v20, vcc
	v_cndmask_b32_e32 v15, v16, v15, vcc
	v_xor_b32_e32 v16, v14, v3
	v_xor_b32_e32 v14, v15, v3
	v_sub_co_u32_e32 v14, vcc, v14, v3
	v_subb_co_u32_e32 v15, vcc, v16, v3, vcc
.LBB66_32:                              ;   in Loop: Header=BB66_22 Depth=2
	s_andn2_saveexec_b64 s[0:1], s[54:55]
	s_cbranch_execz .LBB66_34
; %bb.33:                               ;   in Loop: Header=BB66_22 Depth=2
	v_cvt_f32_u32_e32 v3, s50
	s_sub_i32 s54, 0, s50
	v_rcp_iflag_f32_e32 v3, v3
	v_mul_f32_e32 v3, 0x4f7ffffe, v3
	v_cvt_u32_f32_e32 v3, v3
	v_mul_lo_u32 v14, s54, v3
	v_mul_hi_u32 v14, v3, v14
	v_add_u32_e32 v3, v3, v14
	v_mul_hi_u32 v3, v12, v3
	v_mul_lo_u32 v14, v3, s50
	v_add_u32_e32 v15, 1, v3
	v_sub_u32_e32 v14, v12, v14
	v_subrev_u32_e32 v16, s50, v14
	v_cmp_le_u32_e32 vcc, s50, v14
	v_cndmask_b32_e32 v14, v14, v16, vcc
	v_cndmask_b32_e32 v3, v3, v15, vcc
	v_add_u32_e32 v15, 1, v3
	v_cmp_le_u32_e32 vcc, s50, v14
	v_cndmask_b32_e32 v14, v3, v15, vcc
	v_mov_b32_e32 v15, v2
.LBB66_34:                              ;   in Loop: Header=BB66_22 Depth=2
	s_or_b64 exec, exec, s[0:1]
	s_load_dwordx2 s[54:55], s[40:41], 0x0
	s_load_dwordx2 s[56:57], s[38:39], 0x8
                                        ; implicit-def: $vgpr16_vgpr17
	s_waitcnt lgkmcnt(0)
	v_or_b32_e32 v3, s55, v15
	v_cmp_ne_u64_e32 vcc, 0, v[2:3]
	s_and_saveexec_b64 s[0:1], vcc
	s_xor_b64 s[58:59], exec, s[0:1]
	s_cbranch_execz .LBB66_36
; %bb.35:                               ;   in Loop: Header=BB66_22 Depth=2
	s_ashr_i32 s60, s55, 31
	s_add_u32 s0, s54, s60
	s_mov_b32 s61, s60
	s_addc_u32 s1, s55, s60
	s_xor_b64 s[62:63], s[0:1], s[60:61]
	v_cvt_f32_u32_e32 v3, s62
	v_cvt_f32_u32_e32 v16, s63
	s_sub_u32 s61, 0, s62
	s_subb_u32 s68, 0, s63
	v_mac_f32_e32 v3, 0x4f800000, v16
	v_rcp_f32_e32 v3, v3
	v_mul_f32_e32 v3, 0x5f7ffffc, v3
	v_mul_f32_e32 v16, 0x2f800000, v3
	v_trunc_f32_e32 v16, v16
	v_mac_f32_e32 v3, 0xcf800000, v16
	v_cvt_u32_f32_e32 v16, v16
	v_cvt_u32_f32_e32 v3, v3
	v_readfirstlane_b32 s69, v16
	v_readfirstlane_b32 s0, v3
	s_mul_i32 s1, s61, s69
	s_mul_hi_u32 s71, s61, s0
	s_mul_i32 s70, s68, s0
	s_add_i32 s1, s71, s1
	s_add_i32 s1, s1, s70
	s_mul_i32 s72, s61, s0
	s_mul_i32 s71, s0, s1
	s_mul_hi_u32 s73, s0, s72
	s_mul_hi_u32 s70, s0, s1
	s_add_u32 s71, s73, s71
	s_addc_u32 s70, 0, s70
	s_mul_hi_u32 s74, s69, s72
	s_mul_i32 s72, s69, s72
	s_add_u32 s71, s71, s72
	s_mul_hi_u32 s73, s69, s1
	s_addc_u32 s70, s70, s74
	s_addc_u32 s71, s73, 0
	s_mul_i32 s1, s69, s1
	s_add_u32 s1, s70, s1
	s_addc_u32 s70, 0, s71
	s_add_u32 s71, s0, s1
	s_cselect_b64 s[0:1], -1, 0
	s_cmp_lg_u64 s[0:1], 0
	s_addc_u32 s69, s69, s70
	s_mul_i32 s0, s61, s69
	s_mul_hi_u32 s1, s61, s71
	s_add_i32 s0, s1, s0
	s_mul_i32 s68, s68, s71
	s_add_i32 s0, s0, s68
	s_mul_i32 s61, s61, s71
	s_mul_hi_u32 s68, s69, s61
	s_mul_i32 s70, s69, s61
	s_mul_i32 s73, s71, s0
	s_mul_hi_u32 s61, s71, s61
	s_mul_hi_u32 s72, s71, s0
	s_add_u32 s61, s61, s73
	s_addc_u32 s72, 0, s72
	s_add_u32 s61, s61, s70
	s_mul_hi_u32 s1, s69, s0
	s_addc_u32 s61, s72, s68
	s_addc_u32 s1, s1, 0
	s_mul_i32 s0, s69, s0
	s_add_u32 s0, s61, s0
	s_addc_u32 s61, 0, s1
	s_add_u32 s68, s71, s0
	s_cselect_b64 s[0:1], -1, 0
	v_ashrrev_i32_e32 v3, 31, v15
	s_cmp_lg_u64 s[0:1], 0
	v_add_co_u32_e32 v16, vcc, v14, v3
	s_addc_u32 s61, s69, s61
	v_xor_b32_e32 v22, v16, v3
	v_mad_u64_u32 v[16:17], s[0:1], v22, s61, 0
	v_mul_hi_u32 v21, v22, s68
	v_addc_co_u32_e32 v20, vcc, v15, v3, vcc
	v_xor_b32_e32 v23, v20, v3
	v_add_co_u32_e32 v24, vcc, v21, v16
	v_addc_co_u32_e32 v25, vcc, 0, v17, vcc
	v_mad_u64_u32 v[16:17], s[0:1], v23, s68, 0
	v_mad_u64_u32 v[20:21], s[0:1], v23, s61, 0
	v_add_co_u32_e32 v16, vcc, v24, v16
	v_addc_co_u32_e32 v16, vcc, v25, v17, vcc
	v_addc_co_u32_e32 v17, vcc, 0, v21, vcc
	v_add_co_u32_e32 v20, vcc, v16, v20
	v_addc_co_u32_e32 v21, vcc, 0, v17, vcc
	v_mul_lo_u32 v24, s63, v20
	v_mul_lo_u32 v25, s62, v21
	v_mad_u64_u32 v[16:17], s[0:1], s62, v20, 0
	v_xor_b32_e32 v3, s60, v3
	v_add3_u32 v17, v17, v25, v24
	v_sub_u32_e32 v24, v23, v17
	v_mov_b32_e32 v25, s63
	v_sub_co_u32_e32 v16, vcc, v22, v16
	v_subb_co_u32_e64 v22, s[0:1], v24, v25, vcc
	v_subrev_co_u32_e64 v24, s[0:1], s62, v16
	v_subbrev_co_u32_e64 v22, s[0:1], 0, v22, s[0:1]
	v_cmp_le_u32_e64 s[0:1], s63, v22
	v_cndmask_b32_e64 v25, 0, -1, s[0:1]
	v_cmp_le_u32_e64 s[0:1], s62, v24
	v_cndmask_b32_e64 v24, 0, -1, s[0:1]
	v_cmp_eq_u32_e64 s[0:1], s63, v22
	v_cndmask_b32_e64 v22, v25, v24, s[0:1]
	v_add_co_u32_e64 v24, s[0:1], 2, v20
	v_subb_co_u32_e32 v17, vcc, v23, v17, vcc
	v_addc_co_u32_e64 v25, s[0:1], 0, v21, s[0:1]
	v_cmp_le_u32_e32 vcc, s63, v17
	v_add_co_u32_e64 v26, s[0:1], 1, v20
	v_cndmask_b32_e64 v23, 0, -1, vcc
	v_cmp_le_u32_e32 vcc, s62, v16
	v_addc_co_u32_e64 v27, s[0:1], 0, v21, s[0:1]
	v_cndmask_b32_e64 v16, 0, -1, vcc
	v_cmp_eq_u32_e32 vcc, s63, v17
	v_cmp_ne_u32_e64 s[0:1], 0, v22
	v_cndmask_b32_e32 v16, v23, v16, vcc
	v_cndmask_b32_e64 v22, v27, v25, s[0:1]
	v_cmp_ne_u32_e32 vcc, 0, v16
	v_cndmask_b32_e64 v17, v26, v24, s[0:1]
	v_cndmask_b32_e32 v16, v21, v22, vcc
	v_cndmask_b32_e32 v17, v20, v17, vcc
	v_xor_b32_e32 v20, v16, v3
	v_xor_b32_e32 v16, v17, v3
	v_sub_co_u32_e32 v16, vcc, v16, v3
	v_subb_co_u32_e32 v17, vcc, v20, v3, vcc
.LBB66_36:                              ;   in Loop: Header=BB66_22 Depth=2
	s_andn2_saveexec_b64 s[0:1], s[58:59]
	s_cbranch_execz .LBB66_21
; %bb.37:                               ;   in Loop: Header=BB66_22 Depth=2
	v_cvt_f32_u32_e32 v3, s54
	s_sub_i32 s58, 0, s54
	v_rcp_iflag_f32_e32 v3, v3
	v_mul_f32_e32 v3, 0x4f7ffffe, v3
	v_cvt_u32_f32_e32 v3, v3
	v_mul_lo_u32 v16, s58, v3
	v_mul_hi_u32 v16, v3, v16
	v_add_u32_e32 v3, v3, v16
	v_mul_hi_u32 v3, v14, v3
	v_mul_lo_u32 v16, v3, s54
	v_add_u32_e32 v17, 1, v3
	v_sub_u32_e32 v16, v14, v16
	v_subrev_u32_e32 v20, s54, v16
	v_cmp_le_u32_e32 vcc, s54, v16
	v_cndmask_b32_e32 v16, v16, v20, vcc
	v_cndmask_b32_e32 v3, v3, v17, vcc
	v_add_u32_e32 v17, 1, v3
	v_cmp_le_u32_e32 vcc, s54, v16
	v_cndmask_b32_e32 v16, v3, v17, vcc
	v_mov_b32_e32 v17, v2
	s_branch .LBB66_21
.LBB66_38:                              ;   in Loop: Header=BB66_3 Depth=1
	s_load_dwordx2 s[0:1], s[22:23], 0x0
	s_waitcnt lgkmcnt(0)
	v_cmp_gt_i64_e32 vcc, s[0:1], v[4:5]
	s_and_b64 exec, exec, vcc
	s_cbranch_execz .LBB66_2
; %bb.39:                               ;   in Loop: Header=BB66_3 Depth=1
	v_lshlrev_b64 v[6:7], 3, v[6:7]
	v_mov_b32_e32 v3, s13
	v_add_co_u32_e32 v6, vcc, s12, v6
	v_addc_co_u32_e32 v7, vcc, v3, v7, vcc
	v_add_co_u32_e32 v4, vcc, 1, v4
	v_addc_co_u32_e32 v5, vcc, 0, v5, vcc
	v_cmp_gt_i64_e32 vcc, s[0:1], v[4:5]
	v_sub_co_u32_e64 v4, s[0:1], v4, v18
	v_subb_co_u32_e64 v5, s[0:1], v5, v19, s[0:1]
	v_cmp_gt_i64_e64 s[0:1], s[8:9], v[4:5]
	v_mov_b32_e32 v3, v2
	s_and_b64 s[0:1], vcc, s[0:1]
	global_store_dwordx2 v[6:7], v[2:3], off
	s_and_b64 exec, exec, s[0:1]
	s_cbranch_execz .LBB66_2
; %bb.40:                               ;   in Loop: Header=BB66_3 Depth=1
	s_lshl_b64 s[0:1], s[2:3], 3
	v_mov_b32_e32 v5, s1
	v_add_co_u32_e32 v4, vcc, s0, v6
	v_addc_co_u32_e32 v5, vcc, v7, v5, vcc
	global_store_dwordx2 v[4:5], v[2:3], off
	s_branch .LBB66_2
.LBB66_41:
	s_endpgm
	.section	.rodata,"a",@progbits
	.p2align	6, 0x0
	.amdhsa_kernel _ZN2at6native16triu_tril_kernelIllLb1ELi2ELb1EEEvNS_4cuda6detail10TensorInfoIT_T0_EENS4_IKS5_S6_EEllS6_
		.amdhsa_group_segment_fixed_size 0
		.amdhsa_private_segment_fixed_size 0
		.amdhsa_kernarg_size 1112
		.amdhsa_user_sgpr_count 6
		.amdhsa_user_sgpr_private_segment_buffer 1
		.amdhsa_user_sgpr_dispatch_ptr 0
		.amdhsa_user_sgpr_queue_ptr 0
		.amdhsa_user_sgpr_kernarg_segment_ptr 1
		.amdhsa_user_sgpr_dispatch_id 0
		.amdhsa_user_sgpr_flat_scratch_init 0
		.amdhsa_user_sgpr_private_segment_size 0
		.amdhsa_uses_dynamic_stack 0
		.amdhsa_system_sgpr_private_segment_wavefront_offset 0
		.amdhsa_system_sgpr_workgroup_id_x 1
		.amdhsa_system_sgpr_workgroup_id_y 0
		.amdhsa_system_sgpr_workgroup_id_z 0
		.amdhsa_system_sgpr_workgroup_info 0
		.amdhsa_system_vgpr_workitem_id 0
		.amdhsa_next_free_vgpr 28
		.amdhsa_next_free_sgpr 75
		.amdhsa_reserve_vcc 1
		.amdhsa_reserve_flat_scratch 0
		.amdhsa_float_round_mode_32 0
		.amdhsa_float_round_mode_16_64 0
		.amdhsa_float_denorm_mode_32 3
		.amdhsa_float_denorm_mode_16_64 3
		.amdhsa_dx10_clamp 1
		.amdhsa_ieee_mode 1
		.amdhsa_fp16_overflow 0
		.amdhsa_exception_fp_ieee_invalid_op 0
		.amdhsa_exception_fp_denorm_src 0
		.amdhsa_exception_fp_ieee_div_zero 0
		.amdhsa_exception_fp_ieee_overflow 0
		.amdhsa_exception_fp_ieee_underflow 0
		.amdhsa_exception_fp_ieee_inexact 0
		.amdhsa_exception_int_div_zero 0
	.end_amdhsa_kernel
	.section	.text._ZN2at6native16triu_tril_kernelIllLb1ELi2ELb1EEEvNS_4cuda6detail10TensorInfoIT_T0_EENS4_IKS5_S6_EEllS6_,"axG",@progbits,_ZN2at6native16triu_tril_kernelIllLb1ELi2ELb1EEEvNS_4cuda6detail10TensorInfoIT_T0_EENS4_IKS5_S6_EEllS6_,comdat
.Lfunc_end66:
	.size	_ZN2at6native16triu_tril_kernelIllLb1ELi2ELb1EEEvNS_4cuda6detail10TensorInfoIT_T0_EENS4_IKS5_S6_EEllS6_, .Lfunc_end66-_ZN2at6native16triu_tril_kernelIllLb1ELi2ELb1EEEvNS_4cuda6detail10TensorInfoIT_T0_EENS4_IKS5_S6_EEllS6_
                                        ; -- End function
	.set _ZN2at6native16triu_tril_kernelIllLb1ELi2ELb1EEEvNS_4cuda6detail10TensorInfoIT_T0_EENS4_IKS5_S6_EEllS6_.num_vgpr, 28
	.set _ZN2at6native16triu_tril_kernelIllLb1ELi2ELb1EEEvNS_4cuda6detail10TensorInfoIT_T0_EENS4_IKS5_S6_EEllS6_.num_agpr, 0
	.set _ZN2at6native16triu_tril_kernelIllLb1ELi2ELb1EEEvNS_4cuda6detail10TensorInfoIT_T0_EENS4_IKS5_S6_EEllS6_.numbered_sgpr, 75
	.set _ZN2at6native16triu_tril_kernelIllLb1ELi2ELb1EEEvNS_4cuda6detail10TensorInfoIT_T0_EENS4_IKS5_S6_EEllS6_.num_named_barrier, 0
	.set _ZN2at6native16triu_tril_kernelIllLb1ELi2ELb1EEEvNS_4cuda6detail10TensorInfoIT_T0_EENS4_IKS5_S6_EEllS6_.private_seg_size, 0
	.set _ZN2at6native16triu_tril_kernelIllLb1ELi2ELb1EEEvNS_4cuda6detail10TensorInfoIT_T0_EENS4_IKS5_S6_EEllS6_.uses_vcc, 1
	.set _ZN2at6native16triu_tril_kernelIllLb1ELi2ELb1EEEvNS_4cuda6detail10TensorInfoIT_T0_EENS4_IKS5_S6_EEllS6_.uses_flat_scratch, 0
	.set _ZN2at6native16triu_tril_kernelIllLb1ELi2ELb1EEEvNS_4cuda6detail10TensorInfoIT_T0_EENS4_IKS5_S6_EEllS6_.has_dyn_sized_stack, 0
	.set _ZN2at6native16triu_tril_kernelIllLb1ELi2ELb1EEEvNS_4cuda6detail10TensorInfoIT_T0_EENS4_IKS5_S6_EEllS6_.has_recursion, 0
	.set _ZN2at6native16triu_tril_kernelIllLb1ELi2ELb1EEEvNS_4cuda6detail10TensorInfoIT_T0_EENS4_IKS5_S6_EEllS6_.has_indirect_call, 0
	.section	.AMDGPU.csdata,"",@progbits
; Kernel info:
; codeLenInByte = 6444
; TotalNumSgprs: 79
; NumVgprs: 28
; ScratchSize: 0
; MemoryBound: 0
; FloatMode: 240
; IeeeMode: 1
; LDSByteSize: 0 bytes/workgroup (compile time only)
; SGPRBlocks: 9
; VGPRBlocks: 6
; NumSGPRsForWavesPerEU: 79
; NumVGPRsForWavesPerEU: 28
; Occupancy: 9
; WaveLimiterHint : 0
; COMPUTE_PGM_RSRC2:SCRATCH_EN: 0
; COMPUTE_PGM_RSRC2:USER_SGPR: 6
; COMPUTE_PGM_RSRC2:TRAP_HANDLER: 0
; COMPUTE_PGM_RSRC2:TGID_X_EN: 1
; COMPUTE_PGM_RSRC2:TGID_Y_EN: 0
; COMPUTE_PGM_RSRC2:TGID_Z_EN: 0
; COMPUTE_PGM_RSRC2:TIDIG_COMP_CNT: 0
	.section	.text._ZN2at6native16triu_tril_kernelIllLb1ELi2ELb0EEEvNS_4cuda6detail10TensorInfoIT_T0_EENS4_IKS5_S6_EEllS6_,"axG",@progbits,_ZN2at6native16triu_tril_kernelIllLb1ELi2ELb0EEEvNS_4cuda6detail10TensorInfoIT_T0_EENS4_IKS5_S6_EEllS6_,comdat
	.protected	_ZN2at6native16triu_tril_kernelIllLb1ELi2ELb0EEEvNS_4cuda6detail10TensorInfoIT_T0_EENS4_IKS5_S6_EEllS6_ ; -- Begin function _ZN2at6native16triu_tril_kernelIllLb1ELi2ELb0EEEvNS_4cuda6detail10TensorInfoIT_T0_EENS4_IKS5_S6_EEllS6_
	.globl	_ZN2at6native16triu_tril_kernelIllLb1ELi2ELb0EEEvNS_4cuda6detail10TensorInfoIT_T0_EENS4_IKS5_S6_EEllS6_
	.p2align	8
	.type	_ZN2at6native16triu_tril_kernelIllLb1ELi2ELb0EEEvNS_4cuda6detail10TensorInfoIT_T0_EENS4_IKS5_S6_EEllS6_,@function
_ZN2at6native16triu_tril_kernelIllLb1ELi2ELb0EEEvNS_4cuda6detail10TensorInfoIT_T0_EENS4_IKS5_S6_EEllS6_: ; @_ZN2at6native16triu_tril_kernelIllLb1ELi2ELb0EEEvNS_4cuda6detail10TensorInfoIT_T0_EENS4_IKS5_S6_EEllS6_
; %bb.0:
	s_load_dword s2, s[4:5], 0x364
	s_load_dwordx4 s[8:11], s[4:5], 0x340
	s_add_u32 s0, s4, 0x358
	v_mov_b32_e32 v2, 0
	s_addc_u32 s1, s5, 0
	s_waitcnt lgkmcnt(0)
	s_and_b32 s7, s2, 0xffff
	v_mov_b32_e32 v1, v2
	v_mov_b32_e32 v3, s6
	v_mad_u64_u32 v[0:1], s[2:3], s7, v3, v[0:1]
	v_lshlrev_b64 v[0:1], 1, v[0:1]
	v_cmp_gt_i64_e32 vcc, s[10:11], v[0:1]
	s_and_saveexec_b64 s[2:3], vcc
	s_cbranch_execz .LBB67_38
; %bb.1:
	s_load_dword s6, s[0:1], 0x0
	s_load_dword s24, s[4:5], 0x338
	s_add_u32 s33, s4, 0x1a0
	s_addc_u32 s62, s5, 0
	s_load_dwordx2 s[2:3], s[4:5], 0x1a0
	s_waitcnt lgkmcnt(0)
	s_mul_i32 s30, s6, s7
	s_ashr_i32 s25, s24, 31
	s_lshl_b64 s[0:1], s[24:25], 3
	s_add_u32 s20, s33, s0
	s_addc_u32 s21, s62, s1
	s_add_u32 s22, s20, -8
	s_addc_u32 s23, s21, -1
	s_add_u32 s0, s4, s0
	v_cmp_gt_i64_e64 s[6:7], s[24:25], 2
	s_addc_u32 s1, s5, s1
	s_add_i32 s24, s24, -3
	s_ashr_i32 s25, s24, 31
	s_lshl_b32 s63, s30, 1
	s_bitcmp0_b32 s24, 0
	s_load_dwordx4 s[12:15], s[22:23], 0x0
	s_load_dwordx4 s[16:19], s[20:21], 0xc0
	s_cselect_b64 s[30:31], -1, 0
	s_load_dwordx4 s[20:23], s[0:1], 0xc0
	s_lshl_b64 s[0:1], s[24:25], 3
	s_add_u32 s34, s33, s0
	s_addc_u32 s35, s62, s1
	s_add_u32 s36, s4, s0
	s_addc_u32 s37, s5, s1
	s_load_dwordx2 s[26:27], s[4:5], 0x350
	s_load_dwordx2 s[28:29], s[4:5], 0x0
	s_add_u32 s38, s24, -1
	s_addc_u32 s39, s25, -1
	s_cmp_lg_u32 s24, 0
	s_cselect_b64 s[40:41], -1, 0
	s_add_u32 s64, s4, 0xc8
	s_addc_u32 s65, s5, 0
	s_mov_b64 s[4:5], 0
	s_branch .LBB67_3
.LBB67_2:                               ;   in Loop: Header=BB67_3 Depth=1
	s_or_b64 exec, exec, s[0:1]
	v_add_co_u32_e32 v0, vcc, s63, v0
	v_addc_co_u32_e32 v1, vcc, 0, v1, vcc
	v_cmp_le_i64_e32 vcc, s[10:11], v[0:1]
	s_or_b64 s[4:5], vcc, s[4:5]
	s_andn2_b64 exec, exec, s[4:5]
	s_cbranch_execz .LBB67_38
.LBB67_3:                               ; =>This Loop Header: Depth=1
                                        ;     Child Loop BB67_21 Depth 2
	s_waitcnt lgkmcnt(0)
	v_or_b32_e32 v3, s27, v1
	v_cmp_ne_u64_e32 vcc, 0, v[2:3]
                                        ; implicit-def: $vgpr6_vgpr7
	s_and_saveexec_b64 s[0:1], vcc
	s_xor_b64 s[42:43], exec, s[0:1]
	s_cbranch_execz .LBB67_5
; %bb.4:                                ;   in Loop: Header=BB67_3 Depth=1
	s_ashr_i32 s44, s27, 31
	s_add_u32 s0, s26, s44
	s_mov_b32 s45, s44
	s_addc_u32 s1, s27, s44
	s_xor_b64 s[46:47], s[0:1], s[44:45]
	v_cvt_f32_u32_e32 v3, s46
	v_cvt_f32_u32_e32 v4, s47
	s_sub_u32 s45, 0, s46
	s_subb_u32 s48, 0, s47
	v_ashrrev_i32_e32 v7, 31, v1
	v_mac_f32_e32 v3, 0x4f800000, v4
	v_rcp_f32_e32 v3, v3
	v_mul_f32_e32 v3, 0x5f7ffffc, v3
	v_mul_f32_e32 v4, 0x2f800000, v3
	v_trunc_f32_e32 v4, v4
	v_mac_f32_e32 v3, 0xcf800000, v4
	v_cvt_u32_f32_e32 v4, v4
	v_cvt_u32_f32_e32 v3, v3
	v_readfirstlane_b32 s49, v4
	v_readfirstlane_b32 s0, v3
	s_mul_i32 s1, s45, s49
	s_mul_hi_u32 s51, s45, s0
	s_mul_i32 s50, s48, s0
	s_add_i32 s1, s51, s1
	s_add_i32 s1, s1, s50
	s_mul_i32 s52, s45, s0
	s_mul_i32 s51, s0, s1
	s_mul_hi_u32 s53, s0, s52
	s_mul_hi_u32 s50, s0, s1
	s_add_u32 s51, s53, s51
	s_addc_u32 s50, 0, s50
	s_mul_hi_u32 s54, s49, s52
	s_mul_i32 s52, s49, s52
	s_add_u32 s51, s51, s52
	s_mul_hi_u32 s53, s49, s1
	s_addc_u32 s50, s50, s54
	s_addc_u32 s51, s53, 0
	s_mul_i32 s1, s49, s1
	s_add_u32 s1, s50, s1
	s_addc_u32 s50, 0, s51
	s_add_u32 s51, s0, s1
	s_cselect_b64 s[0:1], -1, 0
	s_cmp_lg_u64 s[0:1], 0
	s_addc_u32 s49, s49, s50
	s_mul_i32 s0, s45, s49
	s_mul_hi_u32 s1, s45, s51
	s_add_i32 s0, s1, s0
	s_mul_i32 s48, s48, s51
	s_add_i32 s0, s0, s48
	s_mul_i32 s45, s45, s51
	s_mul_hi_u32 s48, s49, s45
	s_mul_i32 s50, s49, s45
	s_mul_i32 s53, s51, s0
	s_mul_hi_u32 s45, s51, s45
	s_mul_hi_u32 s52, s51, s0
	s_add_u32 s45, s45, s53
	s_addc_u32 s52, 0, s52
	s_add_u32 s45, s45, s50
	s_mul_hi_u32 s1, s49, s0
	s_addc_u32 s45, s52, s48
	s_addc_u32 s1, s1, 0
	s_mul_i32 s0, s49, s0
	s_add_u32 s0, s45, s0
	s_addc_u32 s45, 0, s1
	s_add_u32 s48, s51, s0
	s_cselect_b64 s[0:1], -1, 0
	s_cmp_lg_u64 s[0:1], 0
	v_add_co_u32_e32 v3, vcc, v0, v7
	s_addc_u32 s45, s49, s45
	v_xor_b32_e32 v8, v3, v7
	v_mad_u64_u32 v[3:4], s[0:1], v8, s45, 0
	v_mul_hi_u32 v6, v8, s48
	v_addc_co_u32_e32 v5, vcc, v1, v7, vcc
	v_xor_b32_e32 v9, v5, v7
	v_add_co_u32_e32 v10, vcc, v6, v3
	v_addc_co_u32_e32 v11, vcc, 0, v4, vcc
	v_mad_u64_u32 v[3:4], s[0:1], v9, s48, 0
	v_mad_u64_u32 v[5:6], s[0:1], v9, s45, 0
	v_add_co_u32_e32 v3, vcc, v10, v3
	v_addc_co_u32_e32 v3, vcc, v11, v4, vcc
	v_addc_co_u32_e32 v4, vcc, 0, v6, vcc
	v_add_co_u32_e32 v5, vcc, v3, v5
	v_addc_co_u32_e32 v6, vcc, 0, v4, vcc
	v_mul_lo_u32 v10, s47, v5
	v_mul_lo_u32 v11, s46, v6
	v_mad_u64_u32 v[3:4], s[0:1], s46, v5, 0
	v_add3_u32 v4, v4, v11, v10
	v_sub_u32_e32 v10, v9, v4
	v_mov_b32_e32 v11, s47
	v_sub_co_u32_e32 v3, vcc, v8, v3
	v_subb_co_u32_e64 v8, s[0:1], v10, v11, vcc
	v_subrev_co_u32_e64 v10, s[0:1], s46, v3
	v_subbrev_co_u32_e64 v8, s[0:1], 0, v8, s[0:1]
	v_cmp_le_u32_e64 s[0:1], s47, v8
	v_cndmask_b32_e64 v11, 0, -1, s[0:1]
	v_cmp_le_u32_e64 s[0:1], s46, v10
	v_cndmask_b32_e64 v10, 0, -1, s[0:1]
	v_cmp_eq_u32_e64 s[0:1], s47, v8
	v_cndmask_b32_e64 v8, v11, v10, s[0:1]
	v_add_co_u32_e64 v10, s[0:1], 2, v5
	v_subb_co_u32_e32 v4, vcc, v9, v4, vcc
	v_addc_co_u32_e64 v11, s[0:1], 0, v6, s[0:1]
	v_cmp_le_u32_e32 vcc, s47, v4
	v_add_co_u32_e64 v12, s[0:1], 1, v5
	v_cndmask_b32_e64 v9, 0, -1, vcc
	v_cmp_le_u32_e32 vcc, s46, v3
	v_addc_co_u32_e64 v13, s[0:1], 0, v6, s[0:1]
	v_cndmask_b32_e64 v3, 0, -1, vcc
	v_cmp_eq_u32_e32 vcc, s47, v4
	v_cmp_ne_u32_e64 s[0:1], 0, v8
	v_cndmask_b32_e32 v3, v9, v3, vcc
	v_cmp_ne_u32_e32 vcc, 0, v3
	v_cndmask_b32_e64 v4, v12, v10, s[0:1]
	v_cndmask_b32_e64 v8, v13, v11, s[0:1]
	v_cndmask_b32_e32 v4, v5, v4, vcc
	v_xor_b32_e32 v5, s44, v7
	v_cndmask_b32_e32 v3, v6, v8, vcc
	v_xor_b32_e32 v4, v4, v5
	v_xor_b32_e32 v3, v3, v5
	v_sub_co_u32_e32 v6, vcc, v4, v5
	v_subb_co_u32_e32 v7, vcc, v3, v5, vcc
.LBB67_5:                               ;   in Loop: Header=BB67_3 Depth=1
	s_andn2_saveexec_b64 s[0:1], s[42:43]
	s_cbranch_execz .LBB67_7
; %bb.6:                                ;   in Loop: Header=BB67_3 Depth=1
	v_cvt_f32_u32_e32 v3, s26
	s_sub_i32 s42, 0, s26
	v_mov_b32_e32 v7, v2
	v_rcp_iflag_f32_e32 v3, v3
	v_mul_f32_e32 v3, 0x4f7ffffe, v3
	v_cvt_u32_f32_e32 v3, v3
	v_mul_lo_u32 v4, s42, v3
	v_mul_hi_u32 v4, v3, v4
	v_add_u32_e32 v3, v3, v4
	v_mul_hi_u32 v3, v0, v3
	v_mul_lo_u32 v4, v3, s26
	v_add_u32_e32 v5, 1, v3
	v_sub_u32_e32 v4, v0, v4
	v_subrev_u32_e32 v6, s26, v4
	v_cmp_le_u32_e32 vcc, s26, v4
	v_cndmask_b32_e32 v4, v4, v6, vcc
	v_cndmask_b32_e32 v3, v3, v5, vcc
	v_add_u32_e32 v5, 1, v3
	v_cmp_le_u32_e32 vcc, s26, v4
	v_cndmask_b32_e32 v6, v3, v5, vcc
.LBB67_7:                               ;   in Loop: Header=BB67_3 Depth=1
	s_or_b64 exec, exec, s[0:1]
	v_or_b32_e32 v3, s13, v7
	v_cmp_ne_u64_e32 vcc, 0, v[2:3]
                                        ; implicit-def: $vgpr10_vgpr11
	s_and_saveexec_b64 s[0:1], vcc
	s_xor_b64 s[42:43], exec, s[0:1]
	s_cbranch_execz .LBB67_9
; %bb.8:                                ;   in Loop: Header=BB67_3 Depth=1
	s_ashr_i32 s44, s13, 31
	s_add_u32 s0, s12, s44
	s_mov_b32 s45, s44
	s_addc_u32 s1, s13, s44
	s_xor_b64 s[46:47], s[0:1], s[44:45]
	v_cvt_f32_u32_e32 v3, s46
	v_cvt_f32_u32_e32 v4, s47
	s_sub_u32 s45, 0, s46
	s_subb_u32 s48, 0, s47
	v_ashrrev_i32_e32 v5, 31, v7
	v_mac_f32_e32 v3, 0x4f800000, v4
	v_rcp_f32_e32 v3, v3
	v_mul_f32_e32 v3, 0x5f7ffffc, v3
	v_mul_f32_e32 v4, 0x2f800000, v3
	v_trunc_f32_e32 v4, v4
	v_mac_f32_e32 v3, 0xcf800000, v4
	v_cvt_u32_f32_e32 v4, v4
	v_cvt_u32_f32_e32 v3, v3
	v_readfirstlane_b32 s49, v4
	v_readfirstlane_b32 s0, v3
	s_mul_i32 s1, s45, s49
	s_mul_hi_u32 s51, s45, s0
	s_mul_i32 s50, s48, s0
	s_add_i32 s1, s51, s1
	s_add_i32 s1, s1, s50
	s_mul_i32 s52, s45, s0
	s_mul_i32 s51, s0, s1
	s_mul_hi_u32 s53, s0, s52
	s_mul_hi_u32 s50, s0, s1
	s_add_u32 s51, s53, s51
	s_addc_u32 s50, 0, s50
	s_mul_hi_u32 s54, s49, s52
	s_mul_i32 s52, s49, s52
	s_add_u32 s51, s51, s52
	s_mul_hi_u32 s53, s49, s1
	s_addc_u32 s50, s50, s54
	s_addc_u32 s51, s53, 0
	s_mul_i32 s1, s49, s1
	s_add_u32 s1, s50, s1
	s_addc_u32 s50, 0, s51
	s_add_u32 s51, s0, s1
	s_cselect_b64 s[0:1], -1, 0
	s_cmp_lg_u64 s[0:1], 0
	s_addc_u32 s49, s49, s50
	s_mul_i32 s0, s45, s49
	s_mul_hi_u32 s1, s45, s51
	s_add_i32 s0, s1, s0
	s_mul_i32 s48, s48, s51
	s_add_i32 s0, s0, s48
	s_mul_i32 s45, s45, s51
	s_mul_hi_u32 s48, s49, s45
	s_mul_i32 s50, s49, s45
	s_mul_i32 s53, s51, s0
	s_mul_hi_u32 s45, s51, s45
	s_mul_hi_u32 s52, s51, s0
	s_add_u32 s45, s45, s53
	s_addc_u32 s52, 0, s52
	s_add_u32 s45, s45, s50
	s_mul_hi_u32 s1, s49, s0
	s_addc_u32 s45, s52, s48
	s_addc_u32 s1, s1, 0
	s_mul_i32 s0, s49, s0
	s_add_u32 s0, s45, s0
	s_addc_u32 s45, 0, s1
	s_add_u32 s48, s51, s0
	s_cselect_b64 s[0:1], -1, 0
	s_cmp_lg_u64 s[0:1], 0
	v_add_co_u32_e32 v3, vcc, v6, v5
	s_addc_u32 s45, s49, s45
	v_xor_b32_e32 v10, v3, v5
	v_mad_u64_u32 v[3:4], s[0:1], v10, s45, 0
	v_mul_hi_u32 v9, v10, s48
	v_addc_co_u32_e32 v8, vcc, v7, v5, vcc
	v_xor_b32_e32 v11, v8, v5
	v_add_co_u32_e32 v12, vcc, v9, v3
	v_addc_co_u32_e32 v13, vcc, 0, v4, vcc
	v_mad_u64_u32 v[3:4], s[0:1], v11, s48, 0
	v_mad_u64_u32 v[8:9], s[0:1], v11, s45, 0
	v_add_co_u32_e32 v3, vcc, v12, v3
	v_addc_co_u32_e32 v3, vcc, v13, v4, vcc
	v_addc_co_u32_e32 v4, vcc, 0, v9, vcc
	v_add_co_u32_e32 v8, vcc, v3, v8
	v_addc_co_u32_e32 v9, vcc, 0, v4, vcc
	v_mul_lo_u32 v12, s47, v8
	v_mul_lo_u32 v13, s46, v9
	v_mad_u64_u32 v[3:4], s[0:1], s46, v8, 0
	v_xor_b32_e32 v5, s44, v5
	v_add3_u32 v4, v4, v13, v12
	v_sub_u32_e32 v12, v11, v4
	v_mov_b32_e32 v13, s47
	v_sub_co_u32_e32 v3, vcc, v10, v3
	v_subb_co_u32_e64 v10, s[0:1], v12, v13, vcc
	v_subrev_co_u32_e64 v12, s[0:1], s46, v3
	v_subbrev_co_u32_e64 v10, s[0:1], 0, v10, s[0:1]
	v_cmp_le_u32_e64 s[0:1], s47, v10
	v_cndmask_b32_e64 v13, 0, -1, s[0:1]
	v_cmp_le_u32_e64 s[0:1], s46, v12
	v_cndmask_b32_e64 v12, 0, -1, s[0:1]
	v_cmp_eq_u32_e64 s[0:1], s47, v10
	v_cndmask_b32_e64 v10, v13, v12, s[0:1]
	v_add_co_u32_e64 v12, s[0:1], 2, v8
	v_subb_co_u32_e32 v4, vcc, v11, v4, vcc
	v_addc_co_u32_e64 v13, s[0:1], 0, v9, s[0:1]
	v_cmp_le_u32_e32 vcc, s47, v4
	v_add_co_u32_e64 v14, s[0:1], 1, v8
	v_cndmask_b32_e64 v11, 0, -1, vcc
	v_cmp_le_u32_e32 vcc, s46, v3
	v_addc_co_u32_e64 v15, s[0:1], 0, v9, s[0:1]
	v_cndmask_b32_e64 v3, 0, -1, vcc
	v_cmp_eq_u32_e32 vcc, s47, v4
	v_cmp_ne_u32_e64 s[0:1], 0, v10
	v_cndmask_b32_e32 v3, v11, v3, vcc
	v_cmp_ne_u32_e32 vcc, 0, v3
	v_cndmask_b32_e64 v4, v14, v12, s[0:1]
	v_cndmask_b32_e64 v10, v15, v13, s[0:1]
	v_cndmask_b32_e32 v4, v8, v4, vcc
	v_cndmask_b32_e32 v3, v9, v10, vcc
	v_xor_b32_e32 v4, v4, v5
	v_xor_b32_e32 v3, v3, v5
	v_sub_co_u32_e32 v10, vcc, v4, v5
	v_subb_co_u32_e32 v11, vcc, v3, v5, vcc
.LBB67_9:                               ;   in Loop: Header=BB67_3 Depth=1
	s_andn2_saveexec_b64 s[0:1], s[42:43]
	s_cbranch_execz .LBB67_11
; %bb.10:                               ;   in Loop: Header=BB67_3 Depth=1
	v_cvt_f32_u32_e32 v3, s12
	s_sub_i32 s42, 0, s12
	v_mov_b32_e32 v11, v2
	v_rcp_iflag_f32_e32 v3, v3
	v_mul_f32_e32 v3, 0x4f7ffffe, v3
	v_cvt_u32_f32_e32 v3, v3
	v_mul_lo_u32 v4, s42, v3
	v_mul_hi_u32 v4, v3, v4
	v_add_u32_e32 v3, v3, v4
	v_mul_hi_u32 v3, v6, v3
	v_mul_lo_u32 v4, v3, s12
	v_add_u32_e32 v5, 1, v3
	v_sub_u32_e32 v4, v6, v4
	v_subrev_u32_e32 v8, s12, v4
	v_cmp_le_u32_e32 vcc, s12, v4
	v_cndmask_b32_e32 v4, v4, v8, vcc
	v_cndmask_b32_e32 v3, v3, v5, vcc
	v_add_u32_e32 v5, 1, v3
	v_cmp_le_u32_e32 vcc, s12, v4
	v_cndmask_b32_e32 v10, v3, v5, vcc
.LBB67_11:                              ;   in Loop: Header=BB67_3 Depth=1
	s_or_b64 exec, exec, s[0:1]
	v_mul_lo_u32 v5, v7, s26
	v_mul_lo_u32 v8, v6, s27
	v_mad_u64_u32 v[3:4], s[0:1], v6, s26, 0
	v_mul_lo_u32 v12, v11, s12
	v_mul_lo_u32 v13, v10, s13
	v_add3_u32 v5, v4, v8, v5
	v_mad_u64_u32 v[8:9], s[0:1], v10, s12, 0
	v_sub_co_u32_e32 v4, vcc, v0, v3
	v_subb_co_u32_e32 v5, vcc, v1, v5, vcc
	v_add3_u32 v3, v9, v13, v12
	v_mul_lo_u32 v9, s19, v4
	v_mul_lo_u32 v14, s18, v5
	v_mad_u64_u32 v[12:13], s[0:1], s18, v4, 0
	v_sub_co_u32_e32 v16, vcc, v6, v8
	v_subb_co_u32_e32 v17, vcc, v7, v3, vcc
	v_add3_u32 v13, v13, v14, v9
	v_mul_lo_u32 v3, s23, v4
	v_mul_lo_u32 v14, s22, v5
	v_mad_u64_u32 v[6:7], s[0:1], s22, v4, 0
	v_mad_u64_u32 v[8:9], s[0:1], s16, v16, v[12:13]
	v_mul_lo_u32 v12, s16, v17
	v_mul_lo_u32 v13, s17, v16
	v_add3_u32 v7, v7, v14, v3
	v_mad_u64_u32 v[6:7], s[0:1], s20, v16, v[6:7]
	v_add3_u32 v9, v13, v9, v12
	v_mul_lo_u32 v3, s20, v17
	v_mul_lo_u32 v12, s21, v16
	s_andn2_b64 vcc, exec, s[6:7]
	v_add3_u32 v7, v12, v7, v3
	s_cbranch_vccnz .LBB67_29
; %bb.12:                               ;   in Loop: Header=BB67_3 Depth=1
	s_andn2_b64 vcc, exec, s[30:31]
	s_cbranch_vccnz .LBB67_18
; %bb.13:                               ;   in Loop: Header=BB67_3 Depth=1
	s_load_dwordx2 s[42:43], s[34:35], 0x8
                                        ; implicit-def: $vgpr12_vgpr13
	s_waitcnt lgkmcnt(0)
	v_or_b32_e32 v3, s43, v11
	v_cmp_ne_u64_e32 vcc, 0, v[2:3]
	s_and_saveexec_b64 s[0:1], vcc
	s_xor_b64 s[44:45], exec, s[0:1]
	s_cbranch_execz .LBB67_15
; %bb.14:                               ;   in Loop: Header=BB67_3 Depth=1
	s_ashr_i32 s46, s43, 31
	s_add_u32 s0, s42, s46
	s_mov_b32 s47, s46
	s_addc_u32 s1, s43, s46
	s_xor_b64 s[48:49], s[0:1], s[46:47]
	v_cvt_f32_u32_e32 v3, s48
	v_cvt_f32_u32_e32 v12, s49
	s_sub_u32 s47, 0, s48
	s_subb_u32 s50, 0, s49
	v_mac_f32_e32 v3, 0x4f800000, v12
	v_rcp_f32_e32 v3, v3
	v_mul_f32_e32 v3, 0x5f7ffffc, v3
	v_mul_f32_e32 v12, 0x2f800000, v3
	v_trunc_f32_e32 v12, v12
	v_mac_f32_e32 v3, 0xcf800000, v12
	v_cvt_u32_f32_e32 v12, v12
	v_cvt_u32_f32_e32 v3, v3
	v_readfirstlane_b32 s51, v12
	v_readfirstlane_b32 s0, v3
	s_mul_i32 s1, s47, s51
	s_mul_hi_u32 s53, s47, s0
	s_mul_i32 s52, s50, s0
	s_add_i32 s1, s53, s1
	s_add_i32 s1, s1, s52
	s_mul_i32 s54, s47, s0
	s_mul_i32 s53, s0, s1
	s_mul_hi_u32 s55, s0, s54
	s_mul_hi_u32 s52, s0, s1
	s_add_u32 s53, s55, s53
	s_addc_u32 s52, 0, s52
	s_mul_hi_u32 s56, s51, s54
	s_mul_i32 s54, s51, s54
	s_add_u32 s53, s53, s54
	s_mul_hi_u32 s55, s51, s1
	s_addc_u32 s52, s52, s56
	s_addc_u32 s53, s55, 0
	s_mul_i32 s1, s51, s1
	s_add_u32 s1, s52, s1
	s_addc_u32 s52, 0, s53
	s_add_u32 s53, s0, s1
	s_cselect_b64 s[0:1], -1, 0
	s_cmp_lg_u64 s[0:1], 0
	s_addc_u32 s51, s51, s52
	s_mul_i32 s0, s47, s51
	s_mul_hi_u32 s1, s47, s53
	s_add_i32 s0, s1, s0
	s_mul_i32 s50, s50, s53
	s_add_i32 s0, s0, s50
	s_mul_i32 s47, s47, s53
	s_mul_hi_u32 s50, s51, s47
	s_mul_i32 s52, s51, s47
	s_mul_i32 s55, s53, s0
	s_mul_hi_u32 s47, s53, s47
	s_mul_hi_u32 s54, s53, s0
	s_add_u32 s47, s47, s55
	s_addc_u32 s54, 0, s54
	s_add_u32 s47, s47, s52
	s_mul_hi_u32 s1, s51, s0
	s_addc_u32 s47, s54, s50
	s_addc_u32 s1, s1, 0
	s_mul_i32 s0, s51, s0
	s_add_u32 s0, s47, s0
	s_addc_u32 s47, 0, s1
	s_add_u32 s50, s53, s0
	s_cselect_b64 s[0:1], -1, 0
	v_ashrrev_i32_e32 v3, 31, v11
	s_cmp_lg_u64 s[0:1], 0
	v_add_co_u32_e32 v12, vcc, v10, v3
	s_addc_u32 s47, s51, s47
	v_xor_b32_e32 v18, v12, v3
	v_mad_u64_u32 v[12:13], s[0:1], v18, s47, 0
	v_mul_hi_u32 v15, v18, s50
	v_addc_co_u32_e32 v14, vcc, v11, v3, vcc
	v_xor_b32_e32 v19, v14, v3
	v_add_co_u32_e32 v20, vcc, v15, v12
	v_addc_co_u32_e32 v21, vcc, 0, v13, vcc
	v_mad_u64_u32 v[12:13], s[0:1], v19, s50, 0
	v_mad_u64_u32 v[14:15], s[0:1], v19, s47, 0
	v_add_co_u32_e32 v12, vcc, v20, v12
	v_addc_co_u32_e32 v12, vcc, v21, v13, vcc
	v_addc_co_u32_e32 v13, vcc, 0, v15, vcc
	v_add_co_u32_e32 v14, vcc, v12, v14
	v_addc_co_u32_e32 v15, vcc, 0, v13, vcc
	v_mul_lo_u32 v20, s49, v14
	v_mul_lo_u32 v21, s48, v15
	v_mad_u64_u32 v[12:13], s[0:1], s48, v14, 0
	v_xor_b32_e32 v3, s46, v3
	v_add3_u32 v13, v13, v21, v20
	v_sub_u32_e32 v20, v19, v13
	v_mov_b32_e32 v21, s49
	v_sub_co_u32_e32 v12, vcc, v18, v12
	v_subb_co_u32_e64 v18, s[0:1], v20, v21, vcc
	v_subrev_co_u32_e64 v20, s[0:1], s48, v12
	v_subbrev_co_u32_e64 v18, s[0:1], 0, v18, s[0:1]
	v_cmp_le_u32_e64 s[0:1], s49, v18
	v_cndmask_b32_e64 v21, 0, -1, s[0:1]
	v_cmp_le_u32_e64 s[0:1], s48, v20
	v_cndmask_b32_e64 v20, 0, -1, s[0:1]
	v_cmp_eq_u32_e64 s[0:1], s49, v18
	v_cndmask_b32_e64 v18, v21, v20, s[0:1]
	v_add_co_u32_e64 v20, s[0:1], 2, v14
	v_subb_co_u32_e32 v13, vcc, v19, v13, vcc
	v_addc_co_u32_e64 v21, s[0:1], 0, v15, s[0:1]
	v_cmp_le_u32_e32 vcc, s49, v13
	v_add_co_u32_e64 v22, s[0:1], 1, v14
	v_cndmask_b32_e64 v19, 0, -1, vcc
	v_cmp_le_u32_e32 vcc, s48, v12
	v_addc_co_u32_e64 v23, s[0:1], 0, v15, s[0:1]
	v_cndmask_b32_e64 v12, 0, -1, vcc
	v_cmp_eq_u32_e32 vcc, s49, v13
	v_cmp_ne_u32_e64 s[0:1], 0, v18
	v_cndmask_b32_e32 v12, v19, v12, vcc
	v_cndmask_b32_e64 v18, v23, v21, s[0:1]
	v_cmp_ne_u32_e32 vcc, 0, v12
	v_cndmask_b32_e64 v13, v22, v20, s[0:1]
	v_cndmask_b32_e32 v12, v15, v18, vcc
	v_cndmask_b32_e32 v13, v14, v13, vcc
	v_xor_b32_e32 v14, v12, v3
	v_xor_b32_e32 v12, v13, v3
	v_sub_co_u32_e32 v12, vcc, v12, v3
	v_subb_co_u32_e32 v13, vcc, v14, v3, vcc
.LBB67_15:                              ;   in Loop: Header=BB67_3 Depth=1
	s_andn2_saveexec_b64 s[0:1], s[44:45]
	s_cbranch_execz .LBB67_17
; %bb.16:                               ;   in Loop: Header=BB67_3 Depth=1
	v_cvt_f32_u32_e32 v3, s42
	s_sub_i32 s44, 0, s42
	v_rcp_iflag_f32_e32 v3, v3
	v_mul_f32_e32 v3, 0x4f7ffffe, v3
	v_cvt_u32_f32_e32 v3, v3
	v_mul_lo_u32 v12, s44, v3
	v_mul_hi_u32 v12, v3, v12
	v_add_u32_e32 v3, v3, v12
	v_mul_hi_u32 v3, v10, v3
	v_mul_lo_u32 v12, v3, s42
	v_add_u32_e32 v13, 1, v3
	v_sub_u32_e32 v12, v10, v12
	v_subrev_u32_e32 v14, s42, v12
	v_cmp_le_u32_e32 vcc, s42, v12
	v_cndmask_b32_e32 v12, v12, v14, vcc
	v_cndmask_b32_e32 v3, v3, v13, vcc
	v_add_u32_e32 v13, 1, v3
	v_cmp_le_u32_e32 vcc, s42, v12
	v_cndmask_b32_e32 v12, v3, v13, vcc
	v_mov_b32_e32 v13, v2
.LBB67_17:                              ;   in Loop: Header=BB67_3 Depth=1
	s_or_b64 exec, exec, s[0:1]
	v_mul_lo_u32 v3, v13, s42
	v_mul_lo_u32 v18, v12, s43
	v_mad_u64_u32 v[14:15], s[0:1], v12, s42, 0
	s_load_dwordx2 s[0:1], s[34:35], 0xd0
	s_load_dwordx2 s[42:43], s[36:37], 0xd0
	v_add3_u32 v3, v15, v18, v3
	v_sub_co_u32_e32 v10, vcc, v10, v14
	v_subb_co_u32_e32 v3, vcc, v11, v3, vcc
	s_waitcnt lgkmcnt(0)
	v_mul_lo_u32 v11, s0, v3
	v_mul_lo_u32 v14, s1, v10
	v_mad_u64_u32 v[8:9], s[0:1], s0, v10, v[8:9]
	v_mul_lo_u32 v3, s42, v3
	v_mul_lo_u32 v15, s43, v10
	v_mad_u64_u32 v[6:7], s[0:1], s42, v10, v[6:7]
	v_add3_u32 v9, v14, v9, v11
	v_mov_b32_e32 v10, v12
	v_add3_u32 v7, v15, v7, v3
	v_mov_b32_e32 v11, v13
	s_mov_b64 s[0:1], s[38:39]
	s_andn2_b64 vcc, exec, s[40:41]
	s_cbranch_vccz .LBB67_19
	s_branch .LBB67_29
.LBB67_18:                              ;   in Loop: Header=BB67_3 Depth=1
	s_mov_b64 s[0:1], s[24:25]
	s_andn2_b64 vcc, exec, s[40:41]
	s_cbranch_vccnz .LBB67_29
.LBB67_19:                              ;   in Loop: Header=BB67_3 Depth=1
	s_lshl_b64 s[44:45], s[0:1], 3
	s_add_u32 s42, s64, s44
	s_addc_u32 s43, s65, s45
	s_add_u32 s44, s33, s44
	s_addc_u32 s45, s62, s45
	;; [unrolled: 2-line block ×3, first 2 shown]
	s_branch .LBB67_21
.LBB67_20:                              ;   in Loop: Header=BB67_21 Depth=2
	s_or_b64 exec, exec, s[0:1]
	v_mul_lo_u32 v3, v13, s48
	v_mul_lo_u32 v20, v12, s49
	v_mad_u64_u32 v[18:19], s[0:1], v12, s48, 0
	v_mul_lo_u32 v21, v15, s50
	v_mul_lo_u32 v22, v14, s51
	v_add3_u32 v3, v19, v20, v3
	v_sub_co_u32_e32 v10, vcc, v10, v18
	v_subb_co_u32_e32 v3, vcc, v11, v3, vcc
	v_mul_lo_u32 v18, s54, v3
	v_mul_lo_u32 v19, s55, v10
	v_mad_u64_u32 v[8:9], s[0:1], s54, v10, v[8:9]
	v_mul_lo_u32 v3, s52, v3
	v_mul_lo_u32 v20, s53, v10
	v_mad_u64_u32 v[6:7], s[0:1], s52, v10, v[6:7]
	v_mad_u64_u32 v[10:11], s[0:1], v14, s50, 0
	s_load_dwordx2 s[0:1], s[44:45], 0xc8
	s_load_dwordx2 s[48:49], s[42:43], 0x0
	v_add3_u32 v7, v20, v7, v3
	v_add3_u32 v3, v11, v22, v21
	v_sub_co_u32_e32 v10, vcc, v12, v10
	v_add3_u32 v9, v19, v9, v18
	v_subb_co_u32_e32 v3, vcc, v13, v3, vcc
	s_add_u32 s42, s42, -16
	s_waitcnt lgkmcnt(0)
	v_mad_u64_u32 v[8:9], s[50:51], s0, v10, v[8:9]
	v_mul_lo_u32 v11, s0, v3
	v_mul_lo_u32 v12, s1, v10
	v_mad_u64_u32 v[6:7], s[0:1], s48, v10, v[6:7]
	v_mul_lo_u32 v3, s48, v3
	v_mul_lo_u32 v10, s49, v10
	s_addc_u32 s43, s43, -1
	s_add_u32 s44, s44, -16
	s_addc_u32 s45, s45, -1
	s_add_u32 s46, s46, -2
	v_add3_u32 v9, v12, v9, v11
	v_add3_u32 v7, v10, v7, v3
	s_addc_u32 s47, s47, -1
	v_mov_b32_e32 v10, v14
	s_cmp_eq_u64 s[46:47], 0
	v_mov_b32_e32 v11, v15
	s_cbranch_scc1 .LBB67_29
.LBB67_21:                              ;   Parent Loop BB67_3 Depth=1
                                        ; =>  This Inner Loop Header: Depth=2
	s_load_dwordx2 s[48:49], s[44:45], 0x8
                                        ; implicit-def: $vgpr12_vgpr13
	s_waitcnt lgkmcnt(0)
	v_or_b32_e32 v3, s49, v11
	v_cmp_ne_u64_e32 vcc, 0, v[2:3]
	s_and_saveexec_b64 s[0:1], vcc
	s_xor_b64 s[50:51], exec, s[0:1]
	s_cbranch_execz .LBB67_23
; %bb.22:                               ;   in Loop: Header=BB67_21 Depth=2
	s_ashr_i32 s52, s49, 31
	s_add_u32 s0, s48, s52
	s_mov_b32 s53, s52
	s_addc_u32 s1, s49, s52
	s_xor_b64 s[54:55], s[0:1], s[52:53]
	v_cvt_f32_u32_e32 v3, s54
	v_cvt_f32_u32_e32 v12, s55
	s_sub_u32 s53, 0, s54
	s_subb_u32 s56, 0, s55
	v_mac_f32_e32 v3, 0x4f800000, v12
	v_rcp_f32_e32 v3, v3
	v_mul_f32_e32 v3, 0x5f7ffffc, v3
	v_mul_f32_e32 v12, 0x2f800000, v3
	v_trunc_f32_e32 v12, v12
	v_mac_f32_e32 v3, 0xcf800000, v12
	v_cvt_u32_f32_e32 v12, v12
	v_cvt_u32_f32_e32 v3, v3
	v_readfirstlane_b32 s57, v12
	v_readfirstlane_b32 s0, v3
	s_mul_i32 s1, s53, s57
	s_mul_hi_u32 s59, s53, s0
	s_mul_i32 s58, s56, s0
	s_add_i32 s1, s59, s1
	s_add_i32 s1, s1, s58
	s_mul_i32 s60, s53, s0
	s_mul_i32 s59, s0, s1
	s_mul_hi_u32 s61, s0, s60
	s_mul_hi_u32 s58, s0, s1
	s_add_u32 s59, s61, s59
	s_addc_u32 s58, 0, s58
	s_mul_hi_u32 s66, s57, s60
	s_mul_i32 s60, s57, s60
	s_add_u32 s59, s59, s60
	s_mul_hi_u32 s61, s57, s1
	s_addc_u32 s58, s58, s66
	s_addc_u32 s59, s61, 0
	s_mul_i32 s1, s57, s1
	s_add_u32 s1, s58, s1
	s_addc_u32 s58, 0, s59
	s_add_u32 s59, s0, s1
	s_cselect_b64 s[0:1], -1, 0
	s_cmp_lg_u64 s[0:1], 0
	s_addc_u32 s57, s57, s58
	s_mul_i32 s0, s53, s57
	s_mul_hi_u32 s1, s53, s59
	s_add_i32 s0, s1, s0
	s_mul_i32 s56, s56, s59
	s_add_i32 s0, s0, s56
	s_mul_i32 s53, s53, s59
	s_mul_hi_u32 s56, s57, s53
	s_mul_i32 s58, s57, s53
	s_mul_i32 s61, s59, s0
	s_mul_hi_u32 s53, s59, s53
	s_mul_hi_u32 s60, s59, s0
	s_add_u32 s53, s53, s61
	s_addc_u32 s60, 0, s60
	s_add_u32 s53, s53, s58
	s_mul_hi_u32 s1, s57, s0
	s_addc_u32 s53, s60, s56
	s_addc_u32 s1, s1, 0
	s_mul_i32 s0, s57, s0
	s_add_u32 s0, s53, s0
	s_addc_u32 s53, 0, s1
	s_add_u32 s56, s59, s0
	s_cselect_b64 s[0:1], -1, 0
	v_ashrrev_i32_e32 v3, 31, v11
	s_cmp_lg_u64 s[0:1], 0
	v_add_co_u32_e32 v12, vcc, v10, v3
	s_addc_u32 s53, s57, s53
	v_xor_b32_e32 v18, v12, v3
	v_mad_u64_u32 v[12:13], s[0:1], v18, s53, 0
	v_mul_hi_u32 v15, v18, s56
	v_addc_co_u32_e32 v14, vcc, v11, v3, vcc
	v_xor_b32_e32 v19, v14, v3
	v_add_co_u32_e32 v20, vcc, v15, v12
	v_addc_co_u32_e32 v21, vcc, 0, v13, vcc
	v_mad_u64_u32 v[12:13], s[0:1], v19, s56, 0
	v_mad_u64_u32 v[14:15], s[0:1], v19, s53, 0
	v_add_co_u32_e32 v12, vcc, v20, v12
	v_addc_co_u32_e32 v12, vcc, v21, v13, vcc
	v_addc_co_u32_e32 v13, vcc, 0, v15, vcc
	v_add_co_u32_e32 v14, vcc, v12, v14
	v_addc_co_u32_e32 v15, vcc, 0, v13, vcc
	v_mul_lo_u32 v20, s55, v14
	v_mul_lo_u32 v21, s54, v15
	v_mad_u64_u32 v[12:13], s[0:1], s54, v14, 0
	v_xor_b32_e32 v3, s52, v3
	v_add3_u32 v13, v13, v21, v20
	v_sub_u32_e32 v20, v19, v13
	v_mov_b32_e32 v21, s55
	v_sub_co_u32_e32 v12, vcc, v18, v12
	v_subb_co_u32_e64 v18, s[0:1], v20, v21, vcc
	v_subrev_co_u32_e64 v20, s[0:1], s54, v12
	v_subbrev_co_u32_e64 v18, s[0:1], 0, v18, s[0:1]
	v_cmp_le_u32_e64 s[0:1], s55, v18
	v_cndmask_b32_e64 v21, 0, -1, s[0:1]
	v_cmp_le_u32_e64 s[0:1], s54, v20
	v_cndmask_b32_e64 v20, 0, -1, s[0:1]
	v_cmp_eq_u32_e64 s[0:1], s55, v18
	v_cndmask_b32_e64 v18, v21, v20, s[0:1]
	v_add_co_u32_e64 v20, s[0:1], 2, v14
	v_subb_co_u32_e32 v13, vcc, v19, v13, vcc
	v_addc_co_u32_e64 v21, s[0:1], 0, v15, s[0:1]
	v_cmp_le_u32_e32 vcc, s55, v13
	v_add_co_u32_e64 v22, s[0:1], 1, v14
	v_cndmask_b32_e64 v19, 0, -1, vcc
	v_cmp_le_u32_e32 vcc, s54, v12
	v_addc_co_u32_e64 v23, s[0:1], 0, v15, s[0:1]
	v_cndmask_b32_e64 v12, 0, -1, vcc
	v_cmp_eq_u32_e32 vcc, s55, v13
	v_cmp_ne_u32_e64 s[0:1], 0, v18
	v_cndmask_b32_e32 v12, v19, v12, vcc
	v_cndmask_b32_e64 v18, v23, v21, s[0:1]
	v_cmp_ne_u32_e32 vcc, 0, v12
	v_cndmask_b32_e64 v13, v22, v20, s[0:1]
	v_cndmask_b32_e32 v12, v15, v18, vcc
	v_cndmask_b32_e32 v13, v14, v13, vcc
	v_xor_b32_e32 v14, v12, v3
	v_xor_b32_e32 v12, v13, v3
	v_sub_co_u32_e32 v12, vcc, v12, v3
	v_subb_co_u32_e32 v13, vcc, v14, v3, vcc
.LBB67_23:                              ;   in Loop: Header=BB67_21 Depth=2
	s_andn2_saveexec_b64 s[0:1], s[50:51]
	s_cbranch_execz .LBB67_25
; %bb.24:                               ;   in Loop: Header=BB67_21 Depth=2
	v_cvt_f32_u32_e32 v3, s48
	s_sub_i32 s50, 0, s48
	v_rcp_iflag_f32_e32 v3, v3
	v_mul_f32_e32 v3, 0x4f7ffffe, v3
	v_cvt_u32_f32_e32 v3, v3
	v_mul_lo_u32 v12, s50, v3
	v_mul_hi_u32 v12, v3, v12
	v_add_u32_e32 v3, v3, v12
	v_mul_hi_u32 v3, v10, v3
	v_mul_lo_u32 v12, v3, s48
	v_add_u32_e32 v13, 1, v3
	v_sub_u32_e32 v12, v10, v12
	v_subrev_u32_e32 v14, s48, v12
	v_cmp_le_u32_e32 vcc, s48, v12
	v_cndmask_b32_e32 v12, v12, v14, vcc
	v_cndmask_b32_e32 v3, v3, v13, vcc
	v_add_u32_e32 v13, 1, v3
	v_cmp_le_u32_e32 vcc, s48, v12
	v_cndmask_b32_e32 v12, v3, v13, vcc
	v_mov_b32_e32 v13, v2
.LBB67_25:                              ;   in Loop: Header=BB67_21 Depth=2
	s_or_b64 exec, exec, s[0:1]
	s_load_dwordx2 s[50:51], s[44:45], 0x0
	s_load_dwordx2 s[54:55], s[44:45], 0xd0
	;; [unrolled: 1-line block ×3, first 2 shown]
                                        ; implicit-def: $vgpr14_vgpr15
	s_waitcnt lgkmcnt(0)
	v_or_b32_e32 v3, s51, v13
	v_cmp_ne_u64_e32 vcc, 0, v[2:3]
	s_and_saveexec_b64 s[0:1], vcc
	s_xor_b64 s[56:57], exec, s[0:1]
	s_cbranch_execz .LBB67_27
; %bb.26:                               ;   in Loop: Header=BB67_21 Depth=2
	s_ashr_i32 s58, s51, 31
	s_add_u32 s0, s50, s58
	s_mov_b32 s59, s58
	s_addc_u32 s1, s51, s58
	s_xor_b64 s[60:61], s[0:1], s[58:59]
	v_cvt_f32_u32_e32 v3, s60
	v_cvt_f32_u32_e32 v14, s61
	s_sub_u32 s59, 0, s60
	s_subb_u32 s66, 0, s61
	v_mac_f32_e32 v3, 0x4f800000, v14
	v_rcp_f32_e32 v3, v3
	v_mul_f32_e32 v3, 0x5f7ffffc, v3
	v_mul_f32_e32 v14, 0x2f800000, v3
	v_trunc_f32_e32 v14, v14
	v_mac_f32_e32 v3, 0xcf800000, v14
	v_cvt_u32_f32_e32 v14, v14
	v_cvt_u32_f32_e32 v3, v3
	v_readfirstlane_b32 s67, v14
	v_readfirstlane_b32 s0, v3
	s_mul_i32 s1, s59, s67
	s_mul_hi_u32 s69, s59, s0
	s_mul_i32 s68, s66, s0
	s_add_i32 s1, s69, s1
	s_add_i32 s1, s1, s68
	s_mul_i32 s70, s59, s0
	s_mul_i32 s69, s0, s1
	s_mul_hi_u32 s71, s0, s70
	s_mul_hi_u32 s68, s0, s1
	s_add_u32 s69, s71, s69
	s_addc_u32 s68, 0, s68
	s_mul_hi_u32 s72, s67, s70
	s_mul_i32 s70, s67, s70
	s_add_u32 s69, s69, s70
	s_mul_hi_u32 s71, s67, s1
	s_addc_u32 s68, s68, s72
	s_addc_u32 s69, s71, 0
	s_mul_i32 s1, s67, s1
	s_add_u32 s1, s68, s1
	s_addc_u32 s68, 0, s69
	s_add_u32 s69, s0, s1
	s_cselect_b64 s[0:1], -1, 0
	s_cmp_lg_u64 s[0:1], 0
	s_addc_u32 s67, s67, s68
	s_mul_i32 s0, s59, s67
	s_mul_hi_u32 s1, s59, s69
	s_add_i32 s0, s1, s0
	s_mul_i32 s66, s66, s69
	s_add_i32 s0, s0, s66
	s_mul_i32 s59, s59, s69
	s_mul_hi_u32 s66, s67, s59
	s_mul_i32 s68, s67, s59
	s_mul_i32 s71, s69, s0
	s_mul_hi_u32 s59, s69, s59
	s_mul_hi_u32 s70, s69, s0
	s_add_u32 s59, s59, s71
	s_addc_u32 s70, 0, s70
	s_add_u32 s59, s59, s68
	s_mul_hi_u32 s1, s67, s0
	s_addc_u32 s59, s70, s66
	s_addc_u32 s1, s1, 0
	s_mul_i32 s0, s67, s0
	s_add_u32 s0, s59, s0
	s_addc_u32 s59, 0, s1
	s_add_u32 s66, s69, s0
	s_cselect_b64 s[0:1], -1, 0
	v_ashrrev_i32_e32 v3, 31, v13
	s_cmp_lg_u64 s[0:1], 0
	v_add_co_u32_e32 v14, vcc, v12, v3
	s_addc_u32 s59, s67, s59
	v_xor_b32_e32 v20, v14, v3
	v_mad_u64_u32 v[14:15], s[0:1], v20, s59, 0
	v_mul_hi_u32 v19, v20, s66
	v_addc_co_u32_e32 v18, vcc, v13, v3, vcc
	v_xor_b32_e32 v21, v18, v3
	v_add_co_u32_e32 v22, vcc, v19, v14
	v_addc_co_u32_e32 v23, vcc, 0, v15, vcc
	v_mad_u64_u32 v[14:15], s[0:1], v21, s66, 0
	v_mad_u64_u32 v[18:19], s[0:1], v21, s59, 0
	v_add_co_u32_e32 v14, vcc, v22, v14
	v_addc_co_u32_e32 v14, vcc, v23, v15, vcc
	v_addc_co_u32_e32 v15, vcc, 0, v19, vcc
	v_add_co_u32_e32 v18, vcc, v14, v18
	v_addc_co_u32_e32 v19, vcc, 0, v15, vcc
	v_mul_lo_u32 v22, s61, v18
	v_mul_lo_u32 v23, s60, v19
	v_mad_u64_u32 v[14:15], s[0:1], s60, v18, 0
	v_xor_b32_e32 v3, s58, v3
	v_add3_u32 v15, v15, v23, v22
	v_sub_u32_e32 v22, v21, v15
	v_mov_b32_e32 v23, s61
	v_sub_co_u32_e32 v14, vcc, v20, v14
	v_subb_co_u32_e64 v20, s[0:1], v22, v23, vcc
	v_subrev_co_u32_e64 v22, s[0:1], s60, v14
	v_subbrev_co_u32_e64 v20, s[0:1], 0, v20, s[0:1]
	v_cmp_le_u32_e64 s[0:1], s61, v20
	v_cndmask_b32_e64 v23, 0, -1, s[0:1]
	v_cmp_le_u32_e64 s[0:1], s60, v22
	v_cndmask_b32_e64 v22, 0, -1, s[0:1]
	v_cmp_eq_u32_e64 s[0:1], s61, v20
	v_cndmask_b32_e64 v20, v23, v22, s[0:1]
	v_add_co_u32_e64 v22, s[0:1], 2, v18
	v_subb_co_u32_e32 v15, vcc, v21, v15, vcc
	v_addc_co_u32_e64 v23, s[0:1], 0, v19, s[0:1]
	v_cmp_le_u32_e32 vcc, s61, v15
	v_add_co_u32_e64 v24, s[0:1], 1, v18
	v_cndmask_b32_e64 v21, 0, -1, vcc
	v_cmp_le_u32_e32 vcc, s60, v14
	v_addc_co_u32_e64 v25, s[0:1], 0, v19, s[0:1]
	v_cndmask_b32_e64 v14, 0, -1, vcc
	v_cmp_eq_u32_e32 vcc, s61, v15
	v_cmp_ne_u32_e64 s[0:1], 0, v20
	v_cndmask_b32_e32 v14, v21, v14, vcc
	v_cndmask_b32_e64 v20, v25, v23, s[0:1]
	v_cmp_ne_u32_e32 vcc, 0, v14
	v_cndmask_b32_e64 v15, v24, v22, s[0:1]
	v_cndmask_b32_e32 v14, v19, v20, vcc
	v_cndmask_b32_e32 v15, v18, v15, vcc
	v_xor_b32_e32 v18, v14, v3
	v_xor_b32_e32 v14, v15, v3
	v_sub_co_u32_e32 v14, vcc, v14, v3
	v_subb_co_u32_e32 v15, vcc, v18, v3, vcc
.LBB67_27:                              ;   in Loop: Header=BB67_21 Depth=2
	s_andn2_saveexec_b64 s[0:1], s[56:57]
	s_cbranch_execz .LBB67_20
; %bb.28:                               ;   in Loop: Header=BB67_21 Depth=2
	v_cvt_f32_u32_e32 v3, s50
	s_sub_i32 s56, 0, s50
	v_rcp_iflag_f32_e32 v3, v3
	v_mul_f32_e32 v3, 0x4f7ffffe, v3
	v_cvt_u32_f32_e32 v3, v3
	v_mul_lo_u32 v14, s56, v3
	v_mul_hi_u32 v14, v3, v14
	v_add_u32_e32 v3, v3, v14
	v_mul_hi_u32 v3, v12, v3
	v_mul_lo_u32 v14, v3, s50
	v_add_u32_e32 v15, 1, v3
	v_sub_u32_e32 v14, v12, v14
	v_subrev_u32_e32 v18, s50, v14
	v_cmp_le_u32_e32 vcc, s50, v14
	v_cndmask_b32_e32 v14, v14, v18, vcc
	v_cndmask_b32_e32 v3, v3, v15, vcc
	v_add_u32_e32 v15, 1, v3
	v_cmp_le_u32_e32 vcc, s50, v14
	v_cndmask_b32_e32 v14, v3, v15, vcc
	v_mov_b32_e32 v15, v2
	s_branch .LBB67_20
.LBB67_29:                              ;   in Loop: Header=BB67_3 Depth=1
	v_sub_co_u32_e32 v10, vcc, v4, v16
	v_subb_co_u32_e32 v11, vcc, v5, v17, vcc
	v_add_co_u32_e32 v12, vcc, 2, v10
	v_addc_co_u32_e32 v13, vcc, 0, v11, vcc
	v_cmp_le_i64_e32 vcc, s[8:9], v[12:13]
	v_mov_b32_e32 v12, 0
	v_mov_b32_e32 v14, 0
	;; [unrolled: 1-line block ×4, first 2 shown]
	s_and_saveexec_b64 s[0:1], vcc
	s_cbranch_execz .LBB67_35
; %bb.30:                               ;   in Loop: Header=BB67_3 Depth=1
	v_cmp_gt_i64_e32 vcc, s[14:15], v[4:5]
	v_mov_b32_e32 v12, 0
	v_mov_b32_e32 v16, 0
	;; [unrolled: 1-line block ×4, first 2 shown]
	s_and_saveexec_b64 s[42:43], vcc
	s_cbranch_execz .LBB67_34
; %bb.31:                               ;   in Loop: Header=BB67_3 Depth=1
	v_lshlrev_b64 v[8:9], 3, v[8:9]
	v_mov_b32_e32 v3, s3
	v_add_co_u32_e32 v8, vcc, s2, v8
	v_addc_co_u32_e32 v9, vcc, v3, v9, vcc
	global_load_dwordx2 v[12:13], v[8:9], off
	v_add_co_u32_e32 v14, vcc, 1, v4
	v_addc_co_u32_e32 v15, vcc, 0, v5, vcc
	v_cmp_gt_i64_e32 vcc, s[14:15], v[14:15]
	v_mov_b32_e32 v16, 0
	v_mov_b32_e32 v17, 0
	s_and_saveexec_b64 s[44:45], vcc
	s_xor_b64 s[44:45], exec, s[44:45]
	s_cbranch_execz .LBB67_33
; %bb.32:                               ;   in Loop: Header=BB67_3 Depth=1
	s_lshl_b64 s[46:47], s[18:19], 3
	v_mov_b32_e32 v3, s47
	v_add_co_u32_e32 v8, vcc, s46, v8
	v_addc_co_u32_e32 v9, vcc, v9, v3, vcc
	global_load_dwordx2 v[16:17], v[8:9], off
.LBB67_33:                              ;   in Loop: Header=BB67_3 Depth=1
	s_or_b64 exec, exec, s[44:45]
.LBB67_34:                              ;   in Loop: Header=BB67_3 Depth=1
	s_or_b64 exec, exec, s[42:43]
	v_cmp_le_i64_e32 vcc, s[8:9], v[10:11]
	s_waitcnt vmcnt(0)
	v_cndmask_b32_e32 v15, 0, v13, vcc
	v_cndmask_b32_e32 v14, 0, v12, vcc
	v_add_co_u32_e32 v8, vcc, 1, v10
	v_addc_co_u32_e32 v9, vcc, 0, v11, vcc
	v_cmp_le_i64_e32 vcc, s[8:9], v[8:9]
	v_cndmask_b32_e32 v13, 0, v17, vcc
	v_cndmask_b32_e32 v12, 0, v16, vcc
.LBB67_35:                              ;   in Loop: Header=BB67_3 Depth=1
	s_or_b64 exec, exec, s[0:1]
	v_cmp_gt_i64_e32 vcc, s[14:15], v[4:5]
	s_and_saveexec_b64 s[0:1], vcc
	s_cbranch_execz .LBB67_2
; %bb.36:                               ;   in Loop: Header=BB67_3 Depth=1
	v_lshlrev_b64 v[6:7], 3, v[6:7]
	v_mov_b32_e32 v3, s29
	v_add_co_u32_e32 v6, vcc, s28, v6
	v_addc_co_u32_e32 v7, vcc, v3, v7, vcc
	v_add_co_u32_e32 v3, vcc, 1, v4
	v_addc_co_u32_e32 v4, vcc, 0, v5, vcc
	v_cmp_gt_i64_e32 vcc, s[14:15], v[3:4]
	global_store_dwordx2 v[6:7], v[14:15], off
	s_and_saveexec_b64 s[42:43], vcc
	s_xor_b64 s[42:43], exec, s[42:43]
	s_cbranch_execz .LBB67_2
; %bb.37:                               ;   in Loop: Header=BB67_3 Depth=1
	s_lshl_b64 s[42:43], s[22:23], 3
	v_mov_b32_e32 v4, s43
	v_add_co_u32_e32 v3, vcc, s42, v6
	v_addc_co_u32_e32 v4, vcc, v7, v4, vcc
	global_store_dwordx2 v[3:4], v[12:13], off
	s_branch .LBB67_2
.LBB67_38:
	s_endpgm
	.section	.rodata,"a",@progbits
	.p2align	6, 0x0
	.amdhsa_kernel _ZN2at6native16triu_tril_kernelIllLb1ELi2ELb0EEEvNS_4cuda6detail10TensorInfoIT_T0_EENS4_IKS5_S6_EEllS6_
		.amdhsa_group_segment_fixed_size 0
		.amdhsa_private_segment_fixed_size 0
		.amdhsa_kernarg_size 1112
		.amdhsa_user_sgpr_count 6
		.amdhsa_user_sgpr_private_segment_buffer 1
		.amdhsa_user_sgpr_dispatch_ptr 0
		.amdhsa_user_sgpr_queue_ptr 0
		.amdhsa_user_sgpr_kernarg_segment_ptr 1
		.amdhsa_user_sgpr_dispatch_id 0
		.amdhsa_user_sgpr_flat_scratch_init 0
		.amdhsa_user_sgpr_private_segment_size 0
		.amdhsa_uses_dynamic_stack 0
		.amdhsa_system_sgpr_private_segment_wavefront_offset 0
		.amdhsa_system_sgpr_workgroup_id_x 1
		.amdhsa_system_sgpr_workgroup_id_y 0
		.amdhsa_system_sgpr_workgroup_id_z 0
		.amdhsa_system_sgpr_workgroup_info 0
		.amdhsa_system_vgpr_workitem_id 0
		.amdhsa_next_free_vgpr 26
		.amdhsa_next_free_sgpr 73
		.amdhsa_reserve_vcc 1
		.amdhsa_reserve_flat_scratch 0
		.amdhsa_float_round_mode_32 0
		.amdhsa_float_round_mode_16_64 0
		.amdhsa_float_denorm_mode_32 3
		.amdhsa_float_denorm_mode_16_64 3
		.amdhsa_dx10_clamp 1
		.amdhsa_ieee_mode 1
		.amdhsa_fp16_overflow 0
		.amdhsa_exception_fp_ieee_invalid_op 0
		.amdhsa_exception_fp_denorm_src 0
		.amdhsa_exception_fp_ieee_div_zero 0
		.amdhsa_exception_fp_ieee_overflow 0
		.amdhsa_exception_fp_ieee_underflow 0
		.amdhsa_exception_fp_ieee_inexact 0
		.amdhsa_exception_int_div_zero 0
	.end_amdhsa_kernel
	.section	.text._ZN2at6native16triu_tril_kernelIllLb1ELi2ELb0EEEvNS_4cuda6detail10TensorInfoIT_T0_EENS4_IKS5_S6_EEllS6_,"axG",@progbits,_ZN2at6native16triu_tril_kernelIllLb1ELi2ELb0EEEvNS_4cuda6detail10TensorInfoIT_T0_EENS4_IKS5_S6_EEllS6_,comdat
.Lfunc_end67:
	.size	_ZN2at6native16triu_tril_kernelIllLb1ELi2ELb0EEEvNS_4cuda6detail10TensorInfoIT_T0_EENS4_IKS5_S6_EEllS6_, .Lfunc_end67-_ZN2at6native16triu_tril_kernelIllLb1ELi2ELb0EEEvNS_4cuda6detail10TensorInfoIT_T0_EENS4_IKS5_S6_EEllS6_
                                        ; -- End function
	.set _ZN2at6native16triu_tril_kernelIllLb1ELi2ELb0EEEvNS_4cuda6detail10TensorInfoIT_T0_EENS4_IKS5_S6_EEllS6_.num_vgpr, 26
	.set _ZN2at6native16triu_tril_kernelIllLb1ELi2ELb0EEEvNS_4cuda6detail10TensorInfoIT_T0_EENS4_IKS5_S6_EEllS6_.num_agpr, 0
	.set _ZN2at6native16triu_tril_kernelIllLb1ELi2ELb0EEEvNS_4cuda6detail10TensorInfoIT_T0_EENS4_IKS5_S6_EEllS6_.numbered_sgpr, 73
	.set _ZN2at6native16triu_tril_kernelIllLb1ELi2ELb0EEEvNS_4cuda6detail10TensorInfoIT_T0_EENS4_IKS5_S6_EEllS6_.num_named_barrier, 0
	.set _ZN2at6native16triu_tril_kernelIllLb1ELi2ELb0EEEvNS_4cuda6detail10TensorInfoIT_T0_EENS4_IKS5_S6_EEllS6_.private_seg_size, 0
	.set _ZN2at6native16triu_tril_kernelIllLb1ELi2ELb0EEEvNS_4cuda6detail10TensorInfoIT_T0_EENS4_IKS5_S6_EEllS6_.uses_vcc, 1
	.set _ZN2at6native16triu_tril_kernelIllLb1ELi2ELb0EEEvNS_4cuda6detail10TensorInfoIT_T0_EENS4_IKS5_S6_EEllS6_.uses_flat_scratch, 0
	.set _ZN2at6native16triu_tril_kernelIllLb1ELi2ELb0EEEvNS_4cuda6detail10TensorInfoIT_T0_EENS4_IKS5_S6_EEllS6_.has_dyn_sized_stack, 0
	.set _ZN2at6native16triu_tril_kernelIllLb1ELi2ELb0EEEvNS_4cuda6detail10TensorInfoIT_T0_EENS4_IKS5_S6_EEllS6_.has_recursion, 0
	.set _ZN2at6native16triu_tril_kernelIllLb1ELi2ELb0EEEvNS_4cuda6detail10TensorInfoIT_T0_EENS4_IKS5_S6_EEllS6_.has_indirect_call, 0
	.section	.AMDGPU.csdata,"",@progbits
; Kernel info:
; codeLenInByte = 5032
; TotalNumSgprs: 77
; NumVgprs: 26
; ScratchSize: 0
; MemoryBound: 0
; FloatMode: 240
; IeeeMode: 1
; LDSByteSize: 0 bytes/workgroup (compile time only)
; SGPRBlocks: 9
; VGPRBlocks: 6
; NumSGPRsForWavesPerEU: 77
; NumVGPRsForWavesPerEU: 26
; Occupancy: 9
; WaveLimiterHint : 0
; COMPUTE_PGM_RSRC2:SCRATCH_EN: 0
; COMPUTE_PGM_RSRC2:USER_SGPR: 6
; COMPUTE_PGM_RSRC2:TRAP_HANDLER: 0
; COMPUTE_PGM_RSRC2:TGID_X_EN: 1
; COMPUTE_PGM_RSRC2:TGID_Y_EN: 0
; COMPUTE_PGM_RSRC2:TGID_Z_EN: 0
; COMPUTE_PGM_RSRC2:TIDIG_COMP_CNT: 0
	.section	.text._ZN2at6native16triu_tril_kernelIsiLb1ELi4ELb1EEEvNS_4cuda6detail10TensorInfoIT_T0_EENS4_IKS5_S6_EEllS6_,"axG",@progbits,_ZN2at6native16triu_tril_kernelIsiLb1ELi4ELb1EEEvNS_4cuda6detail10TensorInfoIT_T0_EENS4_IKS5_S6_EEllS6_,comdat
	.protected	_ZN2at6native16triu_tril_kernelIsiLb1ELi4ELb1EEEvNS_4cuda6detail10TensorInfoIT_T0_EENS4_IKS5_S6_EEllS6_ ; -- Begin function _ZN2at6native16triu_tril_kernelIsiLb1ELi4ELb1EEEvNS_4cuda6detail10TensorInfoIT_T0_EENS4_IKS5_S6_EEllS6_
	.globl	_ZN2at6native16triu_tril_kernelIsiLb1ELi4ELb1EEEvNS_4cuda6detail10TensorInfoIT_T0_EENS4_IKS5_S6_EEllS6_
	.p2align	8
	.type	_ZN2at6native16triu_tril_kernelIsiLb1ELi4ELb1EEEvNS_4cuda6detail10TensorInfoIT_T0_EENS4_IKS5_S6_EEllS6_,@function
_ZN2at6native16triu_tril_kernelIsiLb1ELi4ELb1EEEvNS_4cuda6detail10TensorInfoIT_T0_EENS4_IKS5_S6_EEllS6_: ; @_ZN2at6native16triu_tril_kernelIsiLb1ELi4ELb1EEEvNS_4cuda6detail10TensorInfoIT_T0_EENS4_IKS5_S6_EEllS6_
; %bb.0:
	s_load_dword s2, s[4:5], 0x1d4
	s_load_dwordx4 s[8:11], s[4:5], 0x1b0
	s_add_u32 s0, s4, 0x1c8
	v_mov_b32_e32 v2, 0
	s_addc_u32 s1, s5, 0
	s_waitcnt lgkmcnt(0)
	s_and_b32 s7, s2, 0xffff
	v_mov_b32_e32 v1, v2
	v_mov_b32_e32 v3, s6
	v_mad_u64_u32 v[0:1], s[2:3], s7, v3, v[0:1]
	v_lshlrev_b64 v[0:1], 2, v[0:1]
	v_cmp_gt_i64_e32 vcc, s[10:11], v[0:1]
	s_and_saveexec_b64 s[2:3], vcc
	s_cbranch_execz .LBB68_67
; %bb.1:
	s_load_dword s33, s[4:5], 0x1c0
	s_load_dword s16, s[4:5], 0x1a8
	s_add_u32 s42, s4, 0xd8
	s_addc_u32 s43, s5, 0
	s_load_dword s6, s[0:1], 0x0
	s_waitcnt lgkmcnt(0)
	s_ashr_i32 s44, s33, 31
	s_ashr_i32 s17, s16, 31
	s_lshl_b64 s[0:1], s[16:17], 2
	s_add_u32 s2, s42, s0
	s_addc_u32 s3, s43, s1
	s_load_dword s45, s[2:3], 0x0
	s_load_dwordx2 s[12:13], s[4:5], 0x0
	s_mul_i32 s18, s6, s7
	v_cmp_gt_i64_e64 s[6:7], s[16:17], 2
	s_mov_b32 s17, 0
	s_waitcnt lgkmcnt(0)
	s_ashr_i32 s46, s45, 31
	s_add_u32 s14, s4, s0
	s_addc_u32 s15, s5, s1
	s_add_i32 s0, s16, 6
	s_add_i32 s47, s16, -3
	s_lshl_b32 s48, s18, 2
	s_and_b32 s49, s0, 7
	s_and_b32 s0, s16, 7
	s_cmp_lg_u32 s0, 2
	s_cselect_b64 s[18:19], -1, 0
	s_cmp_gt_u32 s47, 6
	s_cselect_b64 s[20:21], -1, 0
	s_mov_b64 s[22:23], 0
	s_ashr_i32 s24, s44, 31
	s_branch .LBB68_3
.LBB68_2:                               ;   in Loop: Header=BB68_3 Depth=1
	s_or_b64 exec, exec, s[26:27]
	v_add_co_u32_e32 v0, vcc, s48, v0
	v_addc_co_u32_e32 v1, vcc, 0, v1, vcc
	v_cmp_le_i64_e32 vcc, s[10:11], v[0:1]
	s_or_b64 s[22:23], vcc, s[22:23]
	s_andn2_b64 exec, exec, s[22:23]
	s_cbranch_execz .LBB68_67
.LBB68_3:                               ; =>This Loop Header: Depth=1
                                        ;     Child Loop BB68_14 Depth 2
                                        ;     Child Loop BB68_23 Depth 2
	v_or_b32_e32 v3, s44, v1
	v_cmp_ne_u64_e32 vcc, 0, v[2:3]
                                        ; implicit-def: $vgpr4_vgpr5
	s_and_saveexec_b64 s[0:1], vcc
	s_xor_b64 s[26:27], exec, s[0:1]
	s_cbranch_execz .LBB68_5
; %bb.4:                                ;   in Loop: Header=BB68_3 Depth=1
	s_add_u32 s0, s33, s24
	s_mov_b32 s25, s24
	s_addc_u32 s1, s44, s24
	s_xor_b64 s[28:29], s[0:1], s[24:25]
	v_cvt_f32_u32_e32 v3, s28
	v_cvt_f32_u32_e32 v4, s29
	s_sub_u32 s16, 0, s28
	s_subb_u32 s25, 0, s29
	v_ashrrev_i32_e32 v7, 31, v1
	v_mac_f32_e32 v3, 0x4f800000, v4
	v_rcp_f32_e32 v3, v3
	v_mul_f32_e32 v3, 0x5f7ffffc, v3
	v_mul_f32_e32 v4, 0x2f800000, v3
	v_trunc_f32_e32 v4, v4
	v_mac_f32_e32 v3, 0xcf800000, v4
	v_cvt_u32_f32_e32 v4, v4
	v_cvt_u32_f32_e32 v3, v3
	v_readfirstlane_b32 s30, v4
	v_readfirstlane_b32 s0, v3
	s_mul_i32 s1, s16, s30
	s_mul_hi_u32 s34, s16, s0
	s_mul_i32 s31, s25, s0
	s_add_i32 s1, s34, s1
	s_add_i32 s1, s1, s31
	s_mul_i32 s35, s16, s0
	s_mul_i32 s34, s0, s1
	s_mul_hi_u32 s36, s0, s35
	s_mul_hi_u32 s31, s0, s1
	s_add_u32 s34, s36, s34
	s_addc_u32 s31, 0, s31
	s_mul_hi_u32 s37, s30, s35
	s_mul_i32 s35, s30, s35
	s_add_u32 s34, s34, s35
	s_mul_hi_u32 s36, s30, s1
	s_addc_u32 s31, s31, s37
	s_addc_u32 s34, s36, 0
	s_mul_i32 s1, s30, s1
	s_add_u32 s1, s31, s1
	s_addc_u32 s31, 0, s34
	s_add_u32 s34, s0, s1
	s_cselect_b64 s[0:1], -1, 0
	s_cmp_lg_u64 s[0:1], 0
	s_addc_u32 s30, s30, s31
	s_mul_i32 s0, s16, s30
	s_mul_hi_u32 s1, s16, s34
	s_add_i32 s0, s1, s0
	s_mul_i32 s25, s25, s34
	s_add_i32 s0, s0, s25
	s_mul_i32 s16, s16, s34
	s_mul_hi_u32 s25, s30, s16
	s_mul_i32 s31, s30, s16
	s_mul_i32 s36, s34, s0
	s_mul_hi_u32 s16, s34, s16
	s_mul_hi_u32 s35, s34, s0
	s_add_u32 s16, s16, s36
	s_addc_u32 s35, 0, s35
	s_add_u32 s16, s16, s31
	s_mul_hi_u32 s1, s30, s0
	s_addc_u32 s16, s35, s25
	s_addc_u32 s1, s1, 0
	s_mul_i32 s0, s30, s0
	s_add_u32 s0, s16, s0
	s_addc_u32 s16, 0, s1
	s_add_u32 s25, s34, s0
	s_cselect_b64 s[0:1], -1, 0
	s_cmp_lg_u64 s[0:1], 0
	v_add_co_u32_e32 v3, vcc, v0, v7
	s_addc_u32 s16, s30, s16
	v_xor_b32_e32 v8, v3, v7
	v_mad_u64_u32 v[3:4], s[0:1], v8, s16, 0
	v_mul_hi_u32 v6, v8, s25
	v_addc_co_u32_e32 v5, vcc, v1, v7, vcc
	v_xor_b32_e32 v9, v5, v7
	v_add_co_u32_e32 v10, vcc, v6, v3
	v_addc_co_u32_e32 v11, vcc, 0, v4, vcc
	v_mad_u64_u32 v[3:4], s[0:1], v9, s25, 0
	v_mad_u64_u32 v[5:6], s[0:1], v9, s16, 0
	v_add_co_u32_e32 v3, vcc, v10, v3
	v_addc_co_u32_e32 v3, vcc, v11, v4, vcc
	v_addc_co_u32_e32 v4, vcc, 0, v6, vcc
	v_add_co_u32_e32 v5, vcc, v3, v5
	v_addc_co_u32_e32 v6, vcc, 0, v4, vcc
	v_mul_lo_u32 v10, s29, v5
	v_mul_lo_u32 v11, s28, v6
	v_mad_u64_u32 v[3:4], s[0:1], s28, v5, 0
	v_add3_u32 v4, v4, v11, v10
	v_sub_u32_e32 v10, v9, v4
	v_mov_b32_e32 v11, s29
	v_sub_co_u32_e32 v3, vcc, v8, v3
	v_subb_co_u32_e64 v8, s[0:1], v10, v11, vcc
	v_subrev_co_u32_e64 v10, s[0:1], s28, v3
	v_subbrev_co_u32_e64 v8, s[0:1], 0, v8, s[0:1]
	v_cmp_le_u32_e64 s[0:1], s29, v8
	v_cndmask_b32_e64 v11, 0, -1, s[0:1]
	v_cmp_le_u32_e64 s[0:1], s28, v10
	v_cndmask_b32_e64 v10, 0, -1, s[0:1]
	v_cmp_eq_u32_e64 s[0:1], s29, v8
	v_cndmask_b32_e64 v8, v11, v10, s[0:1]
	v_add_co_u32_e64 v10, s[0:1], 2, v5
	v_subb_co_u32_e32 v4, vcc, v9, v4, vcc
	v_addc_co_u32_e64 v11, s[0:1], 0, v6, s[0:1]
	v_cmp_le_u32_e32 vcc, s29, v4
	v_add_co_u32_e64 v12, s[0:1], 1, v5
	v_cndmask_b32_e64 v9, 0, -1, vcc
	v_cmp_le_u32_e32 vcc, s28, v3
	v_addc_co_u32_e64 v13, s[0:1], 0, v6, s[0:1]
	v_cndmask_b32_e64 v3, 0, -1, vcc
	v_cmp_eq_u32_e32 vcc, s29, v4
	v_cmp_ne_u32_e64 s[0:1], 0, v8
	v_cndmask_b32_e32 v3, v9, v3, vcc
	v_cmp_ne_u32_e32 vcc, 0, v3
	v_cndmask_b32_e64 v4, v12, v10, s[0:1]
	v_cndmask_b32_e64 v8, v13, v11, s[0:1]
	v_cndmask_b32_e32 v4, v5, v4, vcc
	v_xor_b32_e32 v5, s24, v7
	v_cndmask_b32_e32 v3, v6, v8, vcc
	v_xor_b32_e32 v4, v4, v5
	v_xor_b32_e32 v3, v3, v5
	v_sub_co_u32_e32 v4, vcc, v4, v5
	v_subb_co_u32_e32 v5, vcc, v3, v5, vcc
.LBB68_5:                               ;   in Loop: Header=BB68_3 Depth=1
	s_andn2_saveexec_b64 s[0:1], s[26:27]
	s_cbranch_execz .LBB68_7
; %bb.6:                                ;   in Loop: Header=BB68_3 Depth=1
	v_cvt_f32_u32_e32 v3, s33
	s_sub_i32 s16, 0, s33
	v_rcp_iflag_f32_e32 v3, v3
	v_mul_f32_e32 v3, 0x4f7ffffe, v3
	v_cvt_u32_f32_e32 v3, v3
	v_mul_lo_u32 v4, s16, v3
	v_mul_hi_u32 v4, v3, v4
	v_add_u32_e32 v3, v3, v4
	v_mul_hi_u32 v3, v0, v3
	v_mul_lo_u32 v4, v3, s33
	v_add_u32_e32 v5, 1, v3
	v_sub_u32_e32 v4, v0, v4
	v_subrev_u32_e32 v6, s33, v4
	v_cmp_le_u32_e32 vcc, s33, v4
	v_cndmask_b32_e32 v4, v4, v6, vcc
	v_cndmask_b32_e32 v3, v3, v5, vcc
	v_add_u32_e32 v5, 1, v3
	v_cmp_le_u32_e32 vcc, s33, v4
	v_cndmask_b32_e32 v4, v3, v5, vcc
	v_mov_b32_e32 v5, v2
.LBB68_7:                               ;   in Loop: Header=BB68_3 Depth=1
	s_or_b64 exec, exec, s[0:1]
	v_or_b32_e32 v3, s46, v5
	v_cmp_ne_u64_e32 vcc, 0, v[2:3]
                                        ; implicit-def: $vgpr6_vgpr7
	s_and_saveexec_b64 s[0:1], vcc
	s_xor_b64 s[26:27], exec, s[0:1]
	s_cbranch_execz .LBB68_9
; %bb.8:                                ;   in Loop: Header=BB68_3 Depth=1
	s_ashr_i32 s28, s46, 31
	s_add_u32 s0, s45, s28
	s_mov_b32 s29, s28
	s_addc_u32 s1, s46, s28
	s_xor_b64 s[30:31], s[0:1], s[28:29]
	v_cvt_f32_u32_e32 v3, s30
	v_cvt_f32_u32_e32 v6, s31
	s_sub_u32 s16, 0, s30
	s_subb_u32 s25, 0, s31
	v_mac_f32_e32 v3, 0x4f800000, v6
	v_rcp_f32_e32 v3, v3
	v_mul_f32_e32 v3, 0x5f7ffffc, v3
	v_mul_f32_e32 v6, 0x2f800000, v3
	v_trunc_f32_e32 v6, v6
	v_mac_f32_e32 v3, 0xcf800000, v6
	v_cvt_u32_f32_e32 v6, v6
	v_cvt_u32_f32_e32 v3, v3
	v_readfirstlane_b32 s29, v6
	v_readfirstlane_b32 s0, v3
	s_mul_i32 s1, s16, s29
	s_mul_hi_u32 s35, s16, s0
	s_mul_i32 s34, s25, s0
	s_add_i32 s1, s35, s1
	s_add_i32 s1, s1, s34
	s_mul_i32 s36, s16, s0
	s_mul_i32 s35, s0, s1
	s_mul_hi_u32 s37, s0, s36
	s_mul_hi_u32 s34, s0, s1
	s_add_u32 s35, s37, s35
	s_addc_u32 s34, 0, s34
	s_mul_hi_u32 s38, s29, s36
	s_mul_i32 s36, s29, s36
	s_add_u32 s35, s35, s36
	s_mul_hi_u32 s37, s29, s1
	s_addc_u32 s34, s34, s38
	s_addc_u32 s35, s37, 0
	s_mul_i32 s1, s29, s1
	s_add_u32 s1, s34, s1
	s_addc_u32 s34, 0, s35
	s_add_u32 s35, s0, s1
	s_cselect_b64 s[0:1], -1, 0
	s_cmp_lg_u64 s[0:1], 0
	s_addc_u32 s29, s29, s34
	s_mul_i32 s0, s16, s29
	s_mul_hi_u32 s1, s16, s35
	s_add_i32 s0, s1, s0
	s_mul_i32 s25, s25, s35
	s_add_i32 s0, s0, s25
	s_mul_i32 s16, s16, s35
	s_mul_hi_u32 s25, s29, s16
	s_mul_i32 s34, s29, s16
	s_mul_i32 s37, s35, s0
	s_mul_hi_u32 s16, s35, s16
	s_mul_hi_u32 s36, s35, s0
	s_add_u32 s16, s16, s37
	s_addc_u32 s36, 0, s36
	s_add_u32 s16, s16, s34
	s_mul_hi_u32 s1, s29, s0
	s_addc_u32 s16, s36, s25
	s_addc_u32 s1, s1, 0
	s_mul_i32 s0, s29, s0
	s_add_u32 s0, s16, s0
	s_addc_u32 s16, 0, s1
	s_add_u32 s25, s35, s0
	s_cselect_b64 s[0:1], -1, 0
	v_ashrrev_i32_e32 v3, 31, v5
	s_cmp_lg_u64 s[0:1], 0
	v_add_co_u32_e32 v6, vcc, v4, v3
	s_addc_u32 s16, s29, s16
	v_xor_b32_e32 v9, v6, v3
	v_addc_co_u32_e32 v7, vcc, v5, v3, vcc
	v_mad_u64_u32 v[5:6], s[0:1], v9, s16, 0
	v_mul_hi_u32 v8, v9, s25
	v_xor_b32_e32 v10, v7, v3
	v_xor_b32_e32 v3, s28, v3
	v_add_co_u32_e32 v11, vcc, v8, v5
	v_addc_co_u32_e32 v12, vcc, 0, v6, vcc
	v_mad_u64_u32 v[5:6], s[0:1], v10, s25, 0
	v_mad_u64_u32 v[7:8], s[0:1], v10, s16, 0
	v_add_co_u32_e32 v5, vcc, v11, v5
	v_addc_co_u32_e32 v5, vcc, v12, v6, vcc
	v_addc_co_u32_e32 v6, vcc, 0, v8, vcc
	v_add_co_u32_e32 v7, vcc, v5, v7
	v_addc_co_u32_e32 v8, vcc, 0, v6, vcc
	v_mul_lo_u32 v11, s31, v7
	v_mul_lo_u32 v12, s30, v8
	v_mad_u64_u32 v[5:6], s[0:1], s30, v7, 0
	v_add3_u32 v6, v6, v12, v11
	v_sub_u32_e32 v11, v10, v6
	v_mov_b32_e32 v12, s31
	v_sub_co_u32_e32 v5, vcc, v9, v5
	v_subb_co_u32_e64 v9, s[0:1], v11, v12, vcc
	v_subrev_co_u32_e64 v11, s[0:1], s30, v5
	v_subbrev_co_u32_e64 v9, s[0:1], 0, v9, s[0:1]
	v_cmp_le_u32_e64 s[0:1], s31, v9
	v_cndmask_b32_e64 v12, 0, -1, s[0:1]
	v_cmp_le_u32_e64 s[0:1], s30, v11
	v_cndmask_b32_e64 v11, 0, -1, s[0:1]
	v_cmp_eq_u32_e64 s[0:1], s31, v9
	v_cndmask_b32_e64 v9, v12, v11, s[0:1]
	v_add_co_u32_e64 v11, s[0:1], 2, v7
	v_subb_co_u32_e32 v6, vcc, v10, v6, vcc
	v_addc_co_u32_e64 v12, s[0:1], 0, v8, s[0:1]
	v_cmp_le_u32_e32 vcc, s31, v6
	v_add_co_u32_e64 v13, s[0:1], 1, v7
	v_cndmask_b32_e64 v10, 0, -1, vcc
	v_cmp_le_u32_e32 vcc, s30, v5
	v_addc_co_u32_e64 v14, s[0:1], 0, v8, s[0:1]
	v_cndmask_b32_e64 v5, 0, -1, vcc
	v_cmp_eq_u32_e32 vcc, s31, v6
	v_cmp_ne_u32_e64 s[0:1], 0, v9
	v_cndmask_b32_e32 v5, v10, v5, vcc
	v_cmp_ne_u32_e32 vcc, 0, v5
	v_cndmask_b32_e64 v6, v13, v11, s[0:1]
	v_cndmask_b32_e64 v9, v14, v12, s[0:1]
	v_cndmask_b32_e32 v6, v7, v6, vcc
	v_cndmask_b32_e32 v5, v8, v9, vcc
	v_xor_b32_e32 v6, v6, v3
	v_xor_b32_e32 v5, v5, v3
	v_sub_co_u32_e32 v6, vcc, v6, v3
	v_subb_co_u32_e32 v7, vcc, v5, v3, vcc
.LBB68_9:                               ;   in Loop: Header=BB68_3 Depth=1
	s_andn2_saveexec_b64 s[0:1], s[26:27]
	s_cbranch_execz .LBB68_11
; %bb.10:                               ;   in Loop: Header=BB68_3 Depth=1
	v_cvt_f32_u32_e32 v3, s45
	s_sub_i32 s16, 0, s45
	v_rcp_iflag_f32_e32 v3, v3
	v_mul_f32_e32 v3, 0x4f7ffffe, v3
	v_cvt_u32_f32_e32 v3, v3
	v_mul_lo_u32 v5, s16, v3
	v_mul_hi_u32 v5, v3, v5
	v_add_u32_e32 v3, v3, v5
	v_mul_hi_u32 v3, v4, v3
	v_mul_lo_u32 v5, v3, s45
	v_add_u32_e32 v6, 1, v3
	v_sub_u32_e32 v5, v4, v5
	v_subrev_u32_e32 v7, s45, v5
	v_cmp_le_u32_e32 vcc, s45, v5
	v_cndmask_b32_e32 v5, v5, v7, vcc
	v_cndmask_b32_e32 v3, v3, v6, vcc
	v_add_u32_e32 v6, 1, v3
	v_cmp_le_u32_e32 vcc, s45, v5
	v_cndmask_b32_e32 v6, v3, v6, vcc
	v_mov_b32_e32 v7, v2
.LBB68_11:                              ;   in Loop: Header=BB68_3 Depth=1
	s_or_b64 exec, exec, s[0:1]
	v_mad_u64_u32 v[8:9], s[0:1], v4, s33, 0
	v_mad_u64_u32 v[9:10], s[0:1], v6, s45, 0
	v_sub_co_u32_e32 v25, vcc, v0, v8
	v_sub_co_u32_e32 v24, vcc, v4, v9
	v_sub_u32_e32 v3, v25, v24
	v_ashrrev_i32_e32 v4, 31, v3
	v_cmp_gt_i64_e32 vcc, s[8:9], v[3:4]
	s_and_saveexec_b64 s[26:27], vcc
	s_cbranch_execz .LBB68_2
; %bb.12:                               ;   in Loop: Header=BB68_3 Depth=1
	s_load_dwordx2 s[28:29], s[14:15], 0x64
	s_andn2_b64 vcc, exec, s[6:7]
	s_waitcnt lgkmcnt(0)
	v_mul_lo_u32 v3, s29, v25
	v_mad_u64_u32 v[4:5], s[0:1], s28, v24, v[3:4]
	s_cbranch_vccnz .LBB68_57
; %bb.13:                               ;   in Loop: Header=BB68_3 Depth=1
	s_andn2_b64 vcc, exec, s[18:19]
	s_mov_b32 s25, s49
	s_mov_b32 s16, s47
	;; [unrolled: 1-line block ×3, first 2 shown]
	s_cbranch_vccnz .LBB68_21
.LBB68_14:                              ;   Parent Loop BB68_3 Depth=1
                                        ; =>  This Inner Loop Header: Depth=2
	s_lshl_b64 s[30:31], s[16:17], 2
	s_add_u32 s0, s42, s30
	s_addc_u32 s1, s43, s31
	s_load_dword s28, s[0:1], 0x8
                                        ; implicit-def: $vgpr8_vgpr9
	s_waitcnt lgkmcnt(0)
	s_ashr_i32 s0, s28, 31
	v_or_b32_e32 v3, s0, v7
	v_cmp_ne_u64_e32 vcc, 0, v[2:3]
	s_and_saveexec_b64 s[34:35], vcc
	s_xor_b64 s[34:35], exec, s[34:35]
	s_cbranch_execz .LBB68_16
; %bb.15:                               ;   in Loop: Header=BB68_14 Depth=2
	s_ashr_i32 s36, s0, 31
	s_add_u32 s38, s28, s36
	s_mov_b32 s37, s36
	s_addc_u32 s39, s0, s36
	s_xor_b64 s[38:39], s[38:39], s[36:37]
	v_cvt_f32_u32_e32 v3, s38
	v_cvt_f32_u32_e32 v5, s39
	s_sub_u32 s37, 0, s38
	s_subb_u32 s40, 0, s39
	v_mac_f32_e32 v3, 0x4f800000, v5
	v_rcp_f32_e32 v3, v3
	v_mul_f32_e32 v3, 0x5f7ffffc, v3
	v_mul_f32_e32 v5, 0x2f800000, v3
	v_trunc_f32_e32 v5, v5
	v_mac_f32_e32 v3, 0xcf800000, v5
	v_cvt_u32_f32_e32 v5, v5
	v_cvt_u32_f32_e32 v3, v3
	v_readfirstlane_b32 s41, v5
	v_readfirstlane_b32 s0, v3
	s_mul_i32 s1, s37, s41
	s_mul_hi_u32 s51, s37, s0
	s_mul_i32 s50, s40, s0
	s_add_i32 s1, s51, s1
	s_add_i32 s1, s1, s50
	s_mul_i32 s52, s37, s0
	s_mul_i32 s51, s0, s1
	s_mul_hi_u32 s53, s0, s52
	s_mul_hi_u32 s50, s0, s1
	s_add_u32 s51, s53, s51
	s_addc_u32 s50, 0, s50
	s_mul_hi_u32 s54, s41, s52
	s_mul_i32 s52, s41, s52
	s_add_u32 s51, s51, s52
	s_mul_hi_u32 s53, s41, s1
	s_addc_u32 s50, s50, s54
	s_addc_u32 s51, s53, 0
	s_mul_i32 s1, s41, s1
	s_add_u32 s1, s50, s1
	s_addc_u32 s50, 0, s51
	s_add_u32 s51, s0, s1
	s_cselect_b64 s[0:1], -1, 0
	s_cmp_lg_u64 s[0:1], 0
	s_addc_u32 s41, s41, s50
	s_mul_i32 s0, s37, s41
	s_mul_hi_u32 s1, s37, s51
	s_add_i32 s0, s1, s0
	s_mul_i32 s40, s40, s51
	s_add_i32 s0, s0, s40
	s_mul_i32 s37, s37, s51
	s_mul_hi_u32 s40, s41, s37
	s_mul_i32 s50, s41, s37
	s_mul_i32 s53, s51, s0
	s_mul_hi_u32 s37, s51, s37
	s_mul_hi_u32 s52, s51, s0
	s_add_u32 s37, s37, s53
	s_addc_u32 s52, 0, s52
	s_add_u32 s37, s37, s50
	s_mul_hi_u32 s1, s41, s0
	s_addc_u32 s37, s52, s40
	s_addc_u32 s1, s1, 0
	s_mul_i32 s0, s41, s0
	s_add_u32 s0, s37, s0
	s_addc_u32 s37, 0, s1
	s_add_u32 s40, s51, s0
	s_cselect_b64 s[0:1], -1, 0
	v_ashrrev_i32_e32 v3, 31, v7
	s_cmp_lg_u64 s[0:1], 0
	v_add_co_u32_e32 v5, vcc, v6, v3
	s_addc_u32 s37, s41, s37
	v_xor_b32_e32 v5, v5, v3
	v_addc_co_u32_e32 v9, vcc, v7, v3, vcc
	v_mad_u64_u32 v[7:8], s[0:1], v5, s37, 0
	v_mul_hi_u32 v10, v5, s40
	v_xor_b32_e32 v11, v9, v3
	v_xor_b32_e32 v3, s36, v3
	v_add_co_u32_e32 v12, vcc, v10, v7
	v_addc_co_u32_e32 v13, vcc, 0, v8, vcc
	v_mad_u64_u32 v[7:8], s[0:1], v11, s40, 0
	v_mad_u64_u32 v[9:10], s[0:1], v11, s37, 0
	v_add_co_u32_e32 v7, vcc, v12, v7
	v_addc_co_u32_e32 v7, vcc, v13, v8, vcc
	v_addc_co_u32_e32 v8, vcc, 0, v10, vcc
	v_add_co_u32_e32 v9, vcc, v7, v9
	v_addc_co_u32_e32 v10, vcc, 0, v8, vcc
	v_mul_lo_u32 v12, s39, v9
	v_mul_lo_u32 v13, s38, v10
	v_mad_u64_u32 v[7:8], s[0:1], s38, v9, 0
	v_add3_u32 v8, v8, v13, v12
	v_sub_u32_e32 v12, v11, v8
	v_mov_b32_e32 v13, s39
	v_sub_co_u32_e32 v5, vcc, v5, v7
	v_subb_co_u32_e64 v7, s[0:1], v12, v13, vcc
	v_subrev_co_u32_e64 v12, s[0:1], s38, v5
	v_subbrev_co_u32_e64 v7, s[0:1], 0, v7, s[0:1]
	v_cmp_le_u32_e64 s[0:1], s39, v7
	v_cndmask_b32_e64 v13, 0, -1, s[0:1]
	v_cmp_le_u32_e64 s[0:1], s38, v12
	v_cndmask_b32_e64 v12, 0, -1, s[0:1]
	v_cmp_eq_u32_e64 s[0:1], s39, v7
	v_cndmask_b32_e64 v7, v13, v12, s[0:1]
	v_add_co_u32_e64 v12, s[0:1], 2, v9
	v_subb_co_u32_e32 v8, vcc, v11, v8, vcc
	v_addc_co_u32_e64 v13, s[0:1], 0, v10, s[0:1]
	v_cmp_le_u32_e32 vcc, s39, v8
	v_add_co_u32_e64 v14, s[0:1], 1, v9
	v_cndmask_b32_e64 v11, 0, -1, vcc
	v_cmp_le_u32_e32 vcc, s38, v5
	v_addc_co_u32_e64 v15, s[0:1], 0, v10, s[0:1]
	v_cndmask_b32_e64 v5, 0, -1, vcc
	v_cmp_eq_u32_e32 vcc, s39, v8
	v_cmp_ne_u32_e64 s[0:1], 0, v7
	v_cndmask_b32_e32 v5, v11, v5, vcc
	v_cndmask_b32_e64 v7, v15, v13, s[0:1]
	v_cmp_ne_u32_e32 vcc, 0, v5
	v_cndmask_b32_e32 v5, v10, v7, vcc
	v_cndmask_b32_e64 v7, v14, v12, s[0:1]
	v_cndmask_b32_e32 v7, v9, v7, vcc
	v_xor_b32_e32 v7, v7, v3
	v_xor_b32_e32 v5, v5, v3
	v_sub_co_u32_e32 v8, vcc, v7, v3
	v_subb_co_u32_e32 v9, vcc, v5, v3, vcc
.LBB68_16:                              ;   in Loop: Header=BB68_14 Depth=2
	s_andn2_saveexec_b64 s[0:1], s[34:35]
	s_cbranch_execz .LBB68_18
; %bb.17:                               ;   in Loop: Header=BB68_14 Depth=2
	v_cvt_f32_u32_e32 v3, s28
	s_sub_i32 s34, 0, s28
	v_mov_b32_e32 v9, v2
	v_rcp_iflag_f32_e32 v3, v3
	v_mul_f32_e32 v3, 0x4f7ffffe, v3
	v_cvt_u32_f32_e32 v3, v3
	v_mul_lo_u32 v5, s34, v3
	v_mul_hi_u32 v5, v3, v5
	v_add_u32_e32 v3, v3, v5
	v_mul_hi_u32 v3, v6, v3
	v_mul_lo_u32 v5, v3, s28
	v_add_u32_e32 v7, 1, v3
	v_sub_u32_e32 v5, v6, v5
	v_subrev_u32_e32 v8, s28, v5
	v_cmp_le_u32_e32 vcc, s28, v5
	v_cndmask_b32_e32 v5, v5, v8, vcc
	v_cndmask_b32_e32 v3, v3, v7, vcc
	v_add_u32_e32 v7, 1, v3
	v_cmp_le_u32_e32 vcc, s28, v5
	v_cndmask_b32_e32 v8, v3, v7, vcc
.LBB68_18:                              ;   in Loop: Header=BB68_14 Depth=2
	s_or_b64 exec, exec, s[0:1]
	s_add_u32 s0, s4, s30
	s_addc_u32 s1, s5, s31
	v_mul_lo_u32 v3, v8, s28
	s_load_dword s0, s[0:1], 0x6c
	s_add_i32 s16, s16, -1
	s_add_i32 s25, s25, -1
	v_sub_u32_e32 v3, v6, v3
	s_cmp_lg_u32 s25, 0
	s_waitcnt lgkmcnt(0)
	v_mad_u64_u32 v[4:5], s[0:1], s0, v3, v[4:5]
	s_cbranch_scc0 .LBB68_20
; %bb.19:                               ;   in Loop: Header=BB68_14 Depth=2
	v_mov_b32_e32 v6, v8
	v_mov_b32_e32 v7, v9
	s_branch .LBB68_14
.LBB68_20:                              ;   in Loop: Header=BB68_3 Depth=1
	v_mov_b32_e32 v6, v8
	s_mov_b32 s0, s16
	v_mov_b32_e32 v7, v9
.LBB68_21:                              ;   in Loop: Header=BB68_3 Depth=1
	s_andn2_b64 vcc, exec, s[20:21]
	s_cbranch_vccnz .LBB68_57
; %bb.22:                               ;   in Loop: Header=BB68_3 Depth=1
	s_add_i32 s30, s0, -7
.LBB68_23:                              ;   Parent Loop BB68_3 Depth=1
                                        ; =>  This Inner Loop Header: Depth=2
	s_add_i32 s16, s30, 7
	s_lshl_b64 s[34:35], s[16:17], 2
	s_add_u32 s0, s42, s34
	s_addc_u32 s1, s43, s35
	s_load_dword s25, s[0:1], 0x8
                                        ; implicit-def: $vgpr8_vgpr9
	s_waitcnt lgkmcnt(0)
	s_ashr_i32 s0, s25, 31
	v_or_b32_e32 v3, s0, v7
	v_cmp_ne_u64_e32 vcc, 0, v[2:3]
	s_and_saveexec_b64 s[36:37], vcc
	s_xor_b64 s[36:37], exec, s[36:37]
	s_cbranch_execz .LBB68_25
; %bb.24:                               ;   in Loop: Header=BB68_23 Depth=2
	s_ashr_i32 s38, s0, 31
	s_add_u32 s40, s25, s38
	s_mov_b32 s39, s38
	s_addc_u32 s41, s0, s38
	s_xor_b64 s[40:41], s[40:41], s[38:39]
	v_cvt_f32_u32_e32 v3, s40
	v_cvt_f32_u32_e32 v5, s41
	s_sub_u32 s16, 0, s40
	s_subb_u32 s28, 0, s41
	v_mac_f32_e32 v3, 0x4f800000, v5
	v_rcp_f32_e32 v3, v3
	v_mul_f32_e32 v3, 0x5f7ffffc, v3
	v_mul_f32_e32 v5, 0x2f800000, v3
	v_trunc_f32_e32 v5, v5
	v_mac_f32_e32 v3, 0xcf800000, v5
	v_cvt_u32_f32_e32 v5, v5
	v_cvt_u32_f32_e32 v3, v3
	v_readfirstlane_b32 s31, v5
	v_readfirstlane_b32 s0, v3
	s_mul_i32 s1, s16, s31
	s_mul_hi_u32 s50, s16, s0
	s_mul_i32 s39, s28, s0
	s_add_i32 s1, s50, s1
	s_add_i32 s1, s1, s39
	s_mul_i32 s51, s16, s0
	s_mul_i32 s50, s0, s1
	s_mul_hi_u32 s52, s0, s51
	s_mul_hi_u32 s39, s0, s1
	s_add_u32 s50, s52, s50
	s_addc_u32 s39, 0, s39
	s_mul_hi_u32 s53, s31, s51
	s_mul_i32 s51, s31, s51
	s_add_u32 s50, s50, s51
	s_mul_hi_u32 s52, s31, s1
	s_addc_u32 s39, s39, s53
	s_addc_u32 s50, s52, 0
	s_mul_i32 s1, s31, s1
	s_add_u32 s1, s39, s1
	s_addc_u32 s39, 0, s50
	s_add_u32 s50, s0, s1
	s_cselect_b64 s[0:1], -1, 0
	s_cmp_lg_u64 s[0:1], 0
	s_addc_u32 s31, s31, s39
	s_mul_i32 s0, s16, s31
	s_mul_hi_u32 s1, s16, s50
	s_add_i32 s0, s1, s0
	s_mul_i32 s28, s28, s50
	s_add_i32 s0, s0, s28
	s_mul_i32 s16, s16, s50
	s_mul_hi_u32 s28, s31, s16
	s_mul_i32 s39, s31, s16
	s_mul_i32 s52, s50, s0
	s_mul_hi_u32 s16, s50, s16
	s_mul_hi_u32 s51, s50, s0
	s_add_u32 s16, s16, s52
	s_addc_u32 s51, 0, s51
	s_add_u32 s16, s16, s39
	s_mul_hi_u32 s1, s31, s0
	s_addc_u32 s16, s51, s28
	s_addc_u32 s1, s1, 0
	s_mul_i32 s0, s31, s0
	s_add_u32 s0, s16, s0
	s_addc_u32 s16, 0, s1
	s_add_u32 s28, s50, s0
	s_cselect_b64 s[0:1], -1, 0
	v_ashrrev_i32_e32 v3, 31, v7
	s_cmp_lg_u64 s[0:1], 0
	v_add_co_u32_e32 v5, vcc, v6, v3
	s_addc_u32 s16, s31, s16
	v_xor_b32_e32 v5, v5, v3
	v_addc_co_u32_e32 v9, vcc, v7, v3, vcc
	v_mad_u64_u32 v[7:8], s[0:1], v5, s16, 0
	v_mul_hi_u32 v10, v5, s28
	v_xor_b32_e32 v11, v9, v3
	v_xor_b32_e32 v3, s38, v3
	v_add_co_u32_e32 v12, vcc, v10, v7
	v_addc_co_u32_e32 v13, vcc, 0, v8, vcc
	v_mad_u64_u32 v[7:8], s[0:1], v11, s28, 0
	v_mad_u64_u32 v[9:10], s[0:1], v11, s16, 0
	v_add_co_u32_e32 v7, vcc, v12, v7
	v_addc_co_u32_e32 v7, vcc, v13, v8, vcc
	v_addc_co_u32_e32 v8, vcc, 0, v10, vcc
	v_add_co_u32_e32 v9, vcc, v7, v9
	v_addc_co_u32_e32 v10, vcc, 0, v8, vcc
	v_mul_lo_u32 v12, s41, v9
	v_mul_lo_u32 v13, s40, v10
	v_mad_u64_u32 v[7:8], s[0:1], s40, v9, 0
	v_add3_u32 v8, v8, v13, v12
	v_sub_u32_e32 v12, v11, v8
	v_mov_b32_e32 v13, s41
	v_sub_co_u32_e32 v5, vcc, v5, v7
	v_subb_co_u32_e64 v7, s[0:1], v12, v13, vcc
	v_subrev_co_u32_e64 v12, s[0:1], s40, v5
	v_subbrev_co_u32_e64 v7, s[0:1], 0, v7, s[0:1]
	v_cmp_le_u32_e64 s[0:1], s41, v7
	v_cndmask_b32_e64 v13, 0, -1, s[0:1]
	v_cmp_le_u32_e64 s[0:1], s40, v12
	v_cndmask_b32_e64 v12, 0, -1, s[0:1]
	v_cmp_eq_u32_e64 s[0:1], s41, v7
	v_cndmask_b32_e64 v7, v13, v12, s[0:1]
	v_add_co_u32_e64 v12, s[0:1], 2, v9
	v_subb_co_u32_e32 v8, vcc, v11, v8, vcc
	v_addc_co_u32_e64 v13, s[0:1], 0, v10, s[0:1]
	v_cmp_le_u32_e32 vcc, s41, v8
	v_add_co_u32_e64 v14, s[0:1], 1, v9
	v_cndmask_b32_e64 v11, 0, -1, vcc
	v_cmp_le_u32_e32 vcc, s40, v5
	v_addc_co_u32_e64 v15, s[0:1], 0, v10, s[0:1]
	v_cndmask_b32_e64 v5, 0, -1, vcc
	v_cmp_eq_u32_e32 vcc, s41, v8
	v_cmp_ne_u32_e64 s[0:1], 0, v7
	v_cndmask_b32_e32 v5, v11, v5, vcc
	v_cndmask_b32_e64 v7, v15, v13, s[0:1]
	v_cmp_ne_u32_e32 vcc, 0, v5
	v_cndmask_b32_e32 v5, v10, v7, vcc
	v_cndmask_b32_e64 v7, v14, v12, s[0:1]
	v_cndmask_b32_e32 v7, v9, v7, vcc
	v_xor_b32_e32 v7, v7, v3
	v_xor_b32_e32 v5, v5, v3
	v_sub_co_u32_e32 v8, vcc, v7, v3
	v_subb_co_u32_e32 v9, vcc, v5, v3, vcc
.LBB68_25:                              ;   in Loop: Header=BB68_23 Depth=2
	s_andn2_saveexec_b64 s[0:1], s[36:37]
	s_cbranch_execz .LBB68_27
; %bb.26:                               ;   in Loop: Header=BB68_23 Depth=2
	v_cvt_f32_u32_e32 v3, s25
	s_sub_i32 s16, 0, s25
	v_mov_b32_e32 v9, v2
	v_rcp_iflag_f32_e32 v3, v3
	v_mul_f32_e32 v3, 0x4f7ffffe, v3
	v_cvt_u32_f32_e32 v3, v3
	v_mul_lo_u32 v5, s16, v3
	v_mul_hi_u32 v5, v3, v5
	v_add_u32_e32 v3, v3, v5
	v_mul_hi_u32 v3, v6, v3
	v_mul_lo_u32 v5, v3, s25
	v_add_u32_e32 v7, 1, v3
	v_sub_u32_e32 v5, v6, v5
	v_subrev_u32_e32 v8, s25, v5
	v_cmp_le_u32_e32 vcc, s25, v5
	v_cndmask_b32_e32 v5, v5, v8, vcc
	v_cndmask_b32_e32 v3, v3, v7, vcc
	v_add_u32_e32 v7, 1, v3
	v_cmp_le_u32_e32 vcc, s25, v5
	v_cndmask_b32_e32 v8, v3, v7, vcc
.LBB68_27:                              ;   in Loop: Header=BB68_23 Depth=2
	s_or_b64 exec, exec, s[0:1]
	s_add_u32 s0, s4, s34
	s_addc_u32 s1, s5, s35
	s_add_i32 s16, s30, 6
	s_lshl_b64 s[34:35], s[16:17], 2
	s_add_u32 s36, s42, s34
	s_addc_u32 s37, s43, s35
	s_load_dword s50, s[36:37], 0x8
	s_load_dword s28, s[0:1], 0x6c
                                        ; implicit-def: $vgpr10_vgpr11
	s_waitcnt lgkmcnt(0)
	s_ashr_i32 s0, s50, 31
	v_or_b32_e32 v3, s0, v9
	v_cmp_ne_u64_e32 vcc, 0, v[2:3]
	s_and_saveexec_b64 s[36:37], vcc
	s_xor_b64 s[36:37], exec, s[36:37]
	s_cbranch_execz .LBB68_29
; %bb.28:                               ;   in Loop: Header=BB68_23 Depth=2
	s_ashr_i32 s38, s0, 31
	s_add_u32 s40, s50, s38
	s_mov_b32 s39, s38
	s_addc_u32 s41, s0, s38
	s_xor_b64 s[40:41], s[40:41], s[38:39]
	v_cvt_f32_u32_e32 v3, s40
	v_cvt_f32_u32_e32 v5, s41
	s_sub_u32 s16, 0, s40
	s_subb_u32 s31, 0, s41
	v_mac_f32_e32 v3, 0x4f800000, v5
	v_rcp_f32_e32 v3, v3
	v_mul_f32_e32 v3, 0x5f7ffffc, v3
	v_mul_f32_e32 v5, 0x2f800000, v3
	v_trunc_f32_e32 v5, v5
	v_mac_f32_e32 v3, 0xcf800000, v5
	v_cvt_u32_f32_e32 v5, v5
	v_cvt_u32_f32_e32 v3, v3
	v_readfirstlane_b32 s39, v5
	v_readfirstlane_b32 s0, v3
	s_mul_i32 s1, s16, s39
	s_mul_hi_u32 s52, s16, s0
	s_mul_i32 s51, s31, s0
	s_add_i32 s1, s52, s1
	s_add_i32 s1, s1, s51
	s_mul_i32 s53, s16, s0
	s_mul_i32 s52, s0, s1
	s_mul_hi_u32 s54, s0, s53
	s_mul_hi_u32 s51, s0, s1
	s_add_u32 s52, s54, s52
	s_addc_u32 s51, 0, s51
	s_mul_hi_u32 s55, s39, s53
	s_mul_i32 s53, s39, s53
	s_add_u32 s52, s52, s53
	s_mul_hi_u32 s54, s39, s1
	s_addc_u32 s51, s51, s55
	s_addc_u32 s52, s54, 0
	s_mul_i32 s1, s39, s1
	s_add_u32 s1, s51, s1
	s_addc_u32 s51, 0, s52
	s_add_u32 s52, s0, s1
	s_cselect_b64 s[0:1], -1, 0
	s_cmp_lg_u64 s[0:1], 0
	s_addc_u32 s39, s39, s51
	s_mul_i32 s0, s16, s39
	s_mul_hi_u32 s1, s16, s52
	s_add_i32 s0, s1, s0
	s_mul_i32 s31, s31, s52
	s_add_i32 s0, s0, s31
	s_mul_i32 s16, s16, s52
	s_mul_hi_u32 s31, s39, s16
	s_mul_i32 s51, s39, s16
	s_mul_i32 s54, s52, s0
	s_mul_hi_u32 s16, s52, s16
	s_mul_hi_u32 s53, s52, s0
	s_add_u32 s16, s16, s54
	s_addc_u32 s53, 0, s53
	s_add_u32 s16, s16, s51
	s_mul_hi_u32 s1, s39, s0
	s_addc_u32 s16, s53, s31
	s_addc_u32 s1, s1, 0
	s_mul_i32 s0, s39, s0
	s_add_u32 s0, s16, s0
	s_addc_u32 s16, 0, s1
	s_add_u32 s31, s52, s0
	s_cselect_b64 s[0:1], -1, 0
	v_ashrrev_i32_e32 v3, 31, v9
	s_cmp_lg_u64 s[0:1], 0
	v_add_co_u32_e32 v5, vcc, v8, v3
	s_addc_u32 s16, s39, s16
	v_xor_b32_e32 v5, v5, v3
	v_addc_co_u32_e32 v7, vcc, v9, v3, vcc
	v_mad_u64_u32 v[9:10], s[0:1], v5, s16, 0
	v_mul_hi_u32 v11, v5, s31
	v_xor_b32_e32 v7, v7, v3
	v_xor_b32_e32 v3, s38, v3
	v_add_co_u32_e32 v13, vcc, v11, v9
	v_addc_co_u32_e32 v14, vcc, 0, v10, vcc
	v_mad_u64_u32 v[9:10], s[0:1], v7, s31, 0
	v_mad_u64_u32 v[11:12], s[0:1], v7, s16, 0
	v_add_co_u32_e32 v9, vcc, v13, v9
	v_addc_co_u32_e32 v9, vcc, v14, v10, vcc
	v_addc_co_u32_e32 v10, vcc, 0, v12, vcc
	v_add_co_u32_e32 v11, vcc, v9, v11
	v_addc_co_u32_e32 v12, vcc, 0, v10, vcc
	v_mul_lo_u32 v13, s41, v11
	v_mul_lo_u32 v14, s40, v12
	v_mad_u64_u32 v[9:10], s[0:1], s40, v11, 0
	v_add3_u32 v10, v10, v14, v13
	v_sub_u32_e32 v13, v7, v10
	v_mov_b32_e32 v14, s41
	v_sub_co_u32_e32 v5, vcc, v5, v9
	v_subb_co_u32_e64 v9, s[0:1], v13, v14, vcc
	v_subrev_co_u32_e64 v13, s[0:1], s40, v5
	v_subbrev_co_u32_e64 v9, s[0:1], 0, v9, s[0:1]
	v_cmp_le_u32_e64 s[0:1], s41, v9
	v_cndmask_b32_e64 v14, 0, -1, s[0:1]
	v_cmp_le_u32_e64 s[0:1], s40, v13
	v_cndmask_b32_e64 v13, 0, -1, s[0:1]
	v_cmp_eq_u32_e64 s[0:1], s41, v9
	v_cndmask_b32_e64 v9, v14, v13, s[0:1]
	v_add_co_u32_e64 v13, s[0:1], 2, v11
	v_subb_co_u32_e32 v7, vcc, v7, v10, vcc
	v_addc_co_u32_e64 v14, s[0:1], 0, v12, s[0:1]
	v_cmp_le_u32_e32 vcc, s41, v7
	v_add_co_u32_e64 v15, s[0:1], 1, v11
	v_cndmask_b32_e64 v10, 0, -1, vcc
	v_cmp_le_u32_e32 vcc, s40, v5
	v_addc_co_u32_e64 v16, s[0:1], 0, v12, s[0:1]
	v_cndmask_b32_e64 v5, 0, -1, vcc
	v_cmp_eq_u32_e32 vcc, s41, v7
	v_cmp_ne_u32_e64 s[0:1], 0, v9
	v_cndmask_b32_e32 v5, v10, v5, vcc
	v_cmp_ne_u32_e32 vcc, 0, v5
	v_cndmask_b32_e64 v7, v15, v13, s[0:1]
	v_cndmask_b32_e64 v9, v16, v14, s[0:1]
	v_cndmask_b32_e32 v7, v11, v7, vcc
	v_cndmask_b32_e32 v5, v12, v9, vcc
	v_xor_b32_e32 v7, v7, v3
	v_xor_b32_e32 v5, v5, v3
	v_sub_co_u32_e32 v10, vcc, v7, v3
	v_subb_co_u32_e32 v11, vcc, v5, v3, vcc
.LBB68_29:                              ;   in Loop: Header=BB68_23 Depth=2
	s_andn2_saveexec_b64 s[0:1], s[36:37]
	s_cbranch_execz .LBB68_31
; %bb.30:                               ;   in Loop: Header=BB68_23 Depth=2
	v_cvt_f32_u32_e32 v3, s50
	s_sub_i32 s16, 0, s50
	v_mov_b32_e32 v11, v2
	v_rcp_iflag_f32_e32 v3, v3
	v_mul_f32_e32 v3, 0x4f7ffffe, v3
	v_cvt_u32_f32_e32 v3, v3
	v_mul_lo_u32 v5, s16, v3
	v_mul_hi_u32 v5, v3, v5
	v_add_u32_e32 v3, v3, v5
	v_mul_hi_u32 v3, v8, v3
	v_mul_lo_u32 v5, v3, s50
	v_add_u32_e32 v7, 1, v3
	v_sub_u32_e32 v5, v8, v5
	v_subrev_u32_e32 v9, s50, v5
	v_cmp_le_u32_e32 vcc, s50, v5
	v_cndmask_b32_e32 v5, v5, v9, vcc
	v_cndmask_b32_e32 v3, v3, v7, vcc
	v_add_u32_e32 v7, 1, v3
	v_cmp_le_u32_e32 vcc, s50, v5
	v_cndmask_b32_e32 v10, v3, v7, vcc
.LBB68_31:                              ;   in Loop: Header=BB68_23 Depth=2
	s_or_b64 exec, exec, s[0:1]
	s_add_u32 s0, s4, s34
	s_addc_u32 s1, s5, s35
	s_add_i32 s16, s30, 5
	s_lshl_b64 s[34:35], s[16:17], 2
	s_add_u32 s36, s42, s34
	s_addc_u32 s37, s43, s35
	s_load_dword s52, s[36:37], 0x8
	s_load_dword s51, s[0:1], 0x6c
                                        ; implicit-def: $vgpr12_vgpr13
	s_waitcnt lgkmcnt(0)
	s_ashr_i32 s0, s52, 31
	v_or_b32_e32 v3, s0, v11
	v_cmp_ne_u64_e32 vcc, 0, v[2:3]
	s_and_saveexec_b64 s[36:37], vcc
	s_xor_b64 s[36:37], exec, s[36:37]
	s_cbranch_execz .LBB68_33
; %bb.32:                               ;   in Loop: Header=BB68_23 Depth=2
	s_ashr_i32 s38, s0, 31
	s_add_u32 s40, s52, s38
	s_mov_b32 s39, s38
	s_addc_u32 s41, s0, s38
	s_xor_b64 s[40:41], s[40:41], s[38:39]
	v_cvt_f32_u32_e32 v3, s40
	v_cvt_f32_u32_e32 v5, s41
	s_sub_u32 s16, 0, s40
	s_subb_u32 s31, 0, s41
	v_mac_f32_e32 v3, 0x4f800000, v5
	v_rcp_f32_e32 v3, v3
	v_mul_f32_e32 v3, 0x5f7ffffc, v3
	v_mul_f32_e32 v5, 0x2f800000, v3
	v_trunc_f32_e32 v5, v5
	v_mac_f32_e32 v3, 0xcf800000, v5
	v_cvt_u32_f32_e32 v5, v5
	v_cvt_u32_f32_e32 v3, v3
	v_readfirstlane_b32 s39, v5
	v_readfirstlane_b32 s0, v3
	s_mul_i32 s1, s16, s39
	s_mul_hi_u32 s54, s16, s0
	s_mul_i32 s53, s31, s0
	s_add_i32 s1, s54, s1
	s_add_i32 s1, s1, s53
	s_mul_i32 s55, s16, s0
	s_mul_i32 s54, s0, s1
	s_mul_hi_u32 s56, s0, s55
	s_mul_hi_u32 s53, s0, s1
	s_add_u32 s54, s56, s54
	s_addc_u32 s53, 0, s53
	s_mul_hi_u32 s57, s39, s55
	s_mul_i32 s55, s39, s55
	s_add_u32 s54, s54, s55
	s_mul_hi_u32 s56, s39, s1
	s_addc_u32 s53, s53, s57
	s_addc_u32 s54, s56, 0
	s_mul_i32 s1, s39, s1
	s_add_u32 s1, s53, s1
	s_addc_u32 s53, 0, s54
	s_add_u32 s54, s0, s1
	s_cselect_b64 s[0:1], -1, 0
	s_cmp_lg_u64 s[0:1], 0
	s_addc_u32 s39, s39, s53
	s_mul_i32 s0, s16, s39
	s_mul_hi_u32 s1, s16, s54
	s_add_i32 s0, s1, s0
	s_mul_i32 s31, s31, s54
	s_add_i32 s0, s0, s31
	s_mul_i32 s16, s16, s54
	s_mul_hi_u32 s31, s39, s16
	s_mul_i32 s53, s39, s16
	s_mul_i32 s56, s54, s0
	s_mul_hi_u32 s16, s54, s16
	s_mul_hi_u32 s55, s54, s0
	s_add_u32 s16, s16, s56
	s_addc_u32 s55, 0, s55
	s_add_u32 s16, s16, s53
	s_mul_hi_u32 s1, s39, s0
	s_addc_u32 s16, s55, s31
	s_addc_u32 s1, s1, 0
	s_mul_i32 s0, s39, s0
	s_add_u32 s0, s16, s0
	s_addc_u32 s16, 0, s1
	s_add_u32 s31, s54, s0
	s_cselect_b64 s[0:1], -1, 0
	v_ashrrev_i32_e32 v3, 31, v11
	s_cmp_lg_u64 s[0:1], 0
	v_add_co_u32_e32 v5, vcc, v10, v3
	s_addc_u32 s16, s39, s16
	v_xor_b32_e32 v5, v5, v3
	v_addc_co_u32_e32 v7, vcc, v11, v3, vcc
	v_mad_u64_u32 v[11:12], s[0:1], v5, s16, 0
	v_mul_hi_u32 v9, v5, s31
	v_xor_b32_e32 v7, v7, v3
	v_mad_u64_u32 v[13:14], s[0:1], v7, s16, 0
	v_add_co_u32_e32 v9, vcc, v9, v11
	v_addc_co_u32_e32 v15, vcc, 0, v12, vcc
	v_mad_u64_u32 v[11:12], s[0:1], v7, s31, 0
	v_xor_b32_e32 v3, s38, v3
	v_add_co_u32_e32 v9, vcc, v9, v11
	v_addc_co_u32_e32 v9, vcc, v15, v12, vcc
	v_addc_co_u32_e32 v11, vcc, 0, v14, vcc
	v_add_co_u32_e32 v9, vcc, v9, v13
	v_addc_co_u32_e32 v13, vcc, 0, v11, vcc
	v_mul_lo_u32 v14, s41, v9
	v_mul_lo_u32 v15, s40, v13
	v_mad_u64_u32 v[11:12], s[0:1], s40, v9, 0
	v_add3_u32 v12, v12, v15, v14
	v_sub_u32_e32 v14, v7, v12
	v_mov_b32_e32 v15, s41
	v_sub_co_u32_e32 v5, vcc, v5, v11
	v_subb_co_u32_e64 v11, s[0:1], v14, v15, vcc
	v_subrev_co_u32_e64 v14, s[0:1], s40, v5
	v_subbrev_co_u32_e64 v11, s[0:1], 0, v11, s[0:1]
	v_cmp_le_u32_e64 s[0:1], s41, v11
	v_cndmask_b32_e64 v15, 0, -1, s[0:1]
	v_cmp_le_u32_e64 s[0:1], s40, v14
	v_cndmask_b32_e64 v14, 0, -1, s[0:1]
	v_cmp_eq_u32_e64 s[0:1], s41, v11
	v_cndmask_b32_e64 v11, v15, v14, s[0:1]
	v_add_co_u32_e64 v14, s[0:1], 2, v9
	v_subb_co_u32_e32 v7, vcc, v7, v12, vcc
	v_addc_co_u32_e64 v15, s[0:1], 0, v13, s[0:1]
	v_cmp_le_u32_e32 vcc, s41, v7
	v_add_co_u32_e64 v16, s[0:1], 1, v9
	v_cndmask_b32_e64 v12, 0, -1, vcc
	v_cmp_le_u32_e32 vcc, s40, v5
	v_addc_co_u32_e64 v17, s[0:1], 0, v13, s[0:1]
	v_cndmask_b32_e64 v5, 0, -1, vcc
	v_cmp_eq_u32_e32 vcc, s41, v7
	v_cmp_ne_u32_e64 s[0:1], 0, v11
	v_cndmask_b32_e32 v5, v12, v5, vcc
	v_cmp_ne_u32_e32 vcc, 0, v5
	v_cndmask_b32_e64 v7, v16, v14, s[0:1]
	v_cndmask_b32_e64 v11, v17, v15, s[0:1]
	v_cndmask_b32_e32 v7, v9, v7, vcc
	v_cndmask_b32_e32 v5, v13, v11, vcc
	v_xor_b32_e32 v7, v7, v3
	v_xor_b32_e32 v5, v5, v3
	v_sub_co_u32_e32 v12, vcc, v7, v3
	v_subb_co_u32_e32 v13, vcc, v5, v3, vcc
.LBB68_33:                              ;   in Loop: Header=BB68_23 Depth=2
	s_andn2_saveexec_b64 s[0:1], s[36:37]
	s_cbranch_execz .LBB68_35
; %bb.34:                               ;   in Loop: Header=BB68_23 Depth=2
	v_cvt_f32_u32_e32 v3, s52
	s_sub_i32 s16, 0, s52
	v_mov_b32_e32 v13, v2
	v_rcp_iflag_f32_e32 v3, v3
	v_mul_f32_e32 v3, 0x4f7ffffe, v3
	v_cvt_u32_f32_e32 v3, v3
	v_mul_lo_u32 v5, s16, v3
	v_mul_hi_u32 v5, v3, v5
	v_add_u32_e32 v3, v3, v5
	v_mul_hi_u32 v3, v10, v3
	v_mul_lo_u32 v5, v3, s52
	v_add_u32_e32 v7, 1, v3
	v_sub_u32_e32 v5, v10, v5
	v_subrev_u32_e32 v9, s52, v5
	v_cmp_le_u32_e32 vcc, s52, v5
	v_cndmask_b32_e32 v5, v5, v9, vcc
	v_cndmask_b32_e32 v3, v3, v7, vcc
	v_add_u32_e32 v7, 1, v3
	v_cmp_le_u32_e32 vcc, s52, v5
	v_cndmask_b32_e32 v12, v3, v7, vcc
.LBB68_35:                              ;   in Loop: Header=BB68_23 Depth=2
	s_or_b64 exec, exec, s[0:1]
	s_add_u32 s0, s4, s34
	s_addc_u32 s1, s5, s35
	s_add_i32 s16, s30, 4
	s_lshl_b64 s[34:35], s[16:17], 2
	s_add_u32 s36, s42, s34
	s_addc_u32 s37, s43, s35
	s_load_dword s54, s[36:37], 0x8
	s_load_dword s53, s[0:1], 0x6c
                                        ; implicit-def: $vgpr14_vgpr15
	s_waitcnt lgkmcnt(0)
	s_ashr_i32 s0, s54, 31
	v_or_b32_e32 v3, s0, v13
	v_cmp_ne_u64_e32 vcc, 0, v[2:3]
	s_and_saveexec_b64 s[36:37], vcc
	s_xor_b64 s[36:37], exec, s[36:37]
	s_cbranch_execz .LBB68_37
; %bb.36:                               ;   in Loop: Header=BB68_23 Depth=2
	s_ashr_i32 s38, s0, 31
	s_add_u32 s40, s54, s38
	s_mov_b32 s39, s38
	s_addc_u32 s41, s0, s38
	s_xor_b64 s[40:41], s[40:41], s[38:39]
	v_cvt_f32_u32_e32 v3, s40
	v_cvt_f32_u32_e32 v5, s41
	s_sub_u32 s16, 0, s40
	s_subb_u32 s31, 0, s41
	v_mac_f32_e32 v3, 0x4f800000, v5
	v_rcp_f32_e32 v3, v3
	v_mul_f32_e32 v3, 0x5f7ffffc, v3
	v_mul_f32_e32 v5, 0x2f800000, v3
	v_trunc_f32_e32 v5, v5
	v_mac_f32_e32 v3, 0xcf800000, v5
	v_cvt_u32_f32_e32 v5, v5
	v_cvt_u32_f32_e32 v3, v3
	v_readfirstlane_b32 s39, v5
	v_readfirstlane_b32 s0, v3
	s_mul_i32 s1, s16, s39
	s_mul_hi_u32 s56, s16, s0
	s_mul_i32 s55, s31, s0
	s_add_i32 s1, s56, s1
	s_add_i32 s1, s1, s55
	s_mul_i32 s57, s16, s0
	s_mul_i32 s56, s0, s1
	s_mul_hi_u32 s58, s0, s57
	s_mul_hi_u32 s55, s0, s1
	s_add_u32 s56, s58, s56
	s_addc_u32 s55, 0, s55
	s_mul_hi_u32 s59, s39, s57
	s_mul_i32 s57, s39, s57
	s_add_u32 s56, s56, s57
	s_mul_hi_u32 s58, s39, s1
	s_addc_u32 s55, s55, s59
	s_addc_u32 s56, s58, 0
	s_mul_i32 s1, s39, s1
	s_add_u32 s1, s55, s1
	s_addc_u32 s55, 0, s56
	s_add_u32 s56, s0, s1
	s_cselect_b64 s[0:1], -1, 0
	s_cmp_lg_u64 s[0:1], 0
	s_addc_u32 s39, s39, s55
	s_mul_i32 s0, s16, s39
	s_mul_hi_u32 s1, s16, s56
	s_add_i32 s0, s1, s0
	s_mul_i32 s31, s31, s56
	s_add_i32 s0, s0, s31
	s_mul_i32 s16, s16, s56
	s_mul_hi_u32 s31, s39, s16
	s_mul_i32 s55, s39, s16
	s_mul_i32 s58, s56, s0
	s_mul_hi_u32 s16, s56, s16
	s_mul_hi_u32 s57, s56, s0
	s_add_u32 s16, s16, s58
	s_addc_u32 s57, 0, s57
	s_add_u32 s16, s16, s55
	s_mul_hi_u32 s1, s39, s0
	s_addc_u32 s16, s57, s31
	s_addc_u32 s1, s1, 0
	s_mul_i32 s0, s39, s0
	s_add_u32 s0, s16, s0
	s_addc_u32 s16, 0, s1
	s_add_u32 s31, s56, s0
	s_cselect_b64 s[0:1], -1, 0
	v_ashrrev_i32_e32 v3, 31, v13
	s_cmp_lg_u64 s[0:1], 0
	v_add_co_u32_e32 v5, vcc, v12, v3
	s_addc_u32 s16, s39, s16
	v_xor_b32_e32 v5, v5, v3
	v_addc_co_u32_e32 v7, vcc, v13, v3, vcc
	v_mad_u64_u32 v[13:14], s[0:1], v5, s16, 0
	v_mul_hi_u32 v9, v5, s31
	v_xor_b32_e32 v7, v7, v3
	v_mad_u64_u32 v[15:16], s[0:1], v7, s16, 0
	v_add_co_u32_e32 v9, vcc, v9, v13
	v_addc_co_u32_e32 v11, vcc, 0, v14, vcc
	v_mad_u64_u32 v[13:14], s[0:1], v7, s31, 0
	v_xor_b32_e32 v3, s38, v3
	v_add_co_u32_e32 v9, vcc, v9, v13
	v_addc_co_u32_e32 v9, vcc, v11, v14, vcc
	v_addc_co_u32_e32 v11, vcc, 0, v16, vcc
	v_add_co_u32_e32 v9, vcc, v9, v15
	v_addc_co_u32_e32 v11, vcc, 0, v11, vcc
	v_mul_lo_u32 v15, s41, v9
	v_mul_lo_u32 v16, s40, v11
	v_mad_u64_u32 v[13:14], s[0:1], s40, v9, 0
	v_add3_u32 v14, v14, v16, v15
	v_sub_u32_e32 v15, v7, v14
	v_mov_b32_e32 v16, s41
	v_sub_co_u32_e32 v5, vcc, v5, v13
	v_subb_co_u32_e64 v13, s[0:1], v15, v16, vcc
	v_subrev_co_u32_e64 v15, s[0:1], s40, v5
	v_subbrev_co_u32_e64 v13, s[0:1], 0, v13, s[0:1]
	v_cmp_le_u32_e64 s[0:1], s41, v13
	v_cndmask_b32_e64 v16, 0, -1, s[0:1]
	v_cmp_le_u32_e64 s[0:1], s40, v15
	v_cndmask_b32_e64 v15, 0, -1, s[0:1]
	v_cmp_eq_u32_e64 s[0:1], s41, v13
	v_cndmask_b32_e64 v13, v16, v15, s[0:1]
	v_add_co_u32_e64 v15, s[0:1], 2, v9
	v_subb_co_u32_e32 v7, vcc, v7, v14, vcc
	v_addc_co_u32_e64 v16, s[0:1], 0, v11, s[0:1]
	v_cmp_le_u32_e32 vcc, s41, v7
	v_add_co_u32_e64 v17, s[0:1], 1, v9
	v_cndmask_b32_e64 v14, 0, -1, vcc
	v_cmp_le_u32_e32 vcc, s40, v5
	v_addc_co_u32_e64 v18, s[0:1], 0, v11, s[0:1]
	v_cndmask_b32_e64 v5, 0, -1, vcc
	v_cmp_eq_u32_e32 vcc, s41, v7
	v_cmp_ne_u32_e64 s[0:1], 0, v13
	v_cndmask_b32_e32 v5, v14, v5, vcc
	v_cmp_ne_u32_e32 vcc, 0, v5
	v_cndmask_b32_e64 v7, v17, v15, s[0:1]
	v_cndmask_b32_e64 v13, v18, v16, s[0:1]
	v_cndmask_b32_e32 v7, v9, v7, vcc
	v_cndmask_b32_e32 v5, v11, v13, vcc
	v_xor_b32_e32 v7, v7, v3
	v_xor_b32_e32 v5, v5, v3
	v_sub_co_u32_e32 v14, vcc, v7, v3
	v_subb_co_u32_e32 v15, vcc, v5, v3, vcc
.LBB68_37:                              ;   in Loop: Header=BB68_23 Depth=2
	s_andn2_saveexec_b64 s[0:1], s[36:37]
	s_cbranch_execz .LBB68_39
; %bb.38:                               ;   in Loop: Header=BB68_23 Depth=2
	v_cvt_f32_u32_e32 v3, s54
	s_sub_i32 s16, 0, s54
	v_mov_b32_e32 v15, v2
	v_rcp_iflag_f32_e32 v3, v3
	v_mul_f32_e32 v3, 0x4f7ffffe, v3
	v_cvt_u32_f32_e32 v3, v3
	v_mul_lo_u32 v5, s16, v3
	v_mul_hi_u32 v5, v3, v5
	v_add_u32_e32 v3, v3, v5
	v_mul_hi_u32 v3, v12, v3
	v_mul_lo_u32 v5, v3, s54
	v_add_u32_e32 v7, 1, v3
	v_sub_u32_e32 v5, v12, v5
	v_subrev_u32_e32 v9, s54, v5
	v_cmp_le_u32_e32 vcc, s54, v5
	v_cndmask_b32_e32 v5, v5, v9, vcc
	v_cndmask_b32_e32 v3, v3, v7, vcc
	v_add_u32_e32 v7, 1, v3
	v_cmp_le_u32_e32 vcc, s54, v5
	v_cndmask_b32_e32 v14, v3, v7, vcc
.LBB68_39:                              ;   in Loop: Header=BB68_23 Depth=2
	s_or_b64 exec, exec, s[0:1]
	s_add_u32 s0, s4, s34
	s_addc_u32 s1, s5, s35
	s_add_i32 s16, s30, 3
	s_lshl_b64 s[34:35], s[16:17], 2
	s_add_u32 s36, s42, s34
	s_addc_u32 s37, s43, s35
	s_load_dword s55, s[36:37], 0x8
	s_load_dword s56, s[0:1], 0x6c
                                        ; implicit-def: $vgpr16_vgpr17
	s_waitcnt lgkmcnt(0)
	s_ashr_i32 s0, s55, 31
	v_or_b32_e32 v3, s0, v15
	v_cmp_ne_u64_e32 vcc, 0, v[2:3]
	s_and_saveexec_b64 s[36:37], vcc
	s_xor_b64 s[36:37], exec, s[36:37]
	s_cbranch_execz .LBB68_41
; %bb.40:                               ;   in Loop: Header=BB68_23 Depth=2
	s_ashr_i32 s38, s0, 31
	s_add_u32 s40, s55, s38
	s_mov_b32 s39, s38
	s_addc_u32 s41, s0, s38
	s_xor_b64 s[40:41], s[40:41], s[38:39]
	v_cvt_f32_u32_e32 v3, s40
	v_cvt_f32_u32_e32 v5, s41
	s_sub_u32 s16, 0, s40
	s_subb_u32 s31, 0, s41
	v_mac_f32_e32 v3, 0x4f800000, v5
	v_rcp_f32_e32 v3, v3
	v_mul_f32_e32 v3, 0x5f7ffffc, v3
	v_mul_f32_e32 v5, 0x2f800000, v3
	v_trunc_f32_e32 v5, v5
	v_mac_f32_e32 v3, 0xcf800000, v5
	v_cvt_u32_f32_e32 v5, v5
	v_cvt_u32_f32_e32 v3, v3
	v_readfirstlane_b32 s39, v5
	v_readfirstlane_b32 s0, v3
	s_mul_i32 s1, s16, s39
	s_mul_hi_u32 s58, s16, s0
	s_mul_i32 s57, s31, s0
	s_add_i32 s1, s58, s1
	s_add_i32 s1, s1, s57
	s_mul_i32 s59, s16, s0
	s_mul_i32 s58, s0, s1
	s_mul_hi_u32 s60, s0, s59
	s_mul_hi_u32 s57, s0, s1
	s_add_u32 s58, s60, s58
	s_addc_u32 s57, 0, s57
	s_mul_hi_u32 s61, s39, s59
	s_mul_i32 s59, s39, s59
	s_add_u32 s58, s58, s59
	s_mul_hi_u32 s60, s39, s1
	s_addc_u32 s57, s57, s61
	s_addc_u32 s58, s60, 0
	s_mul_i32 s1, s39, s1
	s_add_u32 s1, s57, s1
	s_addc_u32 s57, 0, s58
	s_add_u32 s58, s0, s1
	s_cselect_b64 s[0:1], -1, 0
	s_cmp_lg_u64 s[0:1], 0
	s_addc_u32 s39, s39, s57
	s_mul_i32 s0, s16, s39
	s_mul_hi_u32 s1, s16, s58
	s_add_i32 s0, s1, s0
	s_mul_i32 s31, s31, s58
	s_add_i32 s0, s0, s31
	s_mul_i32 s16, s16, s58
	s_mul_hi_u32 s31, s39, s16
	s_mul_i32 s57, s39, s16
	s_mul_i32 s60, s58, s0
	s_mul_hi_u32 s16, s58, s16
	s_mul_hi_u32 s59, s58, s0
	s_add_u32 s16, s16, s60
	s_addc_u32 s59, 0, s59
	s_add_u32 s16, s16, s57
	s_mul_hi_u32 s1, s39, s0
	s_addc_u32 s16, s59, s31
	s_addc_u32 s1, s1, 0
	s_mul_i32 s0, s39, s0
	s_add_u32 s0, s16, s0
	s_addc_u32 s16, 0, s1
	s_add_u32 s31, s58, s0
	s_cselect_b64 s[0:1], -1, 0
	v_ashrrev_i32_e32 v3, 31, v15
	s_cmp_lg_u64 s[0:1], 0
	v_add_co_u32_e32 v5, vcc, v14, v3
	s_addc_u32 s16, s39, s16
	v_xor_b32_e32 v5, v5, v3
	v_addc_co_u32_e32 v7, vcc, v15, v3, vcc
	v_mad_u64_u32 v[15:16], s[0:1], v5, s16, 0
	v_mul_hi_u32 v9, v5, s31
	v_xor_b32_e32 v7, v7, v3
	v_mad_u64_u32 v[17:18], s[0:1], v7, s16, 0
	v_add_co_u32_e32 v9, vcc, v9, v15
	v_addc_co_u32_e32 v11, vcc, 0, v16, vcc
	v_mad_u64_u32 v[15:16], s[0:1], v7, s31, 0
	v_xor_b32_e32 v3, s38, v3
	v_add_co_u32_e32 v9, vcc, v9, v15
	v_addc_co_u32_e32 v9, vcc, v11, v16, vcc
	v_addc_co_u32_e32 v11, vcc, 0, v18, vcc
	v_add_co_u32_e32 v9, vcc, v9, v17
	v_addc_co_u32_e32 v11, vcc, 0, v11, vcc
	v_mul_lo_u32 v13, s41, v9
	v_mul_lo_u32 v17, s40, v11
	v_mad_u64_u32 v[15:16], s[0:1], s40, v9, 0
	v_add3_u32 v13, v16, v17, v13
	v_sub_u32_e32 v16, v7, v13
	v_mov_b32_e32 v17, s41
	v_sub_co_u32_e32 v5, vcc, v5, v15
	v_subb_co_u32_e64 v15, s[0:1], v16, v17, vcc
	v_subrev_co_u32_e64 v16, s[0:1], s40, v5
	v_subbrev_co_u32_e64 v15, s[0:1], 0, v15, s[0:1]
	v_cmp_le_u32_e64 s[0:1], s41, v15
	v_cndmask_b32_e64 v17, 0, -1, s[0:1]
	v_cmp_le_u32_e64 s[0:1], s40, v16
	v_cndmask_b32_e64 v16, 0, -1, s[0:1]
	v_cmp_eq_u32_e64 s[0:1], s41, v15
	v_cndmask_b32_e64 v15, v17, v16, s[0:1]
	v_add_co_u32_e64 v16, s[0:1], 2, v9
	v_subb_co_u32_e32 v7, vcc, v7, v13, vcc
	v_addc_co_u32_e64 v17, s[0:1], 0, v11, s[0:1]
	v_cmp_le_u32_e32 vcc, s41, v7
	v_add_co_u32_e64 v18, s[0:1], 1, v9
	v_cndmask_b32_e64 v13, 0, -1, vcc
	v_cmp_le_u32_e32 vcc, s40, v5
	v_addc_co_u32_e64 v19, s[0:1], 0, v11, s[0:1]
	v_cndmask_b32_e64 v5, 0, -1, vcc
	v_cmp_eq_u32_e32 vcc, s41, v7
	v_cmp_ne_u32_e64 s[0:1], 0, v15
	v_cndmask_b32_e32 v5, v13, v5, vcc
	v_cmp_ne_u32_e32 vcc, 0, v5
	v_cndmask_b32_e64 v7, v18, v16, s[0:1]
	v_cndmask_b32_e64 v15, v19, v17, s[0:1]
	v_cndmask_b32_e32 v7, v9, v7, vcc
	v_cndmask_b32_e32 v5, v11, v15, vcc
	v_xor_b32_e32 v7, v7, v3
	v_xor_b32_e32 v5, v5, v3
	v_sub_co_u32_e32 v16, vcc, v7, v3
	v_subb_co_u32_e32 v17, vcc, v5, v3, vcc
.LBB68_41:                              ;   in Loop: Header=BB68_23 Depth=2
	s_andn2_saveexec_b64 s[0:1], s[36:37]
	s_cbranch_execz .LBB68_43
; %bb.42:                               ;   in Loop: Header=BB68_23 Depth=2
	v_cvt_f32_u32_e32 v3, s55
	s_sub_i32 s16, 0, s55
	v_mov_b32_e32 v17, v2
	v_rcp_iflag_f32_e32 v3, v3
	v_mul_f32_e32 v3, 0x4f7ffffe, v3
	v_cvt_u32_f32_e32 v3, v3
	v_mul_lo_u32 v5, s16, v3
	v_mul_hi_u32 v5, v3, v5
	v_add_u32_e32 v3, v3, v5
	v_mul_hi_u32 v3, v14, v3
	v_mul_lo_u32 v5, v3, s55
	v_add_u32_e32 v7, 1, v3
	v_sub_u32_e32 v5, v14, v5
	v_subrev_u32_e32 v9, s55, v5
	v_cmp_le_u32_e32 vcc, s55, v5
	v_cndmask_b32_e32 v5, v5, v9, vcc
	v_cndmask_b32_e32 v3, v3, v7, vcc
	v_add_u32_e32 v7, 1, v3
	v_cmp_le_u32_e32 vcc, s55, v5
	v_cndmask_b32_e32 v16, v3, v7, vcc
.LBB68_43:                              ;   in Loop: Header=BB68_23 Depth=2
	s_or_b64 exec, exec, s[0:1]
	s_add_u32 s0, s4, s34
	s_addc_u32 s1, s5, s35
	s_add_i32 s16, s30, 2
	s_lshl_b64 s[34:35], s[16:17], 2
	s_add_u32 s36, s42, s34
	s_addc_u32 s37, s43, s35
	s_load_dword s58, s[36:37], 0x8
	s_load_dword s57, s[0:1], 0x6c
                                        ; implicit-def: $vgpr18_vgpr19
	s_waitcnt lgkmcnt(0)
	s_ashr_i32 s0, s58, 31
	v_or_b32_e32 v3, s0, v17
	v_cmp_ne_u64_e32 vcc, 0, v[2:3]
	s_and_saveexec_b64 s[36:37], vcc
	s_xor_b64 s[36:37], exec, s[36:37]
	s_cbranch_execz .LBB68_45
; %bb.44:                               ;   in Loop: Header=BB68_23 Depth=2
	s_ashr_i32 s38, s0, 31
	s_add_u32 s40, s58, s38
	s_mov_b32 s39, s38
	s_addc_u32 s41, s0, s38
	s_xor_b64 s[40:41], s[40:41], s[38:39]
	v_cvt_f32_u32_e32 v3, s40
	v_cvt_f32_u32_e32 v5, s41
	s_sub_u32 s16, 0, s40
	s_subb_u32 s31, 0, s41
	v_mac_f32_e32 v3, 0x4f800000, v5
	v_rcp_f32_e32 v3, v3
	v_mul_f32_e32 v3, 0x5f7ffffc, v3
	v_mul_f32_e32 v5, 0x2f800000, v3
	v_trunc_f32_e32 v5, v5
	v_mac_f32_e32 v3, 0xcf800000, v5
	v_cvt_u32_f32_e32 v5, v5
	v_cvt_u32_f32_e32 v3, v3
	v_readfirstlane_b32 s39, v5
	v_readfirstlane_b32 s0, v3
	s_mul_i32 s1, s16, s39
	s_mul_hi_u32 s60, s16, s0
	s_mul_i32 s59, s31, s0
	s_add_i32 s1, s60, s1
	s_add_i32 s1, s1, s59
	s_mul_i32 s61, s16, s0
	s_mul_i32 s60, s0, s1
	s_mul_hi_u32 s62, s0, s61
	s_mul_hi_u32 s59, s0, s1
	s_add_u32 s60, s62, s60
	s_addc_u32 s59, 0, s59
	s_mul_hi_u32 s63, s39, s61
	s_mul_i32 s61, s39, s61
	s_add_u32 s60, s60, s61
	s_mul_hi_u32 s62, s39, s1
	s_addc_u32 s59, s59, s63
	s_addc_u32 s60, s62, 0
	s_mul_i32 s1, s39, s1
	s_add_u32 s1, s59, s1
	s_addc_u32 s59, 0, s60
	s_add_u32 s60, s0, s1
	s_cselect_b64 s[0:1], -1, 0
	s_cmp_lg_u64 s[0:1], 0
	s_addc_u32 s39, s39, s59
	s_mul_i32 s0, s16, s39
	s_mul_hi_u32 s1, s16, s60
	s_add_i32 s0, s1, s0
	s_mul_i32 s31, s31, s60
	s_add_i32 s0, s0, s31
	s_mul_i32 s16, s16, s60
	s_mul_hi_u32 s31, s39, s16
	s_mul_i32 s59, s39, s16
	s_mul_i32 s62, s60, s0
	s_mul_hi_u32 s16, s60, s16
	s_mul_hi_u32 s61, s60, s0
	s_add_u32 s16, s16, s62
	s_addc_u32 s61, 0, s61
	s_add_u32 s16, s16, s59
	s_mul_hi_u32 s1, s39, s0
	s_addc_u32 s16, s61, s31
	s_addc_u32 s1, s1, 0
	s_mul_i32 s0, s39, s0
	s_add_u32 s0, s16, s0
	s_addc_u32 s16, 0, s1
	s_add_u32 s31, s60, s0
	s_cselect_b64 s[0:1], -1, 0
	v_ashrrev_i32_e32 v3, 31, v17
	s_cmp_lg_u64 s[0:1], 0
	v_add_co_u32_e32 v5, vcc, v16, v3
	s_addc_u32 s16, s39, s16
	v_xor_b32_e32 v5, v5, v3
	v_addc_co_u32_e32 v7, vcc, v17, v3, vcc
	v_mad_u64_u32 v[17:18], s[0:1], v5, s16, 0
	v_mul_hi_u32 v9, v5, s31
	v_xor_b32_e32 v7, v7, v3
	v_mad_u64_u32 v[19:20], s[0:1], v7, s16, 0
	v_add_co_u32_e32 v9, vcc, v9, v17
	v_addc_co_u32_e32 v11, vcc, 0, v18, vcc
	v_mad_u64_u32 v[17:18], s[0:1], v7, s31, 0
	v_xor_b32_e32 v3, s38, v3
	v_add_co_u32_e32 v9, vcc, v9, v17
	v_addc_co_u32_e32 v9, vcc, v11, v18, vcc
	v_addc_co_u32_e32 v11, vcc, 0, v20, vcc
	v_add_co_u32_e32 v9, vcc, v9, v19
	v_addc_co_u32_e32 v11, vcc, 0, v11, vcc
	v_mul_lo_u32 v13, s41, v9
	v_mul_lo_u32 v15, s40, v11
	v_mad_u64_u32 v[17:18], s[0:1], s40, v9, 0
	v_add3_u32 v13, v18, v15, v13
	v_sub_u32_e32 v15, v7, v13
	v_mov_b32_e32 v18, s41
	v_sub_co_u32_e32 v5, vcc, v5, v17
	v_subb_co_u32_e64 v15, s[0:1], v15, v18, vcc
	v_subrev_co_u32_e64 v17, s[0:1], s40, v5
	v_subbrev_co_u32_e64 v15, s[0:1], 0, v15, s[0:1]
	v_cmp_le_u32_e64 s[0:1], s41, v15
	v_cndmask_b32_e64 v18, 0, -1, s[0:1]
	v_cmp_le_u32_e64 s[0:1], s40, v17
	v_cndmask_b32_e64 v17, 0, -1, s[0:1]
	v_cmp_eq_u32_e64 s[0:1], s41, v15
	v_cndmask_b32_e64 v15, v18, v17, s[0:1]
	v_add_co_u32_e64 v17, s[0:1], 2, v9
	v_subb_co_u32_e32 v7, vcc, v7, v13, vcc
	v_addc_co_u32_e64 v18, s[0:1], 0, v11, s[0:1]
	v_cmp_le_u32_e32 vcc, s41, v7
	v_add_co_u32_e64 v19, s[0:1], 1, v9
	v_cndmask_b32_e64 v13, 0, -1, vcc
	v_cmp_le_u32_e32 vcc, s40, v5
	v_addc_co_u32_e64 v20, s[0:1], 0, v11, s[0:1]
	v_cndmask_b32_e64 v5, 0, -1, vcc
	v_cmp_eq_u32_e32 vcc, s41, v7
	v_cmp_ne_u32_e64 s[0:1], 0, v15
	v_cndmask_b32_e32 v5, v13, v5, vcc
	v_cmp_ne_u32_e32 vcc, 0, v5
	v_cndmask_b32_e64 v7, v19, v17, s[0:1]
	v_cndmask_b32_e64 v15, v20, v18, s[0:1]
	v_cndmask_b32_e32 v7, v9, v7, vcc
	v_cndmask_b32_e32 v5, v11, v15, vcc
	v_xor_b32_e32 v7, v7, v3
	v_xor_b32_e32 v5, v5, v3
	v_sub_co_u32_e32 v18, vcc, v7, v3
	v_subb_co_u32_e32 v19, vcc, v5, v3, vcc
.LBB68_45:                              ;   in Loop: Header=BB68_23 Depth=2
	s_andn2_saveexec_b64 s[0:1], s[36:37]
	s_cbranch_execz .LBB68_47
; %bb.46:                               ;   in Loop: Header=BB68_23 Depth=2
	v_cvt_f32_u32_e32 v3, s58
	s_sub_i32 s16, 0, s58
	v_mov_b32_e32 v19, v2
	v_rcp_iflag_f32_e32 v3, v3
	v_mul_f32_e32 v3, 0x4f7ffffe, v3
	v_cvt_u32_f32_e32 v3, v3
	v_mul_lo_u32 v5, s16, v3
	v_mul_hi_u32 v5, v3, v5
	v_add_u32_e32 v3, v3, v5
	v_mul_hi_u32 v3, v16, v3
	v_mul_lo_u32 v5, v3, s58
	v_add_u32_e32 v7, 1, v3
	v_sub_u32_e32 v5, v16, v5
	v_subrev_u32_e32 v9, s58, v5
	v_cmp_le_u32_e32 vcc, s58, v5
	v_cndmask_b32_e32 v5, v5, v9, vcc
	v_cndmask_b32_e32 v3, v3, v7, vcc
	v_add_u32_e32 v7, 1, v3
	v_cmp_le_u32_e32 vcc, s58, v5
	v_cndmask_b32_e32 v18, v3, v7, vcc
.LBB68_47:                              ;   in Loop: Header=BB68_23 Depth=2
	s_or_b64 exec, exec, s[0:1]
	s_add_u32 s0, s4, s34
	s_addc_u32 s1, s5, s35
	s_add_i32 s16, s30, 1
	s_lshl_b64 s[34:35], s[16:17], 2
	s_add_u32 s36, s42, s34
	s_addc_u32 s37, s43, s35
	s_load_dword s59, s[36:37], 0x8
	s_load_dword s16, s[0:1], 0x6c
                                        ; implicit-def: $vgpr20_vgpr21
	s_waitcnt lgkmcnt(0)
	s_ashr_i32 s0, s59, 31
	v_or_b32_e32 v3, s0, v19
	v_cmp_ne_u64_e32 vcc, 0, v[2:3]
	s_and_saveexec_b64 s[36:37], vcc
	s_xor_b64 s[36:37], exec, s[36:37]
	s_cbranch_execz .LBB68_49
; %bb.48:                               ;   in Loop: Header=BB68_23 Depth=2
	s_ashr_i32 s38, s0, 31
	s_add_u32 s40, s59, s38
	s_mov_b32 s39, s38
	s_addc_u32 s41, s0, s38
	s_xor_b64 s[40:41], s[40:41], s[38:39]
	v_cvt_f32_u32_e32 v3, s40
	v_cvt_f32_u32_e32 v5, s41
	s_sub_u32 s31, 0, s40
	s_subb_u32 s39, 0, s41
	v_mov_b32_e32 v17, s41
	v_mac_f32_e32 v3, 0x4f800000, v5
	v_rcp_f32_e32 v3, v3
	v_mul_f32_e32 v3, 0x5f7ffffc, v3
	v_mul_f32_e32 v5, 0x2f800000, v3
	v_trunc_f32_e32 v5, v5
	v_mac_f32_e32 v3, 0xcf800000, v5
	v_cvt_u32_f32_e32 v5, v5
	v_cvt_u32_f32_e32 v3, v3
	v_readfirstlane_b32 s60, v5
	v_readfirstlane_b32 s0, v3
	s_mul_i32 s1, s31, s60
	s_mul_hi_u32 s62, s31, s0
	s_mul_i32 s61, s39, s0
	s_add_i32 s1, s62, s1
	s_add_i32 s1, s1, s61
	s_mul_i32 s63, s31, s0
	s_mul_i32 s62, s0, s1
	s_mul_hi_u32 s64, s0, s63
	s_mul_hi_u32 s61, s0, s1
	s_add_u32 s62, s64, s62
	s_addc_u32 s61, 0, s61
	s_mul_hi_u32 s65, s60, s63
	s_mul_i32 s63, s60, s63
	s_add_u32 s62, s62, s63
	s_mul_hi_u32 s64, s60, s1
	s_addc_u32 s61, s61, s65
	s_addc_u32 s62, s64, 0
	s_mul_i32 s1, s60, s1
	s_add_u32 s1, s61, s1
	s_addc_u32 s61, 0, s62
	s_add_u32 s62, s0, s1
	s_cselect_b64 s[0:1], -1, 0
	s_cmp_lg_u64 s[0:1], 0
	s_addc_u32 s60, s60, s61
	s_mul_i32 s0, s31, s60
	s_mul_hi_u32 s1, s31, s62
	s_add_i32 s0, s1, s0
	s_mul_i32 s39, s39, s62
	s_add_i32 s0, s0, s39
	s_mul_i32 s31, s31, s62
	s_mul_hi_u32 s39, s60, s31
	s_mul_i32 s61, s60, s31
	s_mul_i32 s64, s62, s0
	s_mul_hi_u32 s31, s62, s31
	s_mul_hi_u32 s63, s62, s0
	s_add_u32 s31, s31, s64
	s_addc_u32 s63, 0, s63
	s_add_u32 s31, s31, s61
	s_mul_hi_u32 s1, s60, s0
	s_addc_u32 s31, s63, s39
	s_addc_u32 s1, s1, 0
	s_mul_i32 s0, s60, s0
	s_add_u32 s0, s31, s0
	s_addc_u32 s31, 0, s1
	s_add_u32 s39, s62, s0
	s_cselect_b64 s[0:1], -1, 0
	v_ashrrev_i32_e32 v3, 31, v19
	s_cmp_lg_u64 s[0:1], 0
	v_add_co_u32_e32 v5, vcc, v18, v3
	s_addc_u32 s31, s60, s31
	v_xor_b32_e32 v5, v5, v3
	v_addc_co_u32_e32 v7, vcc, v19, v3, vcc
	v_mad_u64_u32 v[19:20], s[0:1], v5, s31, 0
	v_mul_hi_u32 v9, v5, s39
	v_xor_b32_e32 v7, v7, v3
	v_mad_u64_u32 v[21:22], s[0:1], v7, s31, 0
	v_add_co_u32_e32 v9, vcc, v9, v19
	v_addc_co_u32_e32 v11, vcc, 0, v20, vcc
	v_mad_u64_u32 v[19:20], s[0:1], v7, s39, 0
	v_xor_b32_e32 v3, s38, v3
	v_add_co_u32_e32 v9, vcc, v9, v19
	v_addc_co_u32_e32 v9, vcc, v11, v20, vcc
	v_addc_co_u32_e32 v11, vcc, 0, v22, vcc
	v_add_co_u32_e32 v9, vcc, v9, v21
	v_addc_co_u32_e32 v11, vcc, 0, v11, vcc
	v_mul_lo_u32 v13, s41, v9
	v_mul_lo_u32 v15, s40, v11
	v_mad_u64_u32 v[19:20], s[0:1], s40, v9, 0
	v_add3_u32 v13, v20, v15, v13
	v_sub_u32_e32 v15, v7, v13
	v_sub_co_u32_e32 v5, vcc, v5, v19
	v_subb_co_u32_e64 v15, s[0:1], v15, v17, vcc
	v_subrev_co_u32_e64 v17, s[0:1], s40, v5
	v_subbrev_co_u32_e64 v15, s[0:1], 0, v15, s[0:1]
	v_cmp_le_u32_e64 s[0:1], s41, v15
	v_cndmask_b32_e64 v19, 0, -1, s[0:1]
	v_cmp_le_u32_e64 s[0:1], s40, v17
	v_cndmask_b32_e64 v17, 0, -1, s[0:1]
	v_cmp_eq_u32_e64 s[0:1], s41, v15
	v_cndmask_b32_e64 v15, v19, v17, s[0:1]
	v_add_co_u32_e64 v17, s[0:1], 2, v9
	v_subb_co_u32_e32 v7, vcc, v7, v13, vcc
	v_addc_co_u32_e64 v19, s[0:1], 0, v11, s[0:1]
	v_cmp_le_u32_e32 vcc, s41, v7
	v_add_co_u32_e64 v20, s[0:1], 1, v9
	v_cndmask_b32_e64 v13, 0, -1, vcc
	v_cmp_le_u32_e32 vcc, s40, v5
	v_addc_co_u32_e64 v21, s[0:1], 0, v11, s[0:1]
	v_cndmask_b32_e64 v5, 0, -1, vcc
	v_cmp_eq_u32_e32 vcc, s41, v7
	v_cmp_ne_u32_e64 s[0:1], 0, v15
	v_cndmask_b32_e32 v5, v13, v5, vcc
	v_cmp_ne_u32_e32 vcc, 0, v5
	v_cndmask_b32_e64 v7, v20, v17, s[0:1]
	v_cndmask_b32_e64 v15, v21, v19, s[0:1]
	v_cndmask_b32_e32 v7, v9, v7, vcc
	v_cndmask_b32_e32 v5, v11, v15, vcc
	v_xor_b32_e32 v7, v7, v3
	v_xor_b32_e32 v5, v5, v3
	v_sub_co_u32_e32 v20, vcc, v7, v3
	v_subb_co_u32_e32 v21, vcc, v5, v3, vcc
.LBB68_49:                              ;   in Loop: Header=BB68_23 Depth=2
	s_andn2_saveexec_b64 s[0:1], s[36:37]
	s_cbranch_execz .LBB68_51
; %bb.50:                               ;   in Loop: Header=BB68_23 Depth=2
	v_cvt_f32_u32_e32 v3, s59
	s_sub_i32 s31, 0, s59
	v_mov_b32_e32 v21, v2
	v_rcp_iflag_f32_e32 v3, v3
	v_mul_f32_e32 v3, 0x4f7ffffe, v3
	v_cvt_u32_f32_e32 v3, v3
	v_mul_lo_u32 v5, s31, v3
	v_mul_hi_u32 v5, v3, v5
	v_add_u32_e32 v3, v3, v5
	v_mul_hi_u32 v3, v18, v3
	v_mul_lo_u32 v5, v3, s59
	v_add_u32_e32 v7, 1, v3
	v_sub_u32_e32 v5, v18, v5
	v_subrev_u32_e32 v9, s59, v5
	v_cmp_le_u32_e32 vcc, s59, v5
	v_cndmask_b32_e32 v5, v5, v9, vcc
	v_cndmask_b32_e32 v3, v3, v7, vcc
	v_add_u32_e32 v7, 1, v3
	v_cmp_le_u32_e32 vcc, s59, v5
	v_cndmask_b32_e32 v20, v3, v7, vcc
.LBB68_51:                              ;   in Loop: Header=BB68_23 Depth=2
	s_or_b64 exec, exec, s[0:1]
	s_add_u32 s0, s4, s34
	s_mov_b32 s31, s17
	s_addc_u32 s1, s5, s35
	s_lshl_b64 s[34:35], s[30:31], 2
	s_add_u32 s36, s42, s34
	s_addc_u32 s37, s43, s35
	s_load_dword s60, s[36:37], 0x8
	s_load_dword s31, s[0:1], 0x6c
                                        ; implicit-def: $vgpr22_vgpr23
	s_waitcnt lgkmcnt(0)
	s_ashr_i32 s0, s60, 31
	v_or_b32_e32 v3, s0, v21
	v_cmp_ne_u64_e32 vcc, 0, v[2:3]
	s_and_saveexec_b64 s[36:37], vcc
	s_xor_b64 s[36:37], exec, s[36:37]
	s_cbranch_execz .LBB68_53
; %bb.52:                               ;   in Loop: Header=BB68_23 Depth=2
	s_ashr_i32 s38, s0, 31
	s_add_u32 s40, s60, s38
	s_mov_b32 s39, s38
	s_addc_u32 s41, s0, s38
	s_xor_b64 s[40:41], s[40:41], s[38:39]
	v_cvt_f32_u32_e32 v3, s40
	v_cvt_f32_u32_e32 v5, s41
	s_sub_u32 s39, 0, s40
	s_subb_u32 s61, 0, s41
	v_mov_b32_e32 v17, s41
	v_mac_f32_e32 v3, 0x4f800000, v5
	v_rcp_f32_e32 v3, v3
	v_mul_f32_e32 v3, 0x5f7ffffc, v3
	v_mul_f32_e32 v5, 0x2f800000, v3
	v_trunc_f32_e32 v5, v5
	v_mac_f32_e32 v3, 0xcf800000, v5
	v_cvt_u32_f32_e32 v5, v5
	v_cvt_u32_f32_e32 v3, v3
	v_readfirstlane_b32 s62, v5
	v_readfirstlane_b32 s0, v3
	s_mul_i32 s1, s39, s62
	s_mul_hi_u32 s64, s39, s0
	s_mul_i32 s63, s61, s0
	s_add_i32 s1, s64, s1
	s_add_i32 s1, s1, s63
	s_mul_i32 s65, s39, s0
	s_mul_i32 s64, s0, s1
	s_mul_hi_u32 s66, s0, s65
	s_mul_hi_u32 s63, s0, s1
	s_add_u32 s64, s66, s64
	s_addc_u32 s63, 0, s63
	s_mul_hi_u32 s67, s62, s65
	s_mul_i32 s65, s62, s65
	s_add_u32 s64, s64, s65
	s_mul_hi_u32 s66, s62, s1
	s_addc_u32 s63, s63, s67
	s_addc_u32 s64, s66, 0
	s_mul_i32 s1, s62, s1
	s_add_u32 s1, s63, s1
	s_addc_u32 s63, 0, s64
	s_add_u32 s64, s0, s1
	s_cselect_b64 s[0:1], -1, 0
	s_cmp_lg_u64 s[0:1], 0
	s_addc_u32 s62, s62, s63
	s_mul_i32 s0, s39, s62
	s_mul_hi_u32 s1, s39, s64
	s_add_i32 s0, s1, s0
	s_mul_i32 s61, s61, s64
	s_add_i32 s0, s0, s61
	s_mul_i32 s39, s39, s64
	s_mul_hi_u32 s61, s62, s39
	s_mul_i32 s63, s62, s39
	s_mul_i32 s66, s64, s0
	s_mul_hi_u32 s39, s64, s39
	s_mul_hi_u32 s65, s64, s0
	s_add_u32 s39, s39, s66
	s_addc_u32 s65, 0, s65
	s_add_u32 s39, s39, s63
	s_mul_hi_u32 s1, s62, s0
	s_addc_u32 s39, s65, s61
	s_addc_u32 s1, s1, 0
	s_mul_i32 s0, s62, s0
	s_add_u32 s0, s39, s0
	s_addc_u32 s39, 0, s1
	s_add_u32 s61, s64, s0
	s_cselect_b64 s[0:1], -1, 0
	v_ashrrev_i32_e32 v3, 31, v21
	s_cmp_lg_u64 s[0:1], 0
	v_add_co_u32_e32 v5, vcc, v20, v3
	s_addc_u32 s39, s62, s39
	v_xor_b32_e32 v5, v5, v3
	v_addc_co_u32_e32 v7, vcc, v21, v3, vcc
	v_mad_u64_u32 v[21:22], s[0:1], v5, s39, 0
	v_mul_hi_u32 v9, v5, s61
	v_xor_b32_e32 v7, v7, v3
	v_mad_u64_u32 v[26:27], s[0:1], v7, s39, 0
	v_add_co_u32_e32 v9, vcc, v9, v21
	v_addc_co_u32_e32 v11, vcc, 0, v22, vcc
	v_mad_u64_u32 v[21:22], s[0:1], v7, s61, 0
	v_xor_b32_e32 v3, s38, v3
	v_add_co_u32_e32 v9, vcc, v9, v21
	v_addc_co_u32_e32 v9, vcc, v11, v22, vcc
	v_addc_co_u32_e32 v11, vcc, 0, v27, vcc
	v_add_co_u32_e32 v9, vcc, v9, v26
	v_addc_co_u32_e32 v11, vcc, 0, v11, vcc
	v_mul_lo_u32 v13, s41, v9
	v_mul_lo_u32 v15, s40, v11
	v_mad_u64_u32 v[21:22], s[0:1], s40, v9, 0
	v_add3_u32 v13, v22, v15, v13
	v_sub_u32_e32 v15, v7, v13
	v_sub_co_u32_e32 v5, vcc, v5, v21
	v_subb_co_u32_e64 v15, s[0:1], v15, v17, vcc
	v_subrev_co_u32_e64 v17, s[0:1], s40, v5
	v_subbrev_co_u32_e64 v15, s[0:1], 0, v15, s[0:1]
	v_cmp_le_u32_e64 s[0:1], s41, v15
	v_cndmask_b32_e64 v19, 0, -1, s[0:1]
	v_cmp_le_u32_e64 s[0:1], s40, v17
	v_cndmask_b32_e64 v17, 0, -1, s[0:1]
	v_cmp_eq_u32_e64 s[0:1], s41, v15
	v_cndmask_b32_e64 v15, v19, v17, s[0:1]
	v_add_co_u32_e64 v17, s[0:1], 2, v9
	v_subb_co_u32_e32 v7, vcc, v7, v13, vcc
	v_addc_co_u32_e64 v19, s[0:1], 0, v11, s[0:1]
	v_cmp_le_u32_e32 vcc, s41, v7
	v_add_co_u32_e64 v21, s[0:1], 1, v9
	v_cndmask_b32_e64 v13, 0, -1, vcc
	v_cmp_le_u32_e32 vcc, s40, v5
	v_addc_co_u32_e64 v22, s[0:1], 0, v11, s[0:1]
	v_cndmask_b32_e64 v5, 0, -1, vcc
	v_cmp_eq_u32_e32 vcc, s41, v7
	v_cmp_ne_u32_e64 s[0:1], 0, v15
	v_cndmask_b32_e32 v5, v13, v5, vcc
	v_cmp_ne_u32_e32 vcc, 0, v5
	v_cndmask_b32_e64 v7, v21, v17, s[0:1]
	v_cndmask_b32_e64 v15, v22, v19, s[0:1]
	v_cndmask_b32_e32 v7, v9, v7, vcc
	v_cndmask_b32_e32 v5, v11, v15, vcc
	v_xor_b32_e32 v7, v7, v3
	v_xor_b32_e32 v5, v5, v3
	v_sub_co_u32_e32 v22, vcc, v7, v3
	v_subb_co_u32_e32 v23, vcc, v5, v3, vcc
.LBB68_53:                              ;   in Loop: Header=BB68_23 Depth=2
	s_andn2_saveexec_b64 s[0:1], s[36:37]
	s_cbranch_execz .LBB68_55
; %bb.54:                               ;   in Loop: Header=BB68_23 Depth=2
	v_cvt_f32_u32_e32 v3, s60
	s_sub_i32 s36, 0, s60
	v_mov_b32_e32 v23, v2
	v_rcp_iflag_f32_e32 v3, v3
	v_mul_f32_e32 v3, 0x4f7ffffe, v3
	v_cvt_u32_f32_e32 v3, v3
	v_mul_lo_u32 v5, s36, v3
	v_mul_hi_u32 v5, v3, v5
	v_add_u32_e32 v3, v3, v5
	v_mul_hi_u32 v3, v20, v3
	v_mul_lo_u32 v5, v3, s60
	v_add_u32_e32 v7, 1, v3
	v_sub_u32_e32 v5, v20, v5
	v_subrev_u32_e32 v9, s60, v5
	v_cmp_le_u32_e32 vcc, s60, v5
	v_cndmask_b32_e32 v5, v5, v9, vcc
	v_cndmask_b32_e32 v3, v3, v7, vcc
	v_add_u32_e32 v7, 1, v3
	v_cmp_le_u32_e32 vcc, s60, v5
	v_cndmask_b32_e32 v22, v3, v7, vcc
.LBB68_55:                              ;   in Loop: Header=BB68_23 Depth=2
	s_or_b64 exec, exec, s[0:1]
	v_mul_lo_u32 v3, v8, s25
	v_mul_lo_u32 v5, v10, s50
	;; [unrolled: 1-line block ×3, first 2 shown]
	s_add_u32 s0, s4, s34
	v_sub_u32_e32 v3, v6, v3
	v_mul_lo_u32 v6, v14, s54
	v_sub_u32_e32 v5, v8, v5
	v_mul_lo_u32 v3, s28, v3
	v_mul_lo_u32 v5, s51, v5
	v_sub_u32_e32 v7, v10, v7
	v_sub_u32_e32 v6, v12, v6
	v_mul_lo_u32 v7, s53, v7
	v_mul_lo_u32 v6, s56, v6
	;; [unrolled: 1-line block ×3, first 2 shown]
	v_add3_u32 v3, v3, v4, v5
	v_mul_lo_u32 v4, v18, s58
	s_addc_u32 s1, s5, s35
	v_add3_u32 v3, v7, v3, v6
	v_mul_lo_u32 v6, v20, s59
	v_mul_lo_u32 v7, v22, s60
	s_load_dword s0, s[0:1], 0x6c
	v_sub_u32_e32 v5, v14, v8
	v_sub_u32_e32 v4, v16, v4
	v_mul_lo_u32 v5, s57, v5
	v_mul_lo_u32 v4, s16, v4
	v_sub_u32_e32 v6, v18, v6
	v_sub_u32_e32 v7, v20, v7
	v_mul_lo_u32 v6, s31, v6
	s_waitcnt lgkmcnt(0)
	v_mul_lo_u32 v7, s0, v7
	v_add3_u32 v3, v5, v3, v4
	s_add_i32 s30, s30, -8
	s_cmp_eq_u32 s30, -8
	v_add3_u32 v4, v6, v3, v7
	s_cbranch_scc1 .LBB68_57
; %bb.56:                               ;   in Loop: Header=BB68_23 Depth=2
	v_mov_b32_e32 v6, v22
	v_mov_b32_e32 v7, v23
	s_branch .LBB68_23
.LBB68_57:                              ;   in Loop: Header=BB68_3 Depth=1
	s_load_dword s16, s[2:3], 0x4
	s_waitcnt lgkmcnt(0)
	v_cmp_gt_i32_e32 vcc, s16, v25
	s_and_b64 exec, exec, vcc
	s_cbranch_execz .LBB68_2
; %bb.58:                               ;   in Loop: Header=BB68_3 Depth=1
	v_ashrrev_i32_e32 v5, 31, v4
	v_lshlrev_b64 v[5:6], 1, v[4:5]
	v_mov_b32_e32 v3, s13
	v_add_co_u32_e32 v5, vcc, s12, v5
	v_addc_co_u32_e32 v6, vcc, v3, v6, vcc
	v_add_u32_e32 v3, 1, v25
	v_cmp_gt_i32_e32 vcc, s16, v3
	global_store_short v[5:6], v2, off
	s_and_b64 exec, exec, vcc
	s_cbranch_execz .LBB68_2
; %bb.59:                               ;   in Loop: Header=BB68_3 Depth=1
	v_sub_u32_e32 v5, v3, v24
	v_ashrrev_i32_e32 v6, 31, v5
	v_cmp_gt_i64_e32 vcc, s[8:9], v[5:6]
	s_and_saveexec_b64 s[0:1], vcc
	s_cbranch_execz .LBB68_61
; %bb.60:                               ;   in Loop: Header=BB68_3 Depth=1
	v_add_u32_e32 v5, s29, v4
	v_ashrrev_i32_e32 v6, 31, v5
	v_lshlrev_b64 v[5:6], 1, v[5:6]
	v_mov_b32_e32 v3, s13
	v_add_co_u32_e32 v5, vcc, s12, v5
	v_addc_co_u32_e32 v6, vcc, v3, v6, vcc
	global_store_short v[5:6], v2, off
.LBB68_61:                              ;   in Loop: Header=BB68_3 Depth=1
	s_or_b64 exec, exec, s[0:1]
	v_add_u32_e32 v3, 2, v25
	v_cmp_gt_i32_e32 vcc, s16, v3
	s_and_b64 exec, exec, vcc
	s_cbranch_execz .LBB68_2
; %bb.62:                               ;   in Loop: Header=BB68_3 Depth=1
	v_sub_u32_e32 v5, v3, v24
	v_ashrrev_i32_e32 v6, 31, v5
	v_cmp_gt_i64_e32 vcc, s[8:9], v[5:6]
	s_and_saveexec_b64 s[0:1], vcc
	s_cbranch_execz .LBB68_64
; %bb.63:                               ;   in Loop: Header=BB68_3 Depth=1
	v_lshl_add_u32 v5, s29, 1, v4
	v_ashrrev_i32_e32 v6, 31, v5
	v_lshlrev_b64 v[5:6], 1, v[5:6]
	v_mov_b32_e32 v3, s13
	v_add_co_u32_e32 v5, vcc, s12, v5
	v_addc_co_u32_e32 v6, vcc, v3, v6, vcc
	global_store_short v[5:6], v2, off
.LBB68_64:                              ;   in Loop: Header=BB68_3 Depth=1
	s_or_b64 exec, exec, s[0:1]
	v_add_u32_e32 v3, 3, v25
	v_cmp_gt_i32_e32 vcc, s16, v3
	s_and_b64 exec, exec, vcc
	s_cbranch_execz .LBB68_2
; %bb.65:                               ;   in Loop: Header=BB68_3 Depth=1
	v_sub_u32_e32 v5, v3, v24
	v_ashrrev_i32_e32 v6, 31, v5
	v_cmp_gt_i64_e32 vcc, s[8:9], v[5:6]
	s_and_b64 exec, exec, vcc
	s_cbranch_execz .LBB68_2
; %bb.66:                               ;   in Loop: Header=BB68_3 Depth=1
	v_mad_u64_u32 v[3:4], s[0:1], s29, 3, v[4:5]
	v_mov_b32_e32 v5, s13
	v_ashrrev_i32_e32 v4, 31, v3
	v_lshlrev_b64 v[3:4], 1, v[3:4]
	v_add_co_u32_e32 v3, vcc, s12, v3
	v_addc_co_u32_e32 v4, vcc, v5, v4, vcc
	global_store_short v[3:4], v2, off
	s_branch .LBB68_2
.LBB68_67:
	s_endpgm
	.section	.rodata,"a",@progbits
	.p2align	6, 0x0
	.amdhsa_kernel _ZN2at6native16triu_tril_kernelIsiLb1ELi4ELb1EEEvNS_4cuda6detail10TensorInfoIT_T0_EENS4_IKS5_S6_EEllS6_
		.amdhsa_group_segment_fixed_size 0
		.amdhsa_private_segment_fixed_size 0
		.amdhsa_kernarg_size 712
		.amdhsa_user_sgpr_count 6
		.amdhsa_user_sgpr_private_segment_buffer 1
		.amdhsa_user_sgpr_dispatch_ptr 0
		.amdhsa_user_sgpr_queue_ptr 0
		.amdhsa_user_sgpr_kernarg_segment_ptr 1
		.amdhsa_user_sgpr_dispatch_id 0
		.amdhsa_user_sgpr_flat_scratch_init 0
		.amdhsa_user_sgpr_private_segment_size 0
		.amdhsa_uses_dynamic_stack 0
		.amdhsa_system_sgpr_private_segment_wavefront_offset 0
		.amdhsa_system_sgpr_workgroup_id_x 1
		.amdhsa_system_sgpr_workgroup_id_y 0
		.amdhsa_system_sgpr_workgroup_id_z 0
		.amdhsa_system_sgpr_workgroup_info 0
		.amdhsa_system_vgpr_workitem_id 0
		.amdhsa_next_free_vgpr 28
		.amdhsa_next_free_sgpr 68
		.amdhsa_reserve_vcc 1
		.amdhsa_reserve_flat_scratch 0
		.amdhsa_float_round_mode_32 0
		.amdhsa_float_round_mode_16_64 0
		.amdhsa_float_denorm_mode_32 3
		.amdhsa_float_denorm_mode_16_64 3
		.amdhsa_dx10_clamp 1
		.amdhsa_ieee_mode 1
		.amdhsa_fp16_overflow 0
		.amdhsa_exception_fp_ieee_invalid_op 0
		.amdhsa_exception_fp_denorm_src 0
		.amdhsa_exception_fp_ieee_div_zero 0
		.amdhsa_exception_fp_ieee_overflow 0
		.amdhsa_exception_fp_ieee_underflow 0
		.amdhsa_exception_fp_ieee_inexact 0
		.amdhsa_exception_int_div_zero 0
	.end_amdhsa_kernel
	.section	.text._ZN2at6native16triu_tril_kernelIsiLb1ELi4ELb1EEEvNS_4cuda6detail10TensorInfoIT_T0_EENS4_IKS5_S6_EEllS6_,"axG",@progbits,_ZN2at6native16triu_tril_kernelIsiLb1ELi4ELb1EEEvNS_4cuda6detail10TensorInfoIT_T0_EENS4_IKS5_S6_EEllS6_,comdat
.Lfunc_end68:
	.size	_ZN2at6native16triu_tril_kernelIsiLb1ELi4ELb1EEEvNS_4cuda6detail10TensorInfoIT_T0_EENS4_IKS5_S6_EEllS6_, .Lfunc_end68-_ZN2at6native16triu_tril_kernelIsiLb1ELi4ELb1EEEvNS_4cuda6detail10TensorInfoIT_T0_EENS4_IKS5_S6_EEllS6_
                                        ; -- End function
	.set _ZN2at6native16triu_tril_kernelIsiLb1ELi4ELb1EEEvNS_4cuda6detail10TensorInfoIT_T0_EENS4_IKS5_S6_EEllS6_.num_vgpr, 28
	.set _ZN2at6native16triu_tril_kernelIsiLb1ELi4ELb1EEEvNS_4cuda6detail10TensorInfoIT_T0_EENS4_IKS5_S6_EEllS6_.num_agpr, 0
	.set _ZN2at6native16triu_tril_kernelIsiLb1ELi4ELb1EEEvNS_4cuda6detail10TensorInfoIT_T0_EENS4_IKS5_S6_EEllS6_.numbered_sgpr, 68
	.set _ZN2at6native16triu_tril_kernelIsiLb1ELi4ELb1EEEvNS_4cuda6detail10TensorInfoIT_T0_EENS4_IKS5_S6_EEllS6_.num_named_barrier, 0
	.set _ZN2at6native16triu_tril_kernelIsiLb1ELi4ELb1EEEvNS_4cuda6detail10TensorInfoIT_T0_EENS4_IKS5_S6_EEllS6_.private_seg_size, 0
	.set _ZN2at6native16triu_tril_kernelIsiLb1ELi4ELb1EEEvNS_4cuda6detail10TensorInfoIT_T0_EENS4_IKS5_S6_EEllS6_.uses_vcc, 1
	.set _ZN2at6native16triu_tril_kernelIsiLb1ELi4ELb1EEEvNS_4cuda6detail10TensorInfoIT_T0_EENS4_IKS5_S6_EEllS6_.uses_flat_scratch, 0
	.set _ZN2at6native16triu_tril_kernelIsiLb1ELi4ELb1EEEvNS_4cuda6detail10TensorInfoIT_T0_EENS4_IKS5_S6_EEllS6_.has_dyn_sized_stack, 0
	.set _ZN2at6native16triu_tril_kernelIsiLb1ELi4ELb1EEEvNS_4cuda6detail10TensorInfoIT_T0_EENS4_IKS5_S6_EEllS6_.has_recursion, 0
	.set _ZN2at6native16triu_tril_kernelIsiLb1ELi4ELb1EEEvNS_4cuda6detail10TensorInfoIT_T0_EENS4_IKS5_S6_EEllS6_.has_indirect_call, 0
	.section	.AMDGPU.csdata,"",@progbits
; Kernel info:
; codeLenInByte = 9476
; TotalNumSgprs: 72
; NumVgprs: 28
; ScratchSize: 0
; MemoryBound: 0
; FloatMode: 240
; IeeeMode: 1
; LDSByteSize: 0 bytes/workgroup (compile time only)
; SGPRBlocks: 8
; VGPRBlocks: 6
; NumSGPRsForWavesPerEU: 72
; NumVGPRsForWavesPerEU: 28
; Occupancy: 9
; WaveLimiterHint : 0
; COMPUTE_PGM_RSRC2:SCRATCH_EN: 0
; COMPUTE_PGM_RSRC2:USER_SGPR: 6
; COMPUTE_PGM_RSRC2:TRAP_HANDLER: 0
; COMPUTE_PGM_RSRC2:TGID_X_EN: 1
; COMPUTE_PGM_RSRC2:TGID_Y_EN: 0
; COMPUTE_PGM_RSRC2:TGID_Z_EN: 0
; COMPUTE_PGM_RSRC2:TIDIG_COMP_CNT: 0
	.section	.text._ZN2at6native16triu_tril_kernelIsiLb1ELi4ELb0EEEvNS_4cuda6detail10TensorInfoIT_T0_EENS4_IKS5_S6_EEllS6_,"axG",@progbits,_ZN2at6native16triu_tril_kernelIsiLb1ELi4ELb0EEEvNS_4cuda6detail10TensorInfoIT_T0_EENS4_IKS5_S6_EEllS6_,comdat
	.protected	_ZN2at6native16triu_tril_kernelIsiLb1ELi4ELb0EEEvNS_4cuda6detail10TensorInfoIT_T0_EENS4_IKS5_S6_EEllS6_ ; -- Begin function _ZN2at6native16triu_tril_kernelIsiLb1ELi4ELb0EEEvNS_4cuda6detail10TensorInfoIT_T0_EENS4_IKS5_S6_EEllS6_
	.globl	_ZN2at6native16triu_tril_kernelIsiLb1ELi4ELb0EEEvNS_4cuda6detail10TensorInfoIT_T0_EENS4_IKS5_S6_EEllS6_
	.p2align	8
	.type	_ZN2at6native16triu_tril_kernelIsiLb1ELi4ELb0EEEvNS_4cuda6detail10TensorInfoIT_T0_EENS4_IKS5_S6_EEllS6_,@function
_ZN2at6native16triu_tril_kernelIsiLb1ELi4ELb0EEEvNS_4cuda6detail10TensorInfoIT_T0_EENS4_IKS5_S6_EEllS6_: ; @_ZN2at6native16triu_tril_kernelIsiLb1ELi4ELb0EEEvNS_4cuda6detail10TensorInfoIT_T0_EENS4_IKS5_S6_EEllS6_
; %bb.0:
	s_load_dword s2, s[4:5], 0x1d4
	s_load_dwordx4 s[8:11], s[4:5], 0x1b0
	s_add_u32 s0, s4, 0x1c8
	v_mov_b32_e32 v2, 0
	s_addc_u32 s1, s5, 0
	s_waitcnt lgkmcnt(0)
	s_and_b32 s12, s2, 0xffff
	v_mov_b32_e32 v1, v2
	v_mov_b32_e32 v3, s6
	v_mad_u64_u32 v[0:1], s[2:3], s12, v3, v[0:1]
	s_mov_b32 s33, 0xffff
	v_lshlrev_b64 v[0:1], 2, v[0:1]
	v_cmp_gt_i64_e32 vcc, s[10:11], v[0:1]
	s_and_saveexec_b64 s[2:3], vcc
	s_cbranch_execz .LBB69_54
; %bb.1:
	s_load_dword s52, s[4:5], 0x1c0
	s_load_dwordx2 s[2:3], s[4:5], 0xd8
	s_load_dwordx2 s[18:19], s[4:5], 0x0
	s_load_dword s20, s[4:5], 0x1a8
	s_load_dword s13, s[0:1], 0x0
	s_add_u32 s53, s4, 0xd8
	s_addc_u32 s54, s5, 0
	s_waitcnt lgkmcnt(0)
	s_ashr_i32 s55, s52, 31
	s_ashr_i32 s21, s20, 31
	s_lshl_b64 s[0:1], s[20:21], 2
	s_add_u32 s16, s53, s0
	s_addc_u32 s17, s54, s1
	s_load_dwordx2 s[6:7], s[16:17], 0x0
	s_load_dwordx2 s[14:15], s[16:17], 0x64
	s_mul_i32 s22, s13, s12
	v_cmp_gt_i64_e64 s[12:13], s[20:21], 2
	s_mov_b32 s21, 0
	s_waitcnt lgkmcnt(0)
	s_ashr_i32 s56, s6, 31
	s_add_u32 s0, s4, s0
	s_addc_u32 s1, s5, s1
	s_load_dwordx2 s[16:17], s[0:1], 0x64
	s_add_i32 s57, s20, -3
	s_lshl_b32 s58, s22, 2
	s_and_b32 s59, s20, 3
	s_cmp_lg_u32 s59, 2
	s_cselect_b64 s[22:23], -1, 0
	s_cmp_gt_u32 s57, 2
	s_cselect_b64 s[24:25], -1, 0
	s_mov_b32 s26, s8
	s_mov_b32 s27, s9
	;; [unrolled: 1-line block ×8, first 2 shown]
	s_ashr_i32 s37, s15, 31
	s_mov_b32 s36, s15
	s_add_i32 s15, s15, s15
	s_waitcnt lgkmcnt(0)
	s_ashr_i32 s39, s17, 31
	s_mov_b32 s38, s17
	s_add_i32 s17, s17, s17
	s_mov_b64 s[40:41], 0
	s_mov_b32 s60, 0x5040100
	s_branch .LBB69_3
.LBB69_2:                               ;   in Loop: Header=BB69_3 Depth=1
	s_or_b64 exec, exec, s[0:1]
	v_add_co_u32_e32 v0, vcc, s58, v0
	v_addc_co_u32_e32 v1, vcc, 0, v1, vcc
	v_cmp_le_i64_e32 vcc, s[10:11], v[0:1]
	s_or_b64 s[40:41], vcc, s[40:41]
	s_andn2_b64 exec, exec, s[40:41]
	s_cbranch_execz .LBB69_54
.LBB69_3:                               ; =>This Loop Header: Depth=1
                                        ;     Child Loop BB69_13 Depth 2
                                        ;     Child Loop BB69_21 Depth 2
	v_or_b32_e32 v3, s55, v1
	v_cmp_ne_u64_e32 vcc, 0, v[2:3]
                                        ; implicit-def: $vgpr4_vgpr5
	s_and_saveexec_b64 s[0:1], vcc
	s_xor_b64 s[42:43], exec, s[0:1]
	s_cbranch_execz .LBB69_5
; %bb.4:                                ;   in Loop: Header=BB69_3 Depth=1
	s_ashr_i32 s44, s55, 31
	s_add_u32 s0, s52, s44
	s_mov_b32 s45, s44
	s_addc_u32 s1, s55, s44
	s_xor_b64 s[46:47], s[0:1], s[44:45]
	v_cvt_f32_u32_e32 v3, s46
	v_cvt_f32_u32_e32 v4, s47
	s_sub_u32 s20, 0, s46
	s_subb_u32 s45, 0, s47
	v_ashrrev_i32_e32 v7, 31, v1
	v_mac_f32_e32 v3, 0x4f800000, v4
	v_rcp_f32_e32 v3, v3
	v_mul_f32_e32 v3, 0x5f7ffffc, v3
	v_mul_f32_e32 v4, 0x2f800000, v3
	v_trunc_f32_e32 v4, v4
	v_mac_f32_e32 v3, 0xcf800000, v4
	v_cvt_u32_f32_e32 v4, v4
	v_cvt_u32_f32_e32 v3, v3
	v_readfirstlane_b32 s48, v4
	v_readfirstlane_b32 s0, v3
	s_mul_i32 s1, s20, s48
	s_mul_hi_u32 s50, s20, s0
	s_mul_i32 s49, s45, s0
	s_add_i32 s1, s50, s1
	s_add_i32 s1, s1, s49
	s_mul_i32 s51, s20, s0
	s_mul_i32 s50, s0, s1
	s_mul_hi_u32 s61, s0, s51
	s_mul_hi_u32 s49, s0, s1
	s_add_u32 s50, s61, s50
	s_addc_u32 s49, 0, s49
	s_mul_hi_u32 s62, s48, s51
	s_mul_i32 s51, s48, s51
	s_add_u32 s50, s50, s51
	s_mul_hi_u32 s61, s48, s1
	s_addc_u32 s49, s49, s62
	s_addc_u32 s50, s61, 0
	s_mul_i32 s1, s48, s1
	s_add_u32 s1, s49, s1
	s_addc_u32 s49, 0, s50
	s_add_u32 s50, s0, s1
	s_cselect_b64 s[0:1], -1, 0
	s_cmp_lg_u64 s[0:1], 0
	s_addc_u32 s48, s48, s49
	s_mul_i32 s0, s20, s48
	s_mul_hi_u32 s1, s20, s50
	s_add_i32 s0, s1, s0
	s_mul_i32 s45, s45, s50
	s_add_i32 s0, s0, s45
	s_mul_i32 s20, s20, s50
	s_mul_hi_u32 s45, s48, s20
	s_mul_i32 s49, s48, s20
	s_mul_i32 s61, s50, s0
	s_mul_hi_u32 s20, s50, s20
	s_mul_hi_u32 s51, s50, s0
	s_add_u32 s20, s20, s61
	s_addc_u32 s51, 0, s51
	s_add_u32 s20, s20, s49
	s_mul_hi_u32 s1, s48, s0
	s_addc_u32 s20, s51, s45
	s_addc_u32 s1, s1, 0
	s_mul_i32 s0, s48, s0
	s_add_u32 s0, s20, s0
	s_addc_u32 s20, 0, s1
	s_add_u32 s45, s50, s0
	s_cselect_b64 s[0:1], -1, 0
	s_cmp_lg_u64 s[0:1], 0
	v_add_co_u32_e32 v3, vcc, v0, v7
	s_addc_u32 s20, s48, s20
	v_xor_b32_e32 v8, v3, v7
	v_mad_u64_u32 v[3:4], s[0:1], v8, s20, 0
	v_mul_hi_u32 v6, v8, s45
	v_addc_co_u32_e32 v5, vcc, v1, v7, vcc
	v_xor_b32_e32 v9, v5, v7
	v_add_co_u32_e32 v10, vcc, v6, v3
	v_addc_co_u32_e32 v11, vcc, 0, v4, vcc
	v_mad_u64_u32 v[3:4], s[0:1], v9, s45, 0
	v_mad_u64_u32 v[5:6], s[0:1], v9, s20, 0
	v_add_co_u32_e32 v3, vcc, v10, v3
	v_addc_co_u32_e32 v3, vcc, v11, v4, vcc
	v_addc_co_u32_e32 v4, vcc, 0, v6, vcc
	v_add_co_u32_e32 v5, vcc, v3, v5
	v_addc_co_u32_e32 v6, vcc, 0, v4, vcc
	v_mul_lo_u32 v10, s47, v5
	v_mul_lo_u32 v11, s46, v6
	v_mad_u64_u32 v[3:4], s[0:1], s46, v5, 0
	v_add3_u32 v4, v4, v11, v10
	v_sub_u32_e32 v10, v9, v4
	v_mov_b32_e32 v11, s47
	v_sub_co_u32_e32 v3, vcc, v8, v3
	v_subb_co_u32_e64 v8, s[0:1], v10, v11, vcc
	v_subrev_co_u32_e64 v10, s[0:1], s46, v3
	v_subbrev_co_u32_e64 v8, s[0:1], 0, v8, s[0:1]
	v_cmp_le_u32_e64 s[0:1], s47, v8
	v_cndmask_b32_e64 v11, 0, -1, s[0:1]
	v_cmp_le_u32_e64 s[0:1], s46, v10
	v_cndmask_b32_e64 v10, 0, -1, s[0:1]
	v_cmp_eq_u32_e64 s[0:1], s47, v8
	v_cndmask_b32_e64 v8, v11, v10, s[0:1]
	v_add_co_u32_e64 v10, s[0:1], 2, v5
	v_subb_co_u32_e32 v4, vcc, v9, v4, vcc
	v_addc_co_u32_e64 v11, s[0:1], 0, v6, s[0:1]
	v_cmp_le_u32_e32 vcc, s47, v4
	v_add_co_u32_e64 v12, s[0:1], 1, v5
	v_cndmask_b32_e64 v9, 0, -1, vcc
	v_cmp_le_u32_e32 vcc, s46, v3
	v_addc_co_u32_e64 v13, s[0:1], 0, v6, s[0:1]
	v_cndmask_b32_e64 v3, 0, -1, vcc
	v_cmp_eq_u32_e32 vcc, s47, v4
	v_cmp_ne_u32_e64 s[0:1], 0, v8
	v_cndmask_b32_e32 v3, v9, v3, vcc
	v_cmp_ne_u32_e32 vcc, 0, v3
	v_cndmask_b32_e64 v4, v12, v10, s[0:1]
	v_cndmask_b32_e64 v8, v13, v11, s[0:1]
	v_cndmask_b32_e32 v4, v5, v4, vcc
	v_xor_b32_e32 v5, s44, v7
	v_cndmask_b32_e32 v3, v6, v8, vcc
	v_xor_b32_e32 v4, v4, v5
	v_xor_b32_e32 v3, v3, v5
	v_sub_co_u32_e32 v4, vcc, v4, v5
	v_subb_co_u32_e32 v5, vcc, v3, v5, vcc
.LBB69_5:                               ;   in Loop: Header=BB69_3 Depth=1
	s_andn2_saveexec_b64 s[0:1], s[42:43]
	s_cbranch_execz .LBB69_7
; %bb.6:                                ;   in Loop: Header=BB69_3 Depth=1
	v_cvt_f32_u32_e32 v3, s52
	s_sub_i32 s20, 0, s52
	v_rcp_iflag_f32_e32 v3, v3
	v_mul_f32_e32 v3, 0x4f7ffffe, v3
	v_cvt_u32_f32_e32 v3, v3
	v_mul_lo_u32 v4, s20, v3
	v_mul_hi_u32 v4, v3, v4
	v_add_u32_e32 v3, v3, v4
	v_mul_hi_u32 v3, v0, v3
	v_mul_lo_u32 v4, v3, s52
	v_add_u32_e32 v5, 1, v3
	v_sub_u32_e32 v4, v0, v4
	v_subrev_u32_e32 v6, s52, v4
	v_cmp_le_u32_e32 vcc, s52, v4
	v_cndmask_b32_e32 v4, v4, v6, vcc
	v_cndmask_b32_e32 v3, v3, v5, vcc
	v_add_u32_e32 v5, 1, v3
	v_cmp_le_u32_e32 vcc, s52, v4
	v_cndmask_b32_e32 v4, v3, v5, vcc
	v_mov_b32_e32 v5, v2
.LBB69_7:                               ;   in Loop: Header=BB69_3 Depth=1
	s_or_b64 exec, exec, s[0:1]
	v_or_b32_e32 v3, s56, v5
	v_cmp_ne_u64_e32 vcc, 0, v[2:3]
                                        ; implicit-def: $vgpr8_vgpr9
	s_and_saveexec_b64 s[0:1], vcc
	s_xor_b64 s[42:43], exec, s[0:1]
	s_cbranch_execz .LBB69_9
; %bb.8:                                ;   in Loop: Header=BB69_3 Depth=1
	s_ashr_i32 s44, s56, 31
	s_add_u32 s0, s6, s44
	s_mov_b32 s45, s44
	s_addc_u32 s1, s56, s44
	s_xor_b64 s[46:47], s[0:1], s[44:45]
	v_cvt_f32_u32_e32 v3, s46
	v_cvt_f32_u32_e32 v6, s47
	s_sub_u32 s20, 0, s46
	s_subb_u32 s45, 0, s47
	v_mac_f32_e32 v3, 0x4f800000, v6
	v_rcp_f32_e32 v3, v3
	v_mul_f32_e32 v3, 0x5f7ffffc, v3
	v_mul_f32_e32 v6, 0x2f800000, v3
	v_trunc_f32_e32 v6, v6
	v_mac_f32_e32 v3, 0xcf800000, v6
	v_cvt_u32_f32_e32 v6, v6
	v_cvt_u32_f32_e32 v3, v3
	v_readfirstlane_b32 s48, v6
	v_readfirstlane_b32 s0, v3
	s_mul_i32 s1, s20, s48
	s_mul_hi_u32 s50, s20, s0
	s_mul_i32 s49, s45, s0
	s_add_i32 s1, s50, s1
	s_add_i32 s1, s1, s49
	s_mul_i32 s51, s20, s0
	s_mul_i32 s50, s0, s1
	s_mul_hi_u32 s61, s0, s51
	s_mul_hi_u32 s49, s0, s1
	s_add_u32 s50, s61, s50
	s_addc_u32 s49, 0, s49
	s_mul_hi_u32 s62, s48, s51
	s_mul_i32 s51, s48, s51
	s_add_u32 s50, s50, s51
	s_mul_hi_u32 s61, s48, s1
	s_addc_u32 s49, s49, s62
	s_addc_u32 s50, s61, 0
	s_mul_i32 s1, s48, s1
	s_add_u32 s1, s49, s1
	s_addc_u32 s49, 0, s50
	s_add_u32 s50, s0, s1
	s_cselect_b64 s[0:1], -1, 0
	s_cmp_lg_u64 s[0:1], 0
	s_addc_u32 s48, s48, s49
	s_mul_i32 s0, s20, s48
	s_mul_hi_u32 s1, s20, s50
	s_add_i32 s0, s1, s0
	s_mul_i32 s45, s45, s50
	s_add_i32 s0, s0, s45
	s_mul_i32 s20, s20, s50
	s_mul_hi_u32 s45, s48, s20
	s_mul_i32 s49, s48, s20
	s_mul_i32 s61, s50, s0
	s_mul_hi_u32 s20, s50, s20
	s_mul_hi_u32 s51, s50, s0
	s_add_u32 s20, s20, s61
	s_addc_u32 s51, 0, s51
	s_add_u32 s20, s20, s49
	s_mul_hi_u32 s1, s48, s0
	s_addc_u32 s20, s51, s45
	s_addc_u32 s1, s1, 0
	s_mul_i32 s0, s48, s0
	s_add_u32 s0, s20, s0
	s_addc_u32 s20, 0, s1
	s_add_u32 s45, s50, s0
	s_cselect_b64 s[0:1], -1, 0
	v_ashrrev_i32_e32 v3, 31, v5
	s_cmp_lg_u64 s[0:1], 0
	v_add_co_u32_e32 v6, vcc, v4, v3
	s_addc_u32 s20, s48, s20
	v_xor_b32_e32 v9, v6, v3
	v_addc_co_u32_e32 v7, vcc, v5, v3, vcc
	v_mad_u64_u32 v[5:6], s[0:1], v9, s20, 0
	v_mul_hi_u32 v8, v9, s45
	v_xor_b32_e32 v10, v7, v3
	v_xor_b32_e32 v3, s44, v3
	v_add_co_u32_e32 v11, vcc, v8, v5
	v_addc_co_u32_e32 v12, vcc, 0, v6, vcc
	v_mad_u64_u32 v[5:6], s[0:1], v10, s45, 0
	v_mad_u64_u32 v[7:8], s[0:1], v10, s20, 0
	v_add_co_u32_e32 v5, vcc, v11, v5
	v_addc_co_u32_e32 v5, vcc, v12, v6, vcc
	v_addc_co_u32_e32 v6, vcc, 0, v8, vcc
	v_add_co_u32_e32 v7, vcc, v5, v7
	v_addc_co_u32_e32 v8, vcc, 0, v6, vcc
	v_mul_lo_u32 v11, s47, v7
	v_mul_lo_u32 v12, s46, v8
	v_mad_u64_u32 v[5:6], s[0:1], s46, v7, 0
	v_add3_u32 v6, v6, v12, v11
	v_sub_u32_e32 v11, v10, v6
	v_mov_b32_e32 v12, s47
	v_sub_co_u32_e32 v5, vcc, v9, v5
	v_subb_co_u32_e64 v9, s[0:1], v11, v12, vcc
	v_subrev_co_u32_e64 v11, s[0:1], s46, v5
	v_subbrev_co_u32_e64 v9, s[0:1], 0, v9, s[0:1]
	v_cmp_le_u32_e64 s[0:1], s47, v9
	v_cndmask_b32_e64 v12, 0, -1, s[0:1]
	v_cmp_le_u32_e64 s[0:1], s46, v11
	v_cndmask_b32_e64 v11, 0, -1, s[0:1]
	v_cmp_eq_u32_e64 s[0:1], s47, v9
	v_cndmask_b32_e64 v9, v12, v11, s[0:1]
	v_add_co_u32_e64 v11, s[0:1], 2, v7
	v_subb_co_u32_e32 v6, vcc, v10, v6, vcc
	v_addc_co_u32_e64 v12, s[0:1], 0, v8, s[0:1]
	v_cmp_le_u32_e32 vcc, s47, v6
	v_add_co_u32_e64 v13, s[0:1], 1, v7
	v_cndmask_b32_e64 v10, 0, -1, vcc
	v_cmp_le_u32_e32 vcc, s46, v5
	v_addc_co_u32_e64 v14, s[0:1], 0, v8, s[0:1]
	v_cndmask_b32_e64 v5, 0, -1, vcc
	v_cmp_eq_u32_e32 vcc, s47, v6
	v_cmp_ne_u32_e64 s[0:1], 0, v9
	v_cndmask_b32_e32 v5, v10, v5, vcc
	v_cmp_ne_u32_e32 vcc, 0, v5
	v_cndmask_b32_e64 v6, v13, v11, s[0:1]
	v_cndmask_b32_e64 v9, v14, v12, s[0:1]
	v_cndmask_b32_e32 v6, v7, v6, vcc
	v_cndmask_b32_e32 v5, v8, v9, vcc
	v_xor_b32_e32 v6, v6, v3
	v_xor_b32_e32 v5, v5, v3
	v_sub_co_u32_e32 v8, vcc, v6, v3
	v_subb_co_u32_e32 v9, vcc, v5, v3, vcc
.LBB69_9:                               ;   in Loop: Header=BB69_3 Depth=1
	s_andn2_saveexec_b64 s[0:1], s[42:43]
	s_cbranch_execz .LBB69_11
; %bb.10:                               ;   in Loop: Header=BB69_3 Depth=1
	v_cvt_f32_u32_e32 v3, s6
	s_sub_i32 s20, 0, s6
	v_mov_b32_e32 v9, v2
	v_rcp_iflag_f32_e32 v3, v3
	v_mul_f32_e32 v3, 0x4f7ffffe, v3
	v_cvt_u32_f32_e32 v3, v3
	v_mul_lo_u32 v5, s20, v3
	v_mul_hi_u32 v5, v3, v5
	v_add_u32_e32 v3, v3, v5
	v_mul_hi_u32 v3, v4, v3
	v_mul_lo_u32 v5, v3, s6
	v_add_u32_e32 v6, 1, v3
	v_sub_u32_e32 v5, v4, v5
	v_subrev_u32_e32 v7, s6, v5
	v_cmp_le_u32_e32 vcc, s6, v5
	v_cndmask_b32_e32 v5, v5, v7, vcc
	v_cndmask_b32_e32 v3, v3, v6, vcc
	v_add_u32_e32 v6, 1, v3
	v_cmp_le_u32_e32 vcc, s6, v5
	v_cndmask_b32_e32 v8, v3, v6, vcc
.LBB69_11:                              ;   in Loop: Header=BB69_3 Depth=1
	s_or_b64 exec, exec, s[0:1]
	v_mad_u64_u32 v[5:6], s[0:1], v4, s52, 0
	v_mad_u64_u32 v[6:7], s[0:1], v8, s6, 0
	v_sub_co_u32_e32 v18, vcc, v0, v5
	v_mul_lo_u32 v3, s36, v18
	v_sub_co_u32_e32 v19, vcc, v4, v6
	v_mul_lo_u32 v4, s38, v18
	s_andn2_b64 vcc, exec, s[12:13]
	v_mad_u64_u32 v[6:7], s[0:1], s14, v19, v[3:4]
	v_mad_u64_u32 v[4:5], s[0:1], s16, v19, v[4:5]
	s_cbranch_vccnz .LBB69_39
; %bb.12:                               ;   in Loop: Header=BB69_3 Depth=1
	s_mov_b32 s61, 1
	s_andn2_b64 vcc, exec, s[22:23]
	s_mov_b32 s20, s57
	s_mov_b32 s0, s57
	s_cbranch_vccnz .LBB69_20
.LBB69_13:                              ;   Parent Loop BB69_3 Depth=1
                                        ; =>  This Inner Loop Header: Depth=2
	s_lshl_b64 s[42:43], s[20:21], 2
	s_add_u32 s44, s53, s42
	s_addc_u32 s45, s54, s43
	s_load_dword s62, s[44:45], 0x8
                                        ; implicit-def: $vgpr10_vgpr11
	s_waitcnt lgkmcnt(0)
	s_ashr_i32 s0, s62, 31
	v_or_b32_e32 v3, s0, v9
	v_cmp_ne_u64_e32 vcc, 0, v[2:3]
	s_and_saveexec_b64 s[46:47], vcc
	s_xor_b64 s[46:47], exec, s[46:47]
	s_cbranch_execz .LBB69_15
; %bb.14:                               ;   in Loop: Header=BB69_13 Depth=2
	s_ashr_i32 s48, s0, 31
	s_add_u32 s50, s62, s48
	s_mov_b32 s49, s48
	s_addc_u32 s51, s0, s48
	s_xor_b64 s[50:51], s[50:51], s[48:49]
	v_cvt_f32_u32_e32 v3, s50
	v_cvt_f32_u32_e32 v5, s51
	s_sub_u32 s49, 0, s50
	s_subb_u32 s63, 0, s51
	v_mac_f32_e32 v3, 0x4f800000, v5
	v_rcp_f32_e32 v3, v3
	v_mul_f32_e32 v3, 0x5f7ffffc, v3
	v_mul_f32_e32 v5, 0x2f800000, v3
	v_trunc_f32_e32 v5, v5
	v_mac_f32_e32 v3, 0xcf800000, v5
	v_cvt_u32_f32_e32 v5, v5
	v_cvt_u32_f32_e32 v3, v3
	v_readfirstlane_b32 s64, v5
	v_readfirstlane_b32 s0, v3
	s_mul_i32 s1, s49, s64
	s_mul_hi_u32 s66, s49, s0
	s_mul_i32 s65, s63, s0
	s_add_i32 s1, s66, s1
	s_add_i32 s1, s1, s65
	s_mul_i32 s67, s49, s0
	s_mul_i32 s66, s0, s1
	s_mul_hi_u32 s68, s0, s67
	s_mul_hi_u32 s65, s0, s1
	s_add_u32 s66, s68, s66
	s_addc_u32 s65, 0, s65
	s_mul_hi_u32 s69, s64, s67
	s_mul_i32 s67, s64, s67
	s_add_u32 s66, s66, s67
	s_mul_hi_u32 s68, s64, s1
	s_addc_u32 s65, s65, s69
	s_addc_u32 s66, s68, 0
	s_mul_i32 s1, s64, s1
	s_add_u32 s1, s65, s1
	s_addc_u32 s65, 0, s66
	s_add_u32 s66, s0, s1
	s_cselect_b64 s[0:1], -1, 0
	s_cmp_lg_u64 s[0:1], 0
	s_addc_u32 s64, s64, s65
	s_mul_i32 s0, s49, s64
	s_mul_hi_u32 s1, s49, s66
	s_add_i32 s0, s1, s0
	s_mul_i32 s63, s63, s66
	s_add_i32 s0, s0, s63
	s_mul_i32 s49, s49, s66
	s_mul_hi_u32 s63, s64, s49
	s_mul_i32 s65, s64, s49
	s_mul_i32 s68, s66, s0
	s_mul_hi_u32 s49, s66, s49
	s_mul_hi_u32 s67, s66, s0
	s_add_u32 s49, s49, s68
	s_addc_u32 s67, 0, s67
	s_add_u32 s49, s49, s65
	s_mul_hi_u32 s1, s64, s0
	s_addc_u32 s49, s67, s63
	s_addc_u32 s1, s1, 0
	s_mul_i32 s0, s64, s0
	s_add_u32 s0, s49, s0
	s_addc_u32 s49, 0, s1
	s_add_u32 s63, s66, s0
	s_cselect_b64 s[0:1], -1, 0
	v_ashrrev_i32_e32 v3, 31, v9
	s_cmp_lg_u64 s[0:1], 0
	v_add_co_u32_e32 v5, vcc, v8, v3
	s_addc_u32 s49, s64, s49
	v_xor_b32_e32 v5, v5, v3
	v_addc_co_u32_e32 v7, vcc, v9, v3, vcc
	v_mad_u64_u32 v[9:10], s[0:1], v5, s49, 0
	v_mul_hi_u32 v11, v5, s63
	v_xor_b32_e32 v7, v7, v3
	v_xor_b32_e32 v3, s48, v3
	v_add_co_u32_e32 v13, vcc, v11, v9
	v_addc_co_u32_e32 v14, vcc, 0, v10, vcc
	v_mad_u64_u32 v[9:10], s[0:1], v7, s63, 0
	v_mad_u64_u32 v[11:12], s[0:1], v7, s49, 0
	v_add_co_u32_e32 v9, vcc, v13, v9
	v_addc_co_u32_e32 v9, vcc, v14, v10, vcc
	v_addc_co_u32_e32 v10, vcc, 0, v12, vcc
	v_add_co_u32_e32 v11, vcc, v9, v11
	v_addc_co_u32_e32 v12, vcc, 0, v10, vcc
	v_mul_lo_u32 v13, s51, v11
	v_mul_lo_u32 v14, s50, v12
	v_mad_u64_u32 v[9:10], s[0:1], s50, v11, 0
	v_add3_u32 v10, v10, v14, v13
	v_sub_u32_e32 v13, v7, v10
	v_mov_b32_e32 v14, s51
	v_sub_co_u32_e32 v5, vcc, v5, v9
	v_subb_co_u32_e64 v9, s[0:1], v13, v14, vcc
	v_subrev_co_u32_e64 v13, s[0:1], s50, v5
	v_subbrev_co_u32_e64 v9, s[0:1], 0, v9, s[0:1]
	v_cmp_le_u32_e64 s[0:1], s51, v9
	v_cndmask_b32_e64 v14, 0, -1, s[0:1]
	v_cmp_le_u32_e64 s[0:1], s50, v13
	v_cndmask_b32_e64 v13, 0, -1, s[0:1]
	v_cmp_eq_u32_e64 s[0:1], s51, v9
	v_cndmask_b32_e64 v9, v14, v13, s[0:1]
	v_add_co_u32_e64 v13, s[0:1], 2, v11
	v_subb_co_u32_e32 v7, vcc, v7, v10, vcc
	v_addc_co_u32_e64 v14, s[0:1], 0, v12, s[0:1]
	v_cmp_le_u32_e32 vcc, s51, v7
	v_add_co_u32_e64 v15, s[0:1], 1, v11
	v_cndmask_b32_e64 v10, 0, -1, vcc
	v_cmp_le_u32_e32 vcc, s50, v5
	v_addc_co_u32_e64 v16, s[0:1], 0, v12, s[0:1]
	v_cndmask_b32_e64 v5, 0, -1, vcc
	v_cmp_eq_u32_e32 vcc, s51, v7
	v_cmp_ne_u32_e64 s[0:1], 0, v9
	v_cndmask_b32_e32 v5, v10, v5, vcc
	v_cmp_ne_u32_e32 vcc, 0, v5
	v_cndmask_b32_e64 v7, v15, v13, s[0:1]
	v_cndmask_b32_e64 v9, v16, v14, s[0:1]
	v_cndmask_b32_e32 v7, v11, v7, vcc
	v_cndmask_b32_e32 v5, v12, v9, vcc
	v_xor_b32_e32 v7, v7, v3
	v_xor_b32_e32 v5, v5, v3
	v_sub_co_u32_e32 v10, vcc, v7, v3
	v_subb_co_u32_e32 v11, vcc, v5, v3, vcc
.LBB69_15:                              ;   in Loop: Header=BB69_13 Depth=2
	s_andn2_saveexec_b64 s[0:1], s[46:47]
	s_cbranch_execz .LBB69_17
; %bb.16:                               ;   in Loop: Header=BB69_13 Depth=2
	v_cvt_f32_u32_e32 v3, s62
	s_sub_i32 s46, 0, s62
	v_mov_b32_e32 v11, v2
	v_rcp_iflag_f32_e32 v3, v3
	v_mul_f32_e32 v3, 0x4f7ffffe, v3
	v_cvt_u32_f32_e32 v3, v3
	v_mul_lo_u32 v5, s46, v3
	v_mul_hi_u32 v5, v3, v5
	v_add_u32_e32 v3, v3, v5
	v_mul_hi_u32 v3, v8, v3
	v_mul_lo_u32 v5, v3, s62
	v_add_u32_e32 v7, 1, v3
	v_sub_u32_e32 v5, v8, v5
	v_subrev_u32_e32 v9, s62, v5
	v_cmp_le_u32_e32 vcc, s62, v5
	v_cndmask_b32_e32 v5, v5, v9, vcc
	v_cndmask_b32_e32 v3, v3, v7, vcc
	v_add_u32_e32 v7, 1, v3
	v_cmp_le_u32_e32 vcc, s62, v5
	v_cndmask_b32_e32 v10, v3, v7, vcc
.LBB69_17:                              ;   in Loop: Header=BB69_13 Depth=2
	s_or_b64 exec, exec, s[0:1]
	s_add_u32 s0, s4, s42
	s_addc_u32 s1, s5, s43
	v_mul_lo_u32 v3, v10, s62
	s_load_dword s44, s[44:45], 0x6c
	s_add_i32 s20, s20, -1
	s_load_dword s42, s[0:1], 0x6c
	v_sub_u32_e32 v3, v8, v3
	s_waitcnt lgkmcnt(0)
	v_mad_u64_u32 v[6:7], s[0:1], s44, v3, v[6:7]
	v_mad_u64_u32 v[4:5], s[0:1], s42, v3, v[4:5]
	s_xor_b32 s0, s59, s61
	s_add_i32 s61, s61, 1
	s_cmp_lg_u32 s0, 2
	s_cbranch_scc0 .LBB69_19
; %bb.18:                               ;   in Loop: Header=BB69_13 Depth=2
	v_mov_b32_e32 v8, v10
	v_mov_b32_e32 v9, v11
	s_branch .LBB69_13
.LBB69_19:                              ;   in Loop: Header=BB69_3 Depth=1
	v_mov_b32_e32 v8, v10
	s_mov_b32 s0, s20
	v_mov_b32_e32 v9, v11
.LBB69_20:                              ;   in Loop: Header=BB69_3 Depth=1
	s_and_b64 vcc, exec, s[24:25]
	s_mov_b32 s20, s0
	s_cbranch_vccz .LBB69_39
.LBB69_21:                              ;   Parent Loop BB69_3 Depth=1
                                        ; =>  This Inner Loop Header: Depth=2
	s_lshl_b64 s[42:43], s[20:21], 2
	s_add_u32 s44, s53, s42
	s_addc_u32 s45, s54, s43
	s_load_dword s61, s[44:45], 0x8
                                        ; implicit-def: $vgpr10_vgpr11
	s_waitcnt lgkmcnt(0)
	s_ashr_i32 s0, s61, 31
	v_or_b32_e32 v3, s0, v9
	v_cmp_ne_u64_e32 vcc, 0, v[2:3]
	s_and_saveexec_b64 s[46:47], vcc
	s_xor_b64 s[46:47], exec, s[46:47]
	s_cbranch_execz .LBB69_23
; %bb.22:                               ;   in Loop: Header=BB69_21 Depth=2
	s_ashr_i32 s48, s0, 31
	s_add_u32 s50, s61, s48
	s_mov_b32 s49, s48
	s_addc_u32 s51, s0, s48
	s_xor_b64 s[50:51], s[50:51], s[48:49]
	v_cvt_f32_u32_e32 v3, s50
	v_cvt_f32_u32_e32 v5, s51
	s_sub_u32 s49, 0, s50
	s_subb_u32 s62, 0, s51
	v_mac_f32_e32 v3, 0x4f800000, v5
	v_rcp_f32_e32 v3, v3
	v_mul_f32_e32 v3, 0x5f7ffffc, v3
	v_mul_f32_e32 v5, 0x2f800000, v3
	v_trunc_f32_e32 v5, v5
	v_mac_f32_e32 v3, 0xcf800000, v5
	v_cvt_u32_f32_e32 v5, v5
	v_cvt_u32_f32_e32 v3, v3
	v_readfirstlane_b32 s63, v5
	v_readfirstlane_b32 s0, v3
	s_mul_i32 s1, s49, s63
	s_mul_hi_u32 s65, s49, s0
	s_mul_i32 s64, s62, s0
	s_add_i32 s1, s65, s1
	s_add_i32 s1, s1, s64
	s_mul_i32 s66, s49, s0
	s_mul_i32 s65, s0, s1
	s_mul_hi_u32 s67, s0, s66
	s_mul_hi_u32 s64, s0, s1
	s_add_u32 s65, s67, s65
	s_addc_u32 s64, 0, s64
	s_mul_hi_u32 s68, s63, s66
	s_mul_i32 s66, s63, s66
	s_add_u32 s65, s65, s66
	s_mul_hi_u32 s67, s63, s1
	s_addc_u32 s64, s64, s68
	s_addc_u32 s65, s67, 0
	s_mul_i32 s1, s63, s1
	s_add_u32 s1, s64, s1
	s_addc_u32 s64, 0, s65
	s_add_u32 s65, s0, s1
	s_cselect_b64 s[0:1], -1, 0
	s_cmp_lg_u64 s[0:1], 0
	s_addc_u32 s63, s63, s64
	s_mul_i32 s0, s49, s63
	s_mul_hi_u32 s1, s49, s65
	s_add_i32 s0, s1, s0
	s_mul_i32 s62, s62, s65
	s_add_i32 s0, s0, s62
	s_mul_i32 s49, s49, s65
	s_mul_hi_u32 s62, s63, s49
	s_mul_i32 s64, s63, s49
	s_mul_i32 s67, s65, s0
	s_mul_hi_u32 s49, s65, s49
	s_mul_hi_u32 s66, s65, s0
	s_add_u32 s49, s49, s67
	s_addc_u32 s66, 0, s66
	s_add_u32 s49, s49, s64
	s_mul_hi_u32 s1, s63, s0
	s_addc_u32 s49, s66, s62
	s_addc_u32 s1, s1, 0
	s_mul_i32 s0, s63, s0
	s_add_u32 s0, s49, s0
	s_addc_u32 s49, 0, s1
	s_add_u32 s62, s65, s0
	s_cselect_b64 s[0:1], -1, 0
	v_ashrrev_i32_e32 v3, 31, v9
	s_cmp_lg_u64 s[0:1], 0
	v_add_co_u32_e32 v5, vcc, v8, v3
	s_addc_u32 s49, s63, s49
	v_xor_b32_e32 v5, v5, v3
	v_addc_co_u32_e32 v7, vcc, v9, v3, vcc
	v_mad_u64_u32 v[9:10], s[0:1], v5, s49, 0
	v_mul_hi_u32 v11, v5, s62
	v_xor_b32_e32 v7, v7, v3
	v_xor_b32_e32 v3, s48, v3
	v_add_co_u32_e32 v13, vcc, v11, v9
	v_addc_co_u32_e32 v14, vcc, 0, v10, vcc
	v_mad_u64_u32 v[9:10], s[0:1], v7, s62, 0
	v_mad_u64_u32 v[11:12], s[0:1], v7, s49, 0
	v_add_co_u32_e32 v9, vcc, v13, v9
	v_addc_co_u32_e32 v9, vcc, v14, v10, vcc
	v_addc_co_u32_e32 v10, vcc, 0, v12, vcc
	v_add_co_u32_e32 v11, vcc, v9, v11
	v_addc_co_u32_e32 v12, vcc, 0, v10, vcc
	v_mul_lo_u32 v13, s51, v11
	v_mul_lo_u32 v14, s50, v12
	v_mad_u64_u32 v[9:10], s[0:1], s50, v11, 0
	v_add3_u32 v10, v10, v14, v13
	v_sub_u32_e32 v13, v7, v10
	v_mov_b32_e32 v14, s51
	v_sub_co_u32_e32 v5, vcc, v5, v9
	v_subb_co_u32_e64 v9, s[0:1], v13, v14, vcc
	v_subrev_co_u32_e64 v13, s[0:1], s50, v5
	v_subbrev_co_u32_e64 v9, s[0:1], 0, v9, s[0:1]
	v_cmp_le_u32_e64 s[0:1], s51, v9
	v_cndmask_b32_e64 v14, 0, -1, s[0:1]
	v_cmp_le_u32_e64 s[0:1], s50, v13
	v_cndmask_b32_e64 v13, 0, -1, s[0:1]
	v_cmp_eq_u32_e64 s[0:1], s51, v9
	v_cndmask_b32_e64 v9, v14, v13, s[0:1]
	v_add_co_u32_e64 v13, s[0:1], 2, v11
	v_subb_co_u32_e32 v7, vcc, v7, v10, vcc
	v_addc_co_u32_e64 v14, s[0:1], 0, v12, s[0:1]
	v_cmp_le_u32_e32 vcc, s51, v7
	v_add_co_u32_e64 v15, s[0:1], 1, v11
	v_cndmask_b32_e64 v10, 0, -1, vcc
	v_cmp_le_u32_e32 vcc, s50, v5
	v_addc_co_u32_e64 v16, s[0:1], 0, v12, s[0:1]
	v_cndmask_b32_e64 v5, 0, -1, vcc
	v_cmp_eq_u32_e32 vcc, s51, v7
	v_cmp_ne_u32_e64 s[0:1], 0, v9
	v_cndmask_b32_e32 v5, v10, v5, vcc
	v_cmp_ne_u32_e32 vcc, 0, v5
	v_cndmask_b32_e64 v7, v15, v13, s[0:1]
	v_cndmask_b32_e64 v9, v16, v14, s[0:1]
	v_cndmask_b32_e32 v7, v11, v7, vcc
	v_cndmask_b32_e32 v5, v12, v9, vcc
	v_xor_b32_e32 v7, v7, v3
	v_xor_b32_e32 v5, v5, v3
	v_sub_co_u32_e32 v10, vcc, v7, v3
	v_subb_co_u32_e32 v11, vcc, v5, v3, vcc
.LBB69_23:                              ;   in Loop: Header=BB69_21 Depth=2
	s_andn2_saveexec_b64 s[0:1], s[46:47]
	s_cbranch_execz .LBB69_25
; %bb.24:                               ;   in Loop: Header=BB69_21 Depth=2
	v_cvt_f32_u32_e32 v3, s61
	s_sub_i32 s46, 0, s61
	v_mov_b32_e32 v11, v2
	v_rcp_iflag_f32_e32 v3, v3
	v_mul_f32_e32 v3, 0x4f7ffffe, v3
	v_cvt_u32_f32_e32 v3, v3
	v_mul_lo_u32 v5, s46, v3
	v_mul_hi_u32 v5, v3, v5
	v_add_u32_e32 v3, v3, v5
	v_mul_hi_u32 v3, v8, v3
	v_mul_lo_u32 v5, v3, s61
	v_add_u32_e32 v7, 1, v3
	v_sub_u32_e32 v5, v8, v5
	v_subrev_u32_e32 v9, s61, v5
	v_cmp_le_u32_e32 vcc, s61, v5
	v_cndmask_b32_e32 v5, v5, v9, vcc
	v_cndmask_b32_e32 v3, v3, v7, vcc
	v_add_u32_e32 v7, 1, v3
	v_cmp_le_u32_e32 vcc, s61, v5
	v_cndmask_b32_e32 v10, v3, v7, vcc
.LBB69_25:                              ;   in Loop: Header=BB69_21 Depth=2
	s_or_b64 exec, exec, s[0:1]
	s_add_u32 s0, s4, s42
	s_addc_u32 s1, s5, s43
	s_add_i32 s42, s20, -1
	s_mov_b32 s43, s21
	s_lshl_b64 s[46:47], s[42:43], 2
	s_add_u32 s42, s53, s46
	s_addc_u32 s43, s54, s47
	s_load_dword s64, s[42:43], 0x8
	s_load_dword s63, s[44:45], 0x6c
	s_load_dword s62, s[0:1], 0x6c
                                        ; implicit-def: $vgpr12_vgpr13
	s_waitcnt lgkmcnt(0)
	s_ashr_i32 s0, s64, 31
	v_or_b32_e32 v3, s0, v11
	v_cmp_ne_u64_e32 vcc, 0, v[2:3]
	s_and_saveexec_b64 s[44:45], vcc
	s_xor_b64 s[44:45], exec, s[44:45]
	s_cbranch_execz .LBB69_27
; %bb.26:                               ;   in Loop: Header=BB69_21 Depth=2
	s_ashr_i32 s48, s0, 31
	s_add_u32 s50, s64, s48
	s_mov_b32 s49, s48
	s_addc_u32 s51, s0, s48
	s_xor_b64 s[50:51], s[50:51], s[48:49]
	v_cvt_f32_u32_e32 v3, s50
	v_cvt_f32_u32_e32 v5, s51
	s_sub_u32 s49, 0, s50
	s_subb_u32 s65, 0, s51
	v_mac_f32_e32 v3, 0x4f800000, v5
	v_rcp_f32_e32 v3, v3
	v_mul_f32_e32 v3, 0x5f7ffffc, v3
	v_mul_f32_e32 v5, 0x2f800000, v3
	v_trunc_f32_e32 v5, v5
	v_mac_f32_e32 v3, 0xcf800000, v5
	v_cvt_u32_f32_e32 v5, v5
	v_cvt_u32_f32_e32 v3, v3
	v_readfirstlane_b32 s66, v5
	v_readfirstlane_b32 s0, v3
	s_mul_i32 s1, s49, s66
	s_mul_hi_u32 s68, s49, s0
	s_mul_i32 s67, s65, s0
	s_add_i32 s1, s68, s1
	s_add_i32 s1, s1, s67
	s_mul_i32 s69, s49, s0
	s_mul_i32 s68, s0, s1
	s_mul_hi_u32 s70, s0, s69
	s_mul_hi_u32 s67, s0, s1
	s_add_u32 s68, s70, s68
	s_addc_u32 s67, 0, s67
	s_mul_hi_u32 s71, s66, s69
	s_mul_i32 s69, s66, s69
	s_add_u32 s68, s68, s69
	s_mul_hi_u32 s70, s66, s1
	s_addc_u32 s67, s67, s71
	s_addc_u32 s68, s70, 0
	s_mul_i32 s1, s66, s1
	s_add_u32 s1, s67, s1
	s_addc_u32 s67, 0, s68
	s_add_u32 s68, s0, s1
	s_cselect_b64 s[0:1], -1, 0
	s_cmp_lg_u64 s[0:1], 0
	s_addc_u32 s66, s66, s67
	s_mul_i32 s0, s49, s66
	s_mul_hi_u32 s1, s49, s68
	s_add_i32 s0, s1, s0
	s_mul_i32 s65, s65, s68
	s_add_i32 s0, s0, s65
	s_mul_i32 s49, s49, s68
	s_mul_hi_u32 s65, s66, s49
	s_mul_i32 s67, s66, s49
	s_mul_i32 s70, s68, s0
	s_mul_hi_u32 s49, s68, s49
	s_mul_hi_u32 s69, s68, s0
	s_add_u32 s49, s49, s70
	s_addc_u32 s69, 0, s69
	s_add_u32 s49, s49, s67
	s_mul_hi_u32 s1, s66, s0
	s_addc_u32 s49, s69, s65
	s_addc_u32 s1, s1, 0
	s_mul_i32 s0, s66, s0
	s_add_u32 s0, s49, s0
	s_addc_u32 s49, 0, s1
	s_add_u32 s65, s68, s0
	s_cselect_b64 s[0:1], -1, 0
	v_ashrrev_i32_e32 v3, 31, v11
	s_cmp_lg_u64 s[0:1], 0
	v_add_co_u32_e32 v5, vcc, v10, v3
	s_addc_u32 s49, s66, s49
	v_xor_b32_e32 v5, v5, v3
	v_addc_co_u32_e32 v7, vcc, v11, v3, vcc
	v_mad_u64_u32 v[11:12], s[0:1], v5, s49, 0
	v_mul_hi_u32 v9, v5, s65
	v_xor_b32_e32 v7, v7, v3
	v_mad_u64_u32 v[13:14], s[0:1], v7, s49, 0
	v_add_co_u32_e32 v9, vcc, v9, v11
	v_addc_co_u32_e32 v15, vcc, 0, v12, vcc
	v_mad_u64_u32 v[11:12], s[0:1], v7, s65, 0
	v_xor_b32_e32 v3, s48, v3
	v_add_co_u32_e32 v9, vcc, v9, v11
	v_addc_co_u32_e32 v9, vcc, v15, v12, vcc
	v_addc_co_u32_e32 v11, vcc, 0, v14, vcc
	v_add_co_u32_e32 v9, vcc, v9, v13
	v_addc_co_u32_e32 v13, vcc, 0, v11, vcc
	v_mul_lo_u32 v14, s51, v9
	v_mul_lo_u32 v15, s50, v13
	v_mad_u64_u32 v[11:12], s[0:1], s50, v9, 0
	v_add3_u32 v12, v12, v15, v14
	v_sub_u32_e32 v14, v7, v12
	v_mov_b32_e32 v15, s51
	v_sub_co_u32_e32 v5, vcc, v5, v11
	v_subb_co_u32_e64 v11, s[0:1], v14, v15, vcc
	v_subrev_co_u32_e64 v14, s[0:1], s50, v5
	v_subbrev_co_u32_e64 v11, s[0:1], 0, v11, s[0:1]
	v_cmp_le_u32_e64 s[0:1], s51, v11
	v_cndmask_b32_e64 v15, 0, -1, s[0:1]
	v_cmp_le_u32_e64 s[0:1], s50, v14
	v_cndmask_b32_e64 v14, 0, -1, s[0:1]
	v_cmp_eq_u32_e64 s[0:1], s51, v11
	v_cndmask_b32_e64 v11, v15, v14, s[0:1]
	v_add_co_u32_e64 v14, s[0:1], 2, v9
	v_subb_co_u32_e32 v7, vcc, v7, v12, vcc
	v_addc_co_u32_e64 v15, s[0:1], 0, v13, s[0:1]
	v_cmp_le_u32_e32 vcc, s51, v7
	v_add_co_u32_e64 v16, s[0:1], 1, v9
	v_cndmask_b32_e64 v12, 0, -1, vcc
	v_cmp_le_u32_e32 vcc, s50, v5
	v_addc_co_u32_e64 v17, s[0:1], 0, v13, s[0:1]
	v_cndmask_b32_e64 v5, 0, -1, vcc
	v_cmp_eq_u32_e32 vcc, s51, v7
	v_cmp_ne_u32_e64 s[0:1], 0, v11
	v_cndmask_b32_e32 v5, v12, v5, vcc
	v_cmp_ne_u32_e32 vcc, 0, v5
	v_cndmask_b32_e64 v7, v16, v14, s[0:1]
	v_cndmask_b32_e64 v11, v17, v15, s[0:1]
	v_cndmask_b32_e32 v7, v9, v7, vcc
	v_cndmask_b32_e32 v5, v13, v11, vcc
	v_xor_b32_e32 v7, v7, v3
	v_xor_b32_e32 v5, v5, v3
	v_sub_co_u32_e32 v12, vcc, v7, v3
	v_subb_co_u32_e32 v13, vcc, v5, v3, vcc
.LBB69_27:                              ;   in Loop: Header=BB69_21 Depth=2
	s_andn2_saveexec_b64 s[0:1], s[44:45]
	s_cbranch_execz .LBB69_29
; %bb.28:                               ;   in Loop: Header=BB69_21 Depth=2
	v_cvt_f32_u32_e32 v3, s64
	s_sub_i32 s44, 0, s64
	v_mov_b32_e32 v13, v2
	v_rcp_iflag_f32_e32 v3, v3
	v_mul_f32_e32 v3, 0x4f7ffffe, v3
	v_cvt_u32_f32_e32 v3, v3
	v_mul_lo_u32 v5, s44, v3
	v_mul_hi_u32 v5, v3, v5
	v_add_u32_e32 v3, v3, v5
	v_mul_hi_u32 v3, v10, v3
	v_mul_lo_u32 v5, v3, s64
	v_add_u32_e32 v7, 1, v3
	v_sub_u32_e32 v5, v10, v5
	v_subrev_u32_e32 v9, s64, v5
	v_cmp_le_u32_e32 vcc, s64, v5
	v_cndmask_b32_e32 v5, v5, v9, vcc
	v_cndmask_b32_e32 v3, v3, v7, vcc
	v_add_u32_e32 v7, 1, v3
	v_cmp_le_u32_e32 vcc, s64, v5
	v_cndmask_b32_e32 v12, v3, v7, vcc
.LBB69_29:                              ;   in Loop: Header=BB69_21 Depth=2
	s_or_b64 exec, exec, s[0:1]
	s_add_u32 s0, s4, s46
	s_addc_u32 s1, s5, s47
	s_add_i32 s44, s20, -2
	s_mov_b32 s45, s21
	s_lshl_b64 s[44:45], s[44:45], 2
	s_add_u32 s46, s53, s44
	s_addc_u32 s47, s54, s45
	s_load_dword s66, s[46:47], 0x8
	s_load_dword s67, s[42:43], 0x6c
	;; [unrolled: 1-line block ×3, first 2 shown]
                                        ; implicit-def: $vgpr14_vgpr15
	s_waitcnt lgkmcnt(0)
	s_ashr_i32 s0, s66, 31
	v_or_b32_e32 v3, s0, v13
	v_cmp_ne_u64_e32 vcc, 0, v[2:3]
	s_and_saveexec_b64 s[42:43], vcc
	s_xor_b64 s[42:43], exec, s[42:43]
	s_cbranch_execz .LBB69_31
; %bb.30:                               ;   in Loop: Header=BB69_21 Depth=2
	s_ashr_i32 s48, s0, 31
	s_add_u32 s50, s66, s48
	s_mov_b32 s49, s48
	s_addc_u32 s51, s0, s48
	s_xor_b64 s[50:51], s[50:51], s[48:49]
	v_cvt_f32_u32_e32 v3, s50
	v_cvt_f32_u32_e32 v5, s51
	s_sub_u32 s49, 0, s50
	s_subb_u32 s68, 0, s51
	v_mac_f32_e32 v3, 0x4f800000, v5
	v_rcp_f32_e32 v3, v3
	v_mul_f32_e32 v3, 0x5f7ffffc, v3
	v_mul_f32_e32 v5, 0x2f800000, v3
	v_trunc_f32_e32 v5, v5
	v_mac_f32_e32 v3, 0xcf800000, v5
	v_cvt_u32_f32_e32 v5, v5
	v_cvt_u32_f32_e32 v3, v3
	v_readfirstlane_b32 s69, v5
	v_readfirstlane_b32 s0, v3
	s_mul_i32 s1, s49, s69
	s_mul_hi_u32 s71, s49, s0
	s_mul_i32 s70, s68, s0
	s_add_i32 s1, s71, s1
	s_add_i32 s1, s1, s70
	s_mul_i32 s72, s49, s0
	s_mul_i32 s71, s0, s1
	s_mul_hi_u32 s73, s0, s72
	s_mul_hi_u32 s70, s0, s1
	s_add_u32 s71, s73, s71
	s_addc_u32 s70, 0, s70
	s_mul_hi_u32 s74, s69, s72
	s_mul_i32 s72, s69, s72
	s_add_u32 s71, s71, s72
	s_mul_hi_u32 s73, s69, s1
	s_addc_u32 s70, s70, s74
	s_addc_u32 s71, s73, 0
	s_mul_i32 s1, s69, s1
	s_add_u32 s1, s70, s1
	s_addc_u32 s70, 0, s71
	s_add_u32 s71, s0, s1
	s_cselect_b64 s[0:1], -1, 0
	s_cmp_lg_u64 s[0:1], 0
	s_addc_u32 s69, s69, s70
	s_mul_i32 s0, s49, s69
	s_mul_hi_u32 s1, s49, s71
	s_add_i32 s0, s1, s0
	s_mul_i32 s68, s68, s71
	s_add_i32 s0, s0, s68
	s_mul_i32 s49, s49, s71
	s_mul_hi_u32 s68, s69, s49
	s_mul_i32 s70, s69, s49
	s_mul_i32 s73, s71, s0
	s_mul_hi_u32 s49, s71, s49
	s_mul_hi_u32 s72, s71, s0
	s_add_u32 s49, s49, s73
	s_addc_u32 s72, 0, s72
	s_add_u32 s49, s49, s70
	s_mul_hi_u32 s1, s69, s0
	s_addc_u32 s49, s72, s68
	s_addc_u32 s1, s1, 0
	s_mul_i32 s0, s69, s0
	s_add_u32 s0, s49, s0
	s_addc_u32 s49, 0, s1
	s_add_u32 s68, s71, s0
	s_cselect_b64 s[0:1], -1, 0
	v_ashrrev_i32_e32 v3, 31, v13
	s_cmp_lg_u64 s[0:1], 0
	v_add_co_u32_e32 v5, vcc, v12, v3
	s_addc_u32 s49, s69, s49
	v_xor_b32_e32 v5, v5, v3
	v_addc_co_u32_e32 v7, vcc, v13, v3, vcc
	v_mad_u64_u32 v[13:14], s[0:1], v5, s49, 0
	v_mul_hi_u32 v9, v5, s68
	v_xor_b32_e32 v7, v7, v3
	v_mad_u64_u32 v[15:16], s[0:1], v7, s49, 0
	v_add_co_u32_e32 v9, vcc, v9, v13
	v_addc_co_u32_e32 v11, vcc, 0, v14, vcc
	v_mad_u64_u32 v[13:14], s[0:1], v7, s68, 0
	v_xor_b32_e32 v3, s48, v3
	v_add_co_u32_e32 v9, vcc, v9, v13
	v_addc_co_u32_e32 v9, vcc, v11, v14, vcc
	v_addc_co_u32_e32 v11, vcc, 0, v16, vcc
	v_add_co_u32_e32 v9, vcc, v9, v15
	v_addc_co_u32_e32 v11, vcc, 0, v11, vcc
	v_mul_lo_u32 v15, s51, v9
	v_mul_lo_u32 v16, s50, v11
	v_mad_u64_u32 v[13:14], s[0:1], s50, v9, 0
	v_add3_u32 v14, v14, v16, v15
	v_sub_u32_e32 v15, v7, v14
	v_mov_b32_e32 v16, s51
	v_sub_co_u32_e32 v5, vcc, v5, v13
	v_subb_co_u32_e64 v13, s[0:1], v15, v16, vcc
	v_subrev_co_u32_e64 v15, s[0:1], s50, v5
	v_subbrev_co_u32_e64 v13, s[0:1], 0, v13, s[0:1]
	v_cmp_le_u32_e64 s[0:1], s51, v13
	v_cndmask_b32_e64 v16, 0, -1, s[0:1]
	v_cmp_le_u32_e64 s[0:1], s50, v15
	v_cndmask_b32_e64 v15, 0, -1, s[0:1]
	v_cmp_eq_u32_e64 s[0:1], s51, v13
	v_cndmask_b32_e64 v13, v16, v15, s[0:1]
	v_add_co_u32_e64 v15, s[0:1], 2, v9
	v_subb_co_u32_e32 v7, vcc, v7, v14, vcc
	v_addc_co_u32_e64 v16, s[0:1], 0, v11, s[0:1]
	v_cmp_le_u32_e32 vcc, s51, v7
	v_add_co_u32_e64 v17, s[0:1], 1, v9
	v_cndmask_b32_e64 v14, 0, -1, vcc
	v_cmp_le_u32_e32 vcc, s50, v5
	v_addc_co_u32_e64 v20, s[0:1], 0, v11, s[0:1]
	v_cndmask_b32_e64 v5, 0, -1, vcc
	v_cmp_eq_u32_e32 vcc, s51, v7
	v_cmp_ne_u32_e64 s[0:1], 0, v13
	v_cndmask_b32_e32 v5, v14, v5, vcc
	v_cmp_ne_u32_e32 vcc, 0, v5
	v_cndmask_b32_e64 v7, v17, v15, s[0:1]
	v_cndmask_b32_e64 v13, v20, v16, s[0:1]
	v_cndmask_b32_e32 v7, v9, v7, vcc
	v_cndmask_b32_e32 v5, v11, v13, vcc
	v_xor_b32_e32 v7, v7, v3
	v_xor_b32_e32 v5, v5, v3
	v_sub_co_u32_e32 v14, vcc, v7, v3
	v_subb_co_u32_e32 v15, vcc, v5, v3, vcc
.LBB69_31:                              ;   in Loop: Header=BB69_21 Depth=2
	s_andn2_saveexec_b64 s[0:1], s[42:43]
	s_cbranch_execz .LBB69_33
; %bb.32:                               ;   in Loop: Header=BB69_21 Depth=2
	v_cvt_f32_u32_e32 v3, s66
	s_sub_i32 s42, 0, s66
	v_mov_b32_e32 v15, v2
	v_rcp_iflag_f32_e32 v3, v3
	v_mul_f32_e32 v3, 0x4f7ffffe, v3
	v_cvt_u32_f32_e32 v3, v3
	v_mul_lo_u32 v5, s42, v3
	v_mul_hi_u32 v5, v3, v5
	v_add_u32_e32 v3, v3, v5
	v_mul_hi_u32 v3, v12, v3
	v_mul_lo_u32 v5, v3, s66
	v_add_u32_e32 v7, 1, v3
	v_sub_u32_e32 v5, v12, v5
	v_subrev_u32_e32 v9, s66, v5
	v_cmp_le_u32_e32 vcc, s66, v5
	v_cndmask_b32_e32 v5, v5, v9, vcc
	v_cndmask_b32_e32 v3, v3, v7, vcc
	v_add_u32_e32 v7, 1, v3
	v_cmp_le_u32_e32 vcc, s66, v5
	v_cndmask_b32_e32 v14, v3, v7, vcc
.LBB69_33:                              ;   in Loop: Header=BB69_21 Depth=2
	s_or_b64 exec, exec, s[0:1]
	s_add_u32 s0, s4, s44
	s_addc_u32 s1, s5, s45
	s_add_i32 s42, s20, -3
	s_mov_b32 s43, s21
	s_lshl_b64 s[42:43], s[42:43], 2
	s_add_u32 s44, s53, s42
	s_addc_u32 s45, s54, s43
	s_load_dword s69, s[44:45], 0x8
	s_load_dword s70, s[46:47], 0x6c
	;; [unrolled: 1-line block ×3, first 2 shown]
                                        ; implicit-def: $vgpr16_vgpr17
	s_waitcnt lgkmcnt(0)
	s_ashr_i32 s0, s69, 31
	v_or_b32_e32 v3, s0, v15
	v_cmp_ne_u64_e32 vcc, 0, v[2:3]
	s_and_saveexec_b64 s[46:47], vcc
	s_xor_b64 s[46:47], exec, s[46:47]
	s_cbranch_execz .LBB69_35
; %bb.34:                               ;   in Loop: Header=BB69_21 Depth=2
	s_ashr_i32 s48, s0, 31
	s_add_u32 s50, s69, s48
	s_mov_b32 s49, s48
	s_addc_u32 s51, s0, s48
	s_xor_b64 s[50:51], s[50:51], s[48:49]
	v_cvt_f32_u32_e32 v3, s50
	v_cvt_f32_u32_e32 v5, s51
	s_sub_u32 s49, 0, s50
	s_subb_u32 s71, 0, s51
	v_mac_f32_e32 v3, 0x4f800000, v5
	v_rcp_f32_e32 v3, v3
	v_mul_f32_e32 v3, 0x5f7ffffc, v3
	v_mul_f32_e32 v5, 0x2f800000, v3
	v_trunc_f32_e32 v5, v5
	v_mac_f32_e32 v3, 0xcf800000, v5
	v_cvt_u32_f32_e32 v5, v5
	v_cvt_u32_f32_e32 v3, v3
	v_readfirstlane_b32 s72, v5
	v_readfirstlane_b32 s0, v3
	s_mul_i32 s1, s49, s72
	s_mul_hi_u32 s74, s49, s0
	s_mul_i32 s73, s71, s0
	s_add_i32 s1, s74, s1
	s_add_i32 s1, s1, s73
	s_mul_i32 s75, s49, s0
	s_mul_i32 s74, s0, s1
	s_mul_hi_u32 s76, s0, s75
	s_mul_hi_u32 s73, s0, s1
	s_add_u32 s74, s76, s74
	s_addc_u32 s73, 0, s73
	s_mul_hi_u32 s77, s72, s75
	s_mul_i32 s75, s72, s75
	s_add_u32 s74, s74, s75
	s_mul_hi_u32 s76, s72, s1
	s_addc_u32 s73, s73, s77
	s_addc_u32 s74, s76, 0
	s_mul_i32 s1, s72, s1
	s_add_u32 s1, s73, s1
	s_addc_u32 s73, 0, s74
	s_add_u32 s74, s0, s1
	s_cselect_b64 s[0:1], -1, 0
	s_cmp_lg_u64 s[0:1], 0
	s_addc_u32 s72, s72, s73
	s_mul_i32 s0, s49, s72
	s_mul_hi_u32 s1, s49, s74
	s_add_i32 s0, s1, s0
	s_mul_i32 s71, s71, s74
	s_add_i32 s0, s0, s71
	s_mul_i32 s49, s49, s74
	s_mul_hi_u32 s71, s72, s49
	s_mul_i32 s73, s72, s49
	s_mul_i32 s76, s74, s0
	s_mul_hi_u32 s49, s74, s49
	s_mul_hi_u32 s75, s74, s0
	s_add_u32 s49, s49, s76
	s_addc_u32 s75, 0, s75
	s_add_u32 s49, s49, s73
	s_mul_hi_u32 s1, s72, s0
	s_addc_u32 s49, s75, s71
	s_addc_u32 s1, s1, 0
	s_mul_i32 s0, s72, s0
	s_add_u32 s0, s49, s0
	s_addc_u32 s49, 0, s1
	s_add_u32 s71, s74, s0
	s_cselect_b64 s[0:1], -1, 0
	v_ashrrev_i32_e32 v3, 31, v15
	s_cmp_lg_u64 s[0:1], 0
	v_add_co_u32_e32 v5, vcc, v14, v3
	s_addc_u32 s49, s72, s49
	v_xor_b32_e32 v5, v5, v3
	v_addc_co_u32_e32 v7, vcc, v15, v3, vcc
	v_mad_u64_u32 v[15:16], s[0:1], v5, s49, 0
	v_mul_hi_u32 v9, v5, s71
	v_xor_b32_e32 v7, v7, v3
	v_mad_u64_u32 v[20:21], s[0:1], v7, s49, 0
	v_add_co_u32_e32 v9, vcc, v9, v15
	v_addc_co_u32_e32 v11, vcc, 0, v16, vcc
	v_mad_u64_u32 v[15:16], s[0:1], v7, s71, 0
	v_xor_b32_e32 v3, s48, v3
	v_add_co_u32_e32 v9, vcc, v9, v15
	v_addc_co_u32_e32 v9, vcc, v11, v16, vcc
	v_addc_co_u32_e32 v11, vcc, 0, v21, vcc
	v_add_co_u32_e32 v9, vcc, v9, v20
	v_addc_co_u32_e32 v11, vcc, 0, v11, vcc
	v_mul_lo_u32 v13, s51, v9
	v_mul_lo_u32 v17, s50, v11
	v_mad_u64_u32 v[15:16], s[0:1], s50, v9, 0
	v_add3_u32 v13, v16, v17, v13
	v_sub_u32_e32 v16, v7, v13
	v_mov_b32_e32 v17, s51
	v_sub_co_u32_e32 v5, vcc, v5, v15
	v_subb_co_u32_e64 v15, s[0:1], v16, v17, vcc
	v_subrev_co_u32_e64 v16, s[0:1], s50, v5
	v_subbrev_co_u32_e64 v15, s[0:1], 0, v15, s[0:1]
	v_cmp_le_u32_e64 s[0:1], s51, v15
	v_cndmask_b32_e64 v17, 0, -1, s[0:1]
	v_cmp_le_u32_e64 s[0:1], s50, v16
	v_cndmask_b32_e64 v16, 0, -1, s[0:1]
	v_cmp_eq_u32_e64 s[0:1], s51, v15
	v_cndmask_b32_e64 v15, v17, v16, s[0:1]
	v_add_co_u32_e64 v16, s[0:1], 2, v9
	v_subb_co_u32_e32 v7, vcc, v7, v13, vcc
	v_addc_co_u32_e64 v17, s[0:1], 0, v11, s[0:1]
	v_cmp_le_u32_e32 vcc, s51, v7
	v_add_co_u32_e64 v20, s[0:1], 1, v9
	v_cndmask_b32_e64 v13, 0, -1, vcc
	v_cmp_le_u32_e32 vcc, s50, v5
	v_addc_co_u32_e64 v21, s[0:1], 0, v11, s[0:1]
	v_cndmask_b32_e64 v5, 0, -1, vcc
	v_cmp_eq_u32_e32 vcc, s51, v7
	v_cmp_ne_u32_e64 s[0:1], 0, v15
	v_cndmask_b32_e32 v5, v13, v5, vcc
	v_cmp_ne_u32_e32 vcc, 0, v5
	v_cndmask_b32_e64 v7, v20, v16, s[0:1]
	v_cndmask_b32_e64 v15, v21, v17, s[0:1]
	v_cndmask_b32_e32 v7, v9, v7, vcc
	v_cndmask_b32_e32 v5, v11, v15, vcc
	v_xor_b32_e32 v7, v7, v3
	v_xor_b32_e32 v5, v5, v3
	v_sub_co_u32_e32 v16, vcc, v7, v3
	v_subb_co_u32_e32 v17, vcc, v5, v3, vcc
.LBB69_35:                              ;   in Loop: Header=BB69_21 Depth=2
	s_andn2_saveexec_b64 s[0:1], s[46:47]
	s_cbranch_execz .LBB69_37
; %bb.36:                               ;   in Loop: Header=BB69_21 Depth=2
	v_cvt_f32_u32_e32 v3, s69
	s_sub_i32 s46, 0, s69
	v_mov_b32_e32 v17, v2
	v_rcp_iflag_f32_e32 v3, v3
	v_mul_f32_e32 v3, 0x4f7ffffe, v3
	v_cvt_u32_f32_e32 v3, v3
	v_mul_lo_u32 v5, s46, v3
	v_mul_hi_u32 v5, v3, v5
	v_add_u32_e32 v3, v3, v5
	v_mul_hi_u32 v3, v14, v3
	v_mul_lo_u32 v5, v3, s69
	v_add_u32_e32 v7, 1, v3
	v_sub_u32_e32 v5, v14, v5
	v_subrev_u32_e32 v9, s69, v5
	v_cmp_le_u32_e32 vcc, s69, v5
	v_cndmask_b32_e32 v5, v5, v9, vcc
	v_cndmask_b32_e32 v3, v3, v7, vcc
	v_add_u32_e32 v7, 1, v3
	v_cmp_le_u32_e32 vcc, s69, v5
	v_cndmask_b32_e32 v16, v3, v7, vcc
.LBB69_37:                              ;   in Loop: Header=BB69_21 Depth=2
	s_or_b64 exec, exec, s[0:1]
	v_mul_lo_u32 v3, v10, s61
	v_mul_lo_u32 v5, v12, s64
	;; [unrolled: 1-line block ×3, first 2 shown]
	s_add_u32 s0, s4, s42
	v_sub_u32_e32 v3, v8, v3
	v_sub_u32_e32 v5, v10, v5
	v_mul_lo_u32 v7, s63, v3
	v_mul_lo_u32 v8, s67, v5
	s_addc_u32 s1, s5, s43
	s_load_dword s44, s[44:45], 0x6c
	v_mul_lo_u32 v3, s62, v3
	v_add3_u32 v6, v7, v6, v8
	v_sub_u32_e32 v7, v12, v9
	v_mul_lo_u32 v9, v16, s69
	s_load_dword s0, s[0:1], 0x6c
	v_mul_lo_u32 v5, s65, v5
	v_mul_lo_u32 v8, s70, v7
	v_sub_u32_e32 v9, v14, v9
	s_waitcnt lgkmcnt(0)
	v_mul_lo_u32 v10, s44, v9
	v_add3_u32 v3, v3, v4, v5
	v_mul_lo_u32 v4, s68, v7
	v_mul_lo_u32 v5, s0, v9
	s_add_i32 s20, s20, -4
	v_add3_u32 v6, v8, v6, v10
	s_cmp_eq_u32 s20, -1
	v_add3_u32 v4, v4, v3, v5
	s_cbranch_scc1 .LBB69_39
; %bb.38:                               ;   in Loop: Header=BB69_21 Depth=2
	v_mov_b32_e32 v8, v16
	v_mov_b32_e32 v9, v17
	s_branch .LBB69_21
.LBB69_39:                              ;   in Loop: Header=BB69_3 Depth=1
	v_sub_u32_e32 v5, v18, v19
	v_add_u32_e32 v7, 4, v5
	v_ashrrev_i32_e32 v8, 31, v7
	v_cmp_le_i64_e32 vcc, s[8:9], v[7:8]
	v_mov_b32_e32 v7, 0
	v_mov_b32_e32 v3, 0
	s_and_saveexec_b64 s[42:43], vcc
	s_cbranch_execz .LBB69_49
; %bb.40:                               ;   in Loop: Header=BB69_3 Depth=1
	v_cmp_gt_i32_e32 vcc, s7, v18
	v_mov_b32_e32 v3, 0
	v_mov_b32_e32 v9, 0
	s_and_saveexec_b64 s[0:1], vcc
	s_cbranch_execz .LBB69_48
; %bb.41:                               ;   in Loop: Header=BB69_3 Depth=1
	v_ashrrev_i32_e32 v7, 31, v6
	v_lshlrev_b64 v[7:8], 1, v[6:7]
	v_mov_b32_e32 v3, s3
	v_add_co_u32_e32 v7, vcc, s2, v7
	v_addc_co_u32_e32 v8, vcc, v3, v8, vcc
	global_load_ushort v3, v[7:8], off
	v_add_u32_e32 v9, 1, v18
	v_cmp_gt_i32_e32 vcc, s7, v9
	v_mov_b32_e32 v9, 0
	s_waitcnt vmcnt(0)
	v_and_b32_e32 v3, 0xffff, v3
	s_and_saveexec_b64 s[44:45], vcc
	s_xor_b64 s[44:45], exec, s[44:45]
	s_cbranch_execz .LBB69_47
; %bb.42:                               ;   in Loop: Header=BB69_3 Depth=1
	s_lshl_b64 s[46:47], s[36:37], 1
	v_mov_b32_e32 v9, s47
	v_add_co_u32_e32 v7, vcc, s46, v7
	v_addc_co_u32_e32 v8, vcc, v8, v9, vcc
	global_load_ushort v7, v[7:8], off
	v_add_u32_e32 v8, 2, v18
	v_mov_b32_e32 v9, 0
	v_cmp_gt_i32_e32 vcc, s7, v8
	s_waitcnt vmcnt(0)
	v_perm_b32 v3, v7, v3, s60
	s_and_saveexec_b64 s[46:47], vcc
	s_xor_b64 s[46:47], exec, s[46:47]
	s_cbranch_execz .LBB69_46
; %bb.43:                               ;   in Loop: Header=BB69_3 Depth=1
	v_add_u32_e32 v6, s15, v6
	v_ashrrev_i32_e32 v7, 31, v6
	v_lshlrev_b64 v[7:8], 1, v[6:7]
	v_mov_b32_e32 v9, s3
	v_add_co_u32_e32 v7, vcc, s2, v7
	v_addc_co_u32_e32 v8, vcc, v9, v8, vcc
	global_load_ushort v7, v[7:8], off
	v_add_u32_e32 v8, 3, v18
	v_cmp_gt_i32_e32 vcc, s7, v8
	s_waitcnt vmcnt(0)
	v_bfi_b32 v9, s33, v7, 0
	s_and_saveexec_b64 s[48:49], vcc
	s_xor_b64 s[48:49], exec, s[48:49]
	s_cbranch_execz .LBB69_45
; %bb.44:                               ;   in Loop: Header=BB69_3 Depth=1
	v_add_u32_e32 v6, s36, v6
	v_ashrrev_i32_e32 v7, 31, v6
	v_lshlrev_b64 v[6:7], 1, v[6:7]
	v_mov_b32_e32 v8, s3
	v_add_co_u32_e32 v6, vcc, s2, v6
	v_addc_co_u32_e32 v7, vcc, v8, v7, vcc
	global_load_ushort v6, v[6:7], off
	s_waitcnt vmcnt(0)
	v_perm_b32 v9, v6, v9, s60
.LBB69_45:                              ;   in Loop: Header=BB69_3 Depth=1
	s_or_b64 exec, exec, s[48:49]
.LBB69_46:                              ;   in Loop: Header=BB69_3 Depth=1
	s_or_b64 exec, exec, s[46:47]
.LBB69_47:                              ;   in Loop: Header=BB69_3 Depth=1
	s_or_b64 exec, exec, s[44:45]
.LBB69_48:                              ;   in Loop: Header=BB69_3 Depth=1
	s_or_b64 exec, exec, s[0:1]
	v_add_u32_e32 v10, 2, v5
	v_add_u32_e32 v12, 3, v5
	v_ashrrev_i32_e32 v13, 31, v12
	v_ashrrev_i32_e32 v11, 31, v10
	v_add_u32_e32 v7, 1, v5
	v_cmp_le_i64_e32 vcc, s[34:35], v[12:13]
	v_cmp_le_i64_e64 s[0:1], s[30:31], v[10:11]
	v_ashrrev_i32_e32 v8, 31, v7
	v_ashrrev_i32_e32 v6, 31, v5
	v_cndmask_b32_e64 v10, 0, v9, s[0:1]
	v_cndmask_b32_sdwa v9, v2, v9, vcc dst_sel:DWORD dst_unused:UNUSED_PAD src0_sel:DWORD src1_sel:WORD_1
	v_cmp_le_i64_e32 vcc, s[28:29], v[7:8]
	v_cmp_le_i64_e64 s[0:1], s[26:27], v[5:6]
	v_perm_b32 v7, v9, v10, s60
	v_cndmask_b32_e64 v5, 0, v3, s[0:1]
	v_cndmask_b32_sdwa v3, v2, v3, vcc dst_sel:DWORD dst_unused:UNUSED_PAD src0_sel:DWORD src1_sel:WORD_1
	v_perm_b32 v3, v3, v5, s60
.LBB69_49:                              ;   in Loop: Header=BB69_3 Depth=1
	s_or_b64 exec, exec, s[42:43]
	v_cmp_gt_i32_e32 vcc, s7, v18
	s_and_saveexec_b64 s[0:1], vcc
	s_cbranch_execz .LBB69_2
; %bb.50:                               ;   in Loop: Header=BB69_3 Depth=1
	v_ashrrev_i32_e32 v5, 31, v4
	v_lshlrev_b64 v[5:6], 1, v[4:5]
	v_mov_b32_e32 v8, s19
	v_add_co_u32_e32 v5, vcc, s18, v5
	v_addc_co_u32_e32 v6, vcc, v8, v6, vcc
	v_add_u32_e32 v8, 1, v18
	v_cmp_gt_i32_e32 vcc, s7, v8
	global_store_short v[5:6], v3, off
	s_and_saveexec_b64 s[42:43], vcc
	s_xor_b64 s[42:43], exec, s[42:43]
	s_cbranch_execz .LBB69_2
; %bb.51:                               ;   in Loop: Header=BB69_3 Depth=1
	s_lshl_b64 s[42:43], s[38:39], 1
	v_mov_b32_e32 v8, s43
	v_add_co_u32_e32 v5, vcc, s42, v5
	v_addc_co_u32_e32 v6, vcc, v6, v8, vcc
	global_store_short_d16_hi v[5:6], v3, off
	v_add_u32_e32 v3, 2, v18
	v_cmp_gt_i32_e32 vcc, s7, v3
	s_and_saveexec_b64 s[42:43], vcc
	s_xor_b64 s[42:43], exec, s[42:43]
	s_cbranch_execz .LBB69_2
; %bb.52:                               ;   in Loop: Header=BB69_3 Depth=1
	v_add_u32_e32 v3, s17, v4
	v_ashrrev_i32_e32 v4, 31, v3
	v_lshlrev_b64 v[4:5], 1, v[3:4]
	v_mov_b32_e32 v6, s19
	v_add_co_u32_e32 v4, vcc, s18, v4
	v_addc_co_u32_e32 v5, vcc, v6, v5, vcc
	global_store_short v[4:5], v7, off
	v_add_u32_e32 v4, 3, v18
	v_cmp_gt_i32_e32 vcc, s7, v4
	s_and_saveexec_b64 s[42:43], vcc
	s_xor_b64 s[42:43], exec, s[42:43]
	s_cbranch_execz .LBB69_2
; %bb.53:                               ;   in Loop: Header=BB69_3 Depth=1
	v_add_u32_e32 v3, s38, v3
	v_ashrrev_i32_e32 v4, 31, v3
	v_lshlrev_b64 v[3:4], 1, v[3:4]
	v_mov_b32_e32 v5, s19
	v_add_co_u32_e32 v3, vcc, s18, v3
	v_addc_co_u32_e32 v4, vcc, v5, v4, vcc
	global_store_short_d16_hi v[3:4], v7, off
	s_branch .LBB69_2
.LBB69_54:
	s_endpgm
	.section	.rodata,"a",@progbits
	.p2align	6, 0x0
	.amdhsa_kernel _ZN2at6native16triu_tril_kernelIsiLb1ELi4ELb0EEEvNS_4cuda6detail10TensorInfoIT_T0_EENS4_IKS5_S6_EEllS6_
		.amdhsa_group_segment_fixed_size 0
		.amdhsa_private_segment_fixed_size 0
		.amdhsa_kernarg_size 712
		.amdhsa_user_sgpr_count 6
		.amdhsa_user_sgpr_private_segment_buffer 1
		.amdhsa_user_sgpr_dispatch_ptr 0
		.amdhsa_user_sgpr_queue_ptr 0
		.amdhsa_user_sgpr_kernarg_segment_ptr 1
		.amdhsa_user_sgpr_dispatch_id 0
		.amdhsa_user_sgpr_flat_scratch_init 0
		.amdhsa_user_sgpr_private_segment_size 0
		.amdhsa_uses_dynamic_stack 0
		.amdhsa_system_sgpr_private_segment_wavefront_offset 0
		.amdhsa_system_sgpr_workgroup_id_x 1
		.amdhsa_system_sgpr_workgroup_id_y 0
		.amdhsa_system_sgpr_workgroup_id_z 0
		.amdhsa_system_sgpr_workgroup_info 0
		.amdhsa_system_vgpr_workitem_id 0
		.amdhsa_next_free_vgpr 22
		.amdhsa_next_free_sgpr 78
		.amdhsa_reserve_vcc 1
		.amdhsa_reserve_flat_scratch 0
		.amdhsa_float_round_mode_32 0
		.amdhsa_float_round_mode_16_64 0
		.amdhsa_float_denorm_mode_32 3
		.amdhsa_float_denorm_mode_16_64 3
		.amdhsa_dx10_clamp 1
		.amdhsa_ieee_mode 1
		.amdhsa_fp16_overflow 0
		.amdhsa_exception_fp_ieee_invalid_op 0
		.amdhsa_exception_fp_denorm_src 0
		.amdhsa_exception_fp_ieee_div_zero 0
		.amdhsa_exception_fp_ieee_overflow 0
		.amdhsa_exception_fp_ieee_underflow 0
		.amdhsa_exception_fp_ieee_inexact 0
		.amdhsa_exception_int_div_zero 0
	.end_amdhsa_kernel
	.section	.text._ZN2at6native16triu_tril_kernelIsiLb1ELi4ELb0EEEvNS_4cuda6detail10TensorInfoIT_T0_EENS4_IKS5_S6_EEllS6_,"axG",@progbits,_ZN2at6native16triu_tril_kernelIsiLb1ELi4ELb0EEEvNS_4cuda6detail10TensorInfoIT_T0_EENS4_IKS5_S6_EEllS6_,comdat
.Lfunc_end69:
	.size	_ZN2at6native16triu_tril_kernelIsiLb1ELi4ELb0EEEvNS_4cuda6detail10TensorInfoIT_T0_EENS4_IKS5_S6_EEllS6_, .Lfunc_end69-_ZN2at6native16triu_tril_kernelIsiLb1ELi4ELb0EEEvNS_4cuda6detail10TensorInfoIT_T0_EENS4_IKS5_S6_EEllS6_
                                        ; -- End function
	.set _ZN2at6native16triu_tril_kernelIsiLb1ELi4ELb0EEEvNS_4cuda6detail10TensorInfoIT_T0_EENS4_IKS5_S6_EEllS6_.num_vgpr, 22
	.set _ZN2at6native16triu_tril_kernelIsiLb1ELi4ELb0EEEvNS_4cuda6detail10TensorInfoIT_T0_EENS4_IKS5_S6_EEllS6_.num_agpr, 0
	.set _ZN2at6native16triu_tril_kernelIsiLb1ELi4ELb0EEEvNS_4cuda6detail10TensorInfoIT_T0_EENS4_IKS5_S6_EEllS6_.numbered_sgpr, 78
	.set _ZN2at6native16triu_tril_kernelIsiLb1ELi4ELb0EEEvNS_4cuda6detail10TensorInfoIT_T0_EENS4_IKS5_S6_EEllS6_.num_named_barrier, 0
	.set _ZN2at6native16triu_tril_kernelIsiLb1ELi4ELb0EEEvNS_4cuda6detail10TensorInfoIT_T0_EENS4_IKS5_S6_EEllS6_.private_seg_size, 0
	.set _ZN2at6native16triu_tril_kernelIsiLb1ELi4ELb0EEEvNS_4cuda6detail10TensorInfoIT_T0_EENS4_IKS5_S6_EEllS6_.uses_vcc, 1
	.set _ZN2at6native16triu_tril_kernelIsiLb1ELi4ELb0EEEvNS_4cuda6detail10TensorInfoIT_T0_EENS4_IKS5_S6_EEllS6_.uses_flat_scratch, 0
	.set _ZN2at6native16triu_tril_kernelIsiLb1ELi4ELb0EEEvNS_4cuda6detail10TensorInfoIT_T0_EENS4_IKS5_S6_EEllS6_.has_dyn_sized_stack, 0
	.set _ZN2at6native16triu_tril_kernelIsiLb1ELi4ELb0EEEvNS_4cuda6detail10TensorInfoIT_T0_EENS4_IKS5_S6_EEllS6_.has_recursion, 0
	.set _ZN2at6native16triu_tril_kernelIsiLb1ELi4ELb0EEEvNS_4cuda6detail10TensorInfoIT_T0_EENS4_IKS5_S6_EEllS6_.has_indirect_call, 0
	.section	.AMDGPU.csdata,"",@progbits
; Kernel info:
; codeLenInByte = 6756
; TotalNumSgprs: 82
; NumVgprs: 22
; ScratchSize: 0
; MemoryBound: 0
; FloatMode: 240
; IeeeMode: 1
; LDSByteSize: 0 bytes/workgroup (compile time only)
; SGPRBlocks: 10
; VGPRBlocks: 5
; NumSGPRsForWavesPerEU: 82
; NumVGPRsForWavesPerEU: 22
; Occupancy: 9
; WaveLimiterHint : 1
; COMPUTE_PGM_RSRC2:SCRATCH_EN: 0
; COMPUTE_PGM_RSRC2:USER_SGPR: 6
; COMPUTE_PGM_RSRC2:TRAP_HANDLER: 0
; COMPUTE_PGM_RSRC2:TGID_X_EN: 1
; COMPUTE_PGM_RSRC2:TGID_Y_EN: 0
; COMPUTE_PGM_RSRC2:TGID_Z_EN: 0
; COMPUTE_PGM_RSRC2:TIDIG_COMP_CNT: 0
	.section	.text._ZN2at6native16triu_tril_kernelIslLb1ELi4ELb1EEEvNS_4cuda6detail10TensorInfoIT_T0_EENS4_IKS5_S6_EEllS6_,"axG",@progbits,_ZN2at6native16triu_tril_kernelIslLb1ELi4ELb1EEEvNS_4cuda6detail10TensorInfoIT_T0_EENS4_IKS5_S6_EEllS6_,comdat
	.protected	_ZN2at6native16triu_tril_kernelIslLb1ELi4ELb1EEEvNS_4cuda6detail10TensorInfoIT_T0_EENS4_IKS5_S6_EEllS6_ ; -- Begin function _ZN2at6native16triu_tril_kernelIslLb1ELi4ELb1EEEvNS_4cuda6detail10TensorInfoIT_T0_EENS4_IKS5_S6_EEllS6_
	.globl	_ZN2at6native16triu_tril_kernelIslLb1ELi4ELb1EEEvNS_4cuda6detail10TensorInfoIT_T0_EENS4_IKS5_S6_EEllS6_
	.p2align	8
	.type	_ZN2at6native16triu_tril_kernelIslLb1ELi4ELb1EEEvNS_4cuda6detail10TensorInfoIT_T0_EENS4_IKS5_S6_EEllS6_,@function
_ZN2at6native16triu_tril_kernelIslLb1ELi4ELb1EEEvNS_4cuda6detail10TensorInfoIT_T0_EENS4_IKS5_S6_EEllS6_: ; @_ZN2at6native16triu_tril_kernelIslLb1ELi4ELb1EEEvNS_4cuda6detail10TensorInfoIT_T0_EENS4_IKS5_S6_EEllS6_
; %bb.0:
	s_load_dword s2, s[4:5], 0x364
	s_load_dwordx4 s[8:11], s[4:5], 0x340
	s_add_u32 s0, s4, 0x358
	v_mov_b32_e32 v2, 0
	s_addc_u32 s1, s5, 0
	s_waitcnt lgkmcnt(0)
	s_and_b32 s2, s2, 0xffff
	v_mov_b32_e32 v1, v2
	v_mov_b32_e32 v3, s6
	v_mad_u64_u32 v[0:1], s[6:7], s2, v3, v[0:1]
	v_lshlrev_b64 v[0:1], 2, v[0:1]
	v_cmp_gt_i64_e32 vcc, s[10:11], v[0:1]
	s_and_saveexec_b64 s[6:7], vcc
	s_cbranch_execz .LBB70_47
; %bb.1:
	s_load_dword s1, s[0:1], 0x0
	s_add_u32 s34, s4, 0x1a0
	s_load_dword s0, s[4:5], 0x338
	s_addc_u32 s35, s5, 0
	s_load_dwordx2 s[6:7], s[4:5], 0x350
	s_load_dwordx2 s[12:13], s[4:5], 0x0
	s_waitcnt lgkmcnt(0)
	s_mul_i32 s24, s1, s2
	s_mov_b32 s25, 0
	s_add_i32 s2, s0, -2
	s_ashr_i32 s3, s2, 31
	s_ashr_i32 s1, s0, 31
	s_lshl_b64 s[16:17], s[2:3], 3
	s_add_u32 s16, s34, s16
	s_addc_u32 s17, s35, s17
	s_lshl_b64 s[22:23], s[0:1], 3
	s_add_u32 s18, s4, s22
	s_addc_u32 s19, s5, s23
	s_add_i32 s20, s0, -3
	s_ashr_i32 s21, s20, 31
	s_add_u32 s22, s34, s22
	v_cmp_gt_i64_e64 s[14:15], s[0:1], 2
	s_addc_u32 s23, s35, s23
	s_lshl_b32 s33, s24, 2
	s_and_b32 s24, s2, 3
	s_and_b32 s0, s20, 3
	s_cmp_lg_u32 s0, 3
	s_cselect_b64 s[26:27], -1, 0
	s_cmp_gt_u32 s20, 2
	s_cselect_b64 s[28:29], -1, 0
	s_lshl_b64 s[0:1], s[20:21], 3
	s_add_u32 s2, s4, s0
	s_addc_u32 s3, s5, s1
	s_add_u32 s30, s2, 0xd0
	s_addc_u32 s31, s3, 0
	;; [unrolled: 2-line block ×3, first 2 shown]
	s_add_u32 s34, s0, 8
	s_load_dwordx2 s[16:17], s[16:17], 0x8
	s_addc_u32 s35, s1, 0
	s_add_u32 s64, s4, 0xb8
	s_addc_u32 s65, s5, 0
	s_add_u32 s66, s4, 0x190
	s_addc_u32 s67, s5, 0
	s_mov_b64 s[4:5], 0
	s_branch .LBB70_3
.LBB70_2:                               ;   in Loop: Header=BB70_3 Depth=1
	s_or_b64 exec, exec, s[36:37]
	v_add_co_u32_e32 v0, vcc, s33, v0
	v_addc_co_u32_e32 v1, vcc, 0, v1, vcc
	v_cmp_le_i64_e32 vcc, s[10:11], v[0:1]
	s_or_b64 s[4:5], vcc, s[4:5]
	s_andn2_b64 exec, exec, s[4:5]
	s_cbranch_execz .LBB70_47
.LBB70_3:                               ; =>This Loop Header: Depth=1
                                        ;     Child Loop BB70_17 Depth 2
                                        ;     Child Loop BB70_22 Depth 2
	v_or_b32_e32 v3, s7, v1
	v_cmp_ne_u64_e32 vcc, 0, v[2:3]
                                        ; implicit-def: $vgpr6_vgpr7
	s_and_saveexec_b64 s[0:1], vcc
	s_xor_b64 s[2:3], exec, s[0:1]
	s_cbranch_execz .LBB70_5
; %bb.4:                                ;   in Loop: Header=BB70_3 Depth=1
	s_ashr_i32 s36, s7, 31
	s_add_u32 s0, s6, s36
	s_mov_b32 s37, s36
	s_addc_u32 s1, s7, s36
	s_xor_b64 s[38:39], s[0:1], s[36:37]
	v_cvt_f32_u32_e32 v3, s38
	v_cvt_f32_u32_e32 v4, s39
	s_sub_u32 s37, 0, s38
	s_subb_u32 s40, 0, s39
	v_ashrrev_i32_e32 v7, 31, v1
	v_mac_f32_e32 v3, 0x4f800000, v4
	v_rcp_f32_e32 v3, v3
	v_mul_f32_e32 v3, 0x5f7ffffc, v3
	v_mul_f32_e32 v4, 0x2f800000, v3
	v_trunc_f32_e32 v4, v4
	v_mac_f32_e32 v3, 0xcf800000, v4
	v_cvt_u32_f32_e32 v4, v4
	v_cvt_u32_f32_e32 v3, v3
	v_readfirstlane_b32 s41, v4
	v_readfirstlane_b32 s0, v3
	s_mul_i32 s1, s37, s41
	s_mul_hi_u32 s43, s37, s0
	s_mul_i32 s42, s40, s0
	s_add_i32 s1, s43, s1
	s_add_i32 s1, s1, s42
	s_mul_i32 s44, s37, s0
	s_mul_i32 s43, s0, s1
	s_mul_hi_u32 s45, s0, s44
	s_mul_hi_u32 s42, s0, s1
	s_add_u32 s43, s45, s43
	s_addc_u32 s42, 0, s42
	s_mul_hi_u32 s46, s41, s44
	s_mul_i32 s44, s41, s44
	s_add_u32 s43, s43, s44
	s_mul_hi_u32 s45, s41, s1
	s_addc_u32 s42, s42, s46
	s_addc_u32 s43, s45, 0
	s_mul_i32 s1, s41, s1
	s_add_u32 s1, s42, s1
	s_addc_u32 s42, 0, s43
	s_add_u32 s43, s0, s1
	s_cselect_b64 s[0:1], -1, 0
	s_cmp_lg_u64 s[0:1], 0
	s_addc_u32 s41, s41, s42
	s_mul_i32 s0, s37, s41
	s_mul_hi_u32 s1, s37, s43
	s_add_i32 s0, s1, s0
	s_mul_i32 s40, s40, s43
	s_add_i32 s0, s0, s40
	s_mul_i32 s37, s37, s43
	s_mul_hi_u32 s40, s41, s37
	s_mul_i32 s42, s41, s37
	s_mul_i32 s45, s43, s0
	s_mul_hi_u32 s37, s43, s37
	s_mul_hi_u32 s44, s43, s0
	s_add_u32 s37, s37, s45
	s_addc_u32 s44, 0, s44
	s_add_u32 s37, s37, s42
	s_mul_hi_u32 s1, s41, s0
	s_addc_u32 s37, s44, s40
	s_addc_u32 s1, s1, 0
	s_mul_i32 s0, s41, s0
	s_add_u32 s0, s37, s0
	s_addc_u32 s37, 0, s1
	s_add_u32 s40, s43, s0
	s_cselect_b64 s[0:1], -1, 0
	s_cmp_lg_u64 s[0:1], 0
	v_add_co_u32_e32 v3, vcc, v0, v7
	s_addc_u32 s37, s41, s37
	v_xor_b32_e32 v8, v3, v7
	v_mad_u64_u32 v[3:4], s[0:1], v8, s37, 0
	v_mul_hi_u32 v6, v8, s40
	v_addc_co_u32_e32 v5, vcc, v1, v7, vcc
	v_xor_b32_e32 v9, v5, v7
	v_add_co_u32_e32 v10, vcc, v6, v3
	v_addc_co_u32_e32 v11, vcc, 0, v4, vcc
	v_mad_u64_u32 v[3:4], s[0:1], v9, s40, 0
	v_mad_u64_u32 v[5:6], s[0:1], v9, s37, 0
	v_add_co_u32_e32 v3, vcc, v10, v3
	v_addc_co_u32_e32 v3, vcc, v11, v4, vcc
	v_addc_co_u32_e32 v4, vcc, 0, v6, vcc
	v_add_co_u32_e32 v5, vcc, v3, v5
	v_addc_co_u32_e32 v6, vcc, 0, v4, vcc
	v_mul_lo_u32 v10, s39, v5
	v_mul_lo_u32 v11, s38, v6
	v_mad_u64_u32 v[3:4], s[0:1], s38, v5, 0
	v_add3_u32 v4, v4, v11, v10
	v_sub_u32_e32 v10, v9, v4
	v_mov_b32_e32 v11, s39
	v_sub_co_u32_e32 v3, vcc, v8, v3
	v_subb_co_u32_e64 v8, s[0:1], v10, v11, vcc
	v_subrev_co_u32_e64 v10, s[0:1], s38, v3
	v_subbrev_co_u32_e64 v8, s[0:1], 0, v8, s[0:1]
	v_cmp_le_u32_e64 s[0:1], s39, v8
	v_cndmask_b32_e64 v11, 0, -1, s[0:1]
	v_cmp_le_u32_e64 s[0:1], s38, v10
	v_cndmask_b32_e64 v10, 0, -1, s[0:1]
	v_cmp_eq_u32_e64 s[0:1], s39, v8
	v_cndmask_b32_e64 v8, v11, v10, s[0:1]
	v_add_co_u32_e64 v10, s[0:1], 2, v5
	v_subb_co_u32_e32 v4, vcc, v9, v4, vcc
	v_addc_co_u32_e64 v11, s[0:1], 0, v6, s[0:1]
	v_cmp_le_u32_e32 vcc, s39, v4
	v_add_co_u32_e64 v12, s[0:1], 1, v5
	v_cndmask_b32_e64 v9, 0, -1, vcc
	v_cmp_le_u32_e32 vcc, s38, v3
	v_addc_co_u32_e64 v13, s[0:1], 0, v6, s[0:1]
	v_cndmask_b32_e64 v3, 0, -1, vcc
	v_cmp_eq_u32_e32 vcc, s39, v4
	v_cmp_ne_u32_e64 s[0:1], 0, v8
	v_cndmask_b32_e32 v3, v9, v3, vcc
	v_cmp_ne_u32_e32 vcc, 0, v3
	v_cndmask_b32_e64 v4, v12, v10, s[0:1]
	v_cndmask_b32_e64 v8, v13, v11, s[0:1]
	v_cndmask_b32_e32 v4, v5, v4, vcc
	v_xor_b32_e32 v5, s36, v7
	v_cndmask_b32_e32 v3, v6, v8, vcc
	v_xor_b32_e32 v4, v4, v5
	v_xor_b32_e32 v3, v3, v5
	v_sub_co_u32_e32 v6, vcc, v4, v5
	v_subb_co_u32_e32 v7, vcc, v3, v5, vcc
.LBB70_5:                               ;   in Loop: Header=BB70_3 Depth=1
	s_andn2_saveexec_b64 s[0:1], s[2:3]
	s_cbranch_execz .LBB70_7
; %bb.6:                                ;   in Loop: Header=BB70_3 Depth=1
	v_cvt_f32_u32_e32 v3, s6
	s_sub_i32 s2, 0, s6
	v_mov_b32_e32 v7, v2
	v_rcp_iflag_f32_e32 v3, v3
	v_mul_f32_e32 v3, 0x4f7ffffe, v3
	v_cvt_u32_f32_e32 v3, v3
	v_mul_lo_u32 v4, s2, v3
	v_mul_hi_u32 v4, v3, v4
	v_add_u32_e32 v3, v3, v4
	v_mul_hi_u32 v3, v0, v3
	v_mul_lo_u32 v4, v3, s6
	v_add_u32_e32 v5, 1, v3
	v_sub_u32_e32 v4, v0, v4
	v_subrev_u32_e32 v6, s6, v4
	v_cmp_le_u32_e32 vcc, s6, v4
	v_cndmask_b32_e32 v4, v4, v6, vcc
	v_cndmask_b32_e32 v3, v3, v5, vcc
	v_add_u32_e32 v5, 1, v3
	v_cmp_le_u32_e32 vcc, s6, v4
	v_cndmask_b32_e32 v6, v3, v5, vcc
.LBB70_7:                               ;   in Loop: Header=BB70_3 Depth=1
	s_or_b64 exec, exec, s[0:1]
	s_waitcnt lgkmcnt(0)
	v_or_b32_e32 v3, s17, v7
	v_cmp_ne_u64_e32 vcc, 0, v[2:3]
                                        ; implicit-def: $vgpr8_vgpr9
	s_and_saveexec_b64 s[0:1], vcc
	s_xor_b64 s[2:3], exec, s[0:1]
	s_cbranch_execz .LBB70_9
; %bb.8:                                ;   in Loop: Header=BB70_3 Depth=1
	s_ashr_i32 s36, s17, 31
	s_add_u32 s0, s16, s36
	s_mov_b32 s37, s36
	s_addc_u32 s1, s17, s36
	s_xor_b64 s[38:39], s[0:1], s[36:37]
	v_cvt_f32_u32_e32 v3, s38
	v_cvt_f32_u32_e32 v4, s39
	s_sub_u32 s37, 0, s38
	s_subb_u32 s40, 0, s39
	v_ashrrev_i32_e32 v5, 31, v7
	v_mac_f32_e32 v3, 0x4f800000, v4
	v_rcp_f32_e32 v3, v3
	v_mul_f32_e32 v3, 0x5f7ffffc, v3
	v_mul_f32_e32 v4, 0x2f800000, v3
	v_trunc_f32_e32 v4, v4
	v_mac_f32_e32 v3, 0xcf800000, v4
	v_cvt_u32_f32_e32 v4, v4
	v_cvt_u32_f32_e32 v3, v3
	v_readfirstlane_b32 s41, v4
	v_readfirstlane_b32 s0, v3
	s_mul_i32 s1, s37, s41
	s_mul_hi_u32 s43, s37, s0
	s_mul_i32 s42, s40, s0
	s_add_i32 s1, s43, s1
	s_add_i32 s1, s1, s42
	s_mul_i32 s44, s37, s0
	s_mul_i32 s43, s0, s1
	s_mul_hi_u32 s45, s0, s44
	s_mul_hi_u32 s42, s0, s1
	s_add_u32 s43, s45, s43
	s_addc_u32 s42, 0, s42
	s_mul_hi_u32 s46, s41, s44
	s_mul_i32 s44, s41, s44
	s_add_u32 s43, s43, s44
	s_mul_hi_u32 s45, s41, s1
	s_addc_u32 s42, s42, s46
	s_addc_u32 s43, s45, 0
	s_mul_i32 s1, s41, s1
	s_add_u32 s1, s42, s1
	s_addc_u32 s42, 0, s43
	s_add_u32 s43, s0, s1
	s_cselect_b64 s[0:1], -1, 0
	s_cmp_lg_u64 s[0:1], 0
	s_addc_u32 s41, s41, s42
	s_mul_i32 s0, s37, s41
	s_mul_hi_u32 s1, s37, s43
	s_add_i32 s0, s1, s0
	s_mul_i32 s40, s40, s43
	s_add_i32 s0, s0, s40
	s_mul_i32 s37, s37, s43
	s_mul_hi_u32 s40, s41, s37
	s_mul_i32 s42, s41, s37
	s_mul_i32 s45, s43, s0
	s_mul_hi_u32 s37, s43, s37
	s_mul_hi_u32 s44, s43, s0
	s_add_u32 s37, s37, s45
	s_addc_u32 s44, 0, s44
	s_add_u32 s37, s37, s42
	s_mul_hi_u32 s1, s41, s0
	s_addc_u32 s37, s44, s40
	s_addc_u32 s1, s1, 0
	s_mul_i32 s0, s41, s0
	s_add_u32 s0, s37, s0
	s_addc_u32 s37, 0, s1
	s_add_u32 s40, s43, s0
	s_cselect_b64 s[0:1], -1, 0
	s_cmp_lg_u64 s[0:1], 0
	v_add_co_u32_e32 v3, vcc, v6, v5
	s_addc_u32 s37, s41, s37
	v_xor_b32_e32 v10, v3, v5
	v_mad_u64_u32 v[3:4], s[0:1], v10, s37, 0
	v_mul_hi_u32 v9, v10, s40
	v_addc_co_u32_e32 v8, vcc, v7, v5, vcc
	v_xor_b32_e32 v11, v8, v5
	v_add_co_u32_e32 v12, vcc, v9, v3
	v_addc_co_u32_e32 v13, vcc, 0, v4, vcc
	v_mad_u64_u32 v[3:4], s[0:1], v11, s40, 0
	v_mad_u64_u32 v[8:9], s[0:1], v11, s37, 0
	v_add_co_u32_e32 v3, vcc, v12, v3
	v_addc_co_u32_e32 v3, vcc, v13, v4, vcc
	v_addc_co_u32_e32 v4, vcc, 0, v9, vcc
	v_add_co_u32_e32 v8, vcc, v3, v8
	v_addc_co_u32_e32 v9, vcc, 0, v4, vcc
	v_mul_lo_u32 v12, s39, v8
	v_mul_lo_u32 v13, s38, v9
	v_mad_u64_u32 v[3:4], s[0:1], s38, v8, 0
	v_xor_b32_e32 v5, s36, v5
	v_add3_u32 v4, v4, v13, v12
	v_sub_u32_e32 v12, v11, v4
	v_mov_b32_e32 v13, s39
	v_sub_co_u32_e32 v3, vcc, v10, v3
	v_subb_co_u32_e64 v10, s[0:1], v12, v13, vcc
	v_subrev_co_u32_e64 v12, s[0:1], s38, v3
	v_subbrev_co_u32_e64 v10, s[0:1], 0, v10, s[0:1]
	v_cmp_le_u32_e64 s[0:1], s39, v10
	v_cndmask_b32_e64 v13, 0, -1, s[0:1]
	v_cmp_le_u32_e64 s[0:1], s38, v12
	v_cndmask_b32_e64 v12, 0, -1, s[0:1]
	v_cmp_eq_u32_e64 s[0:1], s39, v10
	v_cndmask_b32_e64 v10, v13, v12, s[0:1]
	v_add_co_u32_e64 v12, s[0:1], 2, v8
	v_subb_co_u32_e32 v4, vcc, v11, v4, vcc
	v_addc_co_u32_e64 v13, s[0:1], 0, v9, s[0:1]
	v_cmp_le_u32_e32 vcc, s39, v4
	v_add_co_u32_e64 v14, s[0:1], 1, v8
	v_cndmask_b32_e64 v11, 0, -1, vcc
	v_cmp_le_u32_e32 vcc, s38, v3
	v_addc_co_u32_e64 v15, s[0:1], 0, v9, s[0:1]
	v_cndmask_b32_e64 v3, 0, -1, vcc
	v_cmp_eq_u32_e32 vcc, s39, v4
	v_cmp_ne_u32_e64 s[0:1], 0, v10
	v_cndmask_b32_e32 v3, v11, v3, vcc
	v_cmp_ne_u32_e32 vcc, 0, v3
	v_cndmask_b32_e64 v4, v14, v12, s[0:1]
	v_cndmask_b32_e64 v10, v15, v13, s[0:1]
	v_cndmask_b32_e32 v4, v8, v4, vcc
	v_cndmask_b32_e32 v3, v9, v10, vcc
	v_xor_b32_e32 v4, v4, v5
	v_xor_b32_e32 v3, v3, v5
	v_sub_co_u32_e32 v8, vcc, v4, v5
	v_subb_co_u32_e32 v9, vcc, v3, v5, vcc
.LBB70_9:                               ;   in Loop: Header=BB70_3 Depth=1
	s_andn2_saveexec_b64 s[0:1], s[2:3]
	s_cbranch_execz .LBB70_11
; %bb.10:                               ;   in Loop: Header=BB70_3 Depth=1
	v_cvt_f32_u32_e32 v3, s16
	s_sub_i32 s2, 0, s16
	v_mov_b32_e32 v9, v2
	v_rcp_iflag_f32_e32 v3, v3
	v_mul_f32_e32 v3, 0x4f7ffffe, v3
	v_cvt_u32_f32_e32 v3, v3
	v_mul_lo_u32 v4, s2, v3
	v_mul_hi_u32 v4, v3, v4
	v_add_u32_e32 v3, v3, v4
	v_mul_hi_u32 v3, v6, v3
	v_mul_lo_u32 v4, v3, s16
	v_add_u32_e32 v5, 1, v3
	v_sub_u32_e32 v4, v6, v4
	v_subrev_u32_e32 v8, s16, v4
	v_cmp_le_u32_e32 vcc, s16, v4
	v_cndmask_b32_e32 v4, v4, v8, vcc
	v_cndmask_b32_e32 v3, v3, v5, vcc
	v_add_u32_e32 v5, 1, v3
	v_cmp_le_u32_e32 vcc, s16, v4
	v_cndmask_b32_e32 v8, v3, v5, vcc
.LBB70_11:                              ;   in Loop: Header=BB70_3 Depth=1
	s_or_b64 exec, exec, s[0:1]
	v_mul_lo_u32 v5, v7, s6
	v_mul_lo_u32 v10, v6, s7
	v_mad_u64_u32 v[3:4], s[0:1], v6, s6, 0
	v_mul_lo_u32 v12, v9, s16
	v_mul_lo_u32 v13, v8, s17
	v_add3_u32 v5, v4, v10, v5
	v_mad_u64_u32 v[10:11], s[0:1], v8, s16, 0
	v_sub_co_u32_e32 v4, vcc, v0, v3
	v_subb_co_u32_e32 v5, vcc, v1, v5, vcc
	v_add3_u32 v3, v11, v13, v12
	v_sub_co_u32_e32 v18, vcc, v6, v10
	v_subb_co_u32_e32 v19, vcc, v7, v3, vcc
	v_sub_co_u32_e32 v6, vcc, v4, v18
	v_subb_co_u32_e32 v7, vcc, v5, v19, vcc
	v_cmp_gt_i64_e32 vcc, s[8:9], v[6:7]
	s_and_saveexec_b64 s[36:37], vcc
	s_cbranch_execz .LBB70_2
; %bb.12:                               ;   in Loop: Header=BB70_3 Depth=1
	s_load_dwordx4 s[0:3], s[18:19], 0xc0
	s_andn2_b64 vcc, exec, s[14:15]
	s_waitcnt lgkmcnt(0)
	v_mul_lo_u32 v3, s3, v4
	v_mul_lo_u32 v10, s2, v5
	v_mad_u64_u32 v[6:7], s[38:39], s2, v4, 0
	v_mul_lo_u32 v11, s0, v19
	v_add3_u32 v7, v7, v10, v3
	v_mad_u64_u32 v[6:7], s[38:39], s0, v18, v[6:7]
	v_mul_lo_u32 v3, s1, v18
	v_add3_u32 v7, v3, v7, v11
	s_cbranch_vccnz .LBB70_38
; %bb.13:                               ;   in Loop: Header=BB70_3 Depth=1
	s_andn2_b64 vcc, exec, s[26:27]
	s_mov_b64 s[38:39], s[24:25]
	s_mov_b64 s[40:41], s[34:35]
	s_mov_b64 s[44:45], s[30:31]
	s_mov_b64 s[42:43], s[20:21]
	s_cbranch_vccz .LBB70_17
.LBB70_14:                              ;   in Loop: Header=BB70_3 Depth=1
	s_andn2_b64 vcc, exec, s[28:29]
	s_cbranch_vccnz .LBB70_38
; %bb.15:                               ;   in Loop: Header=BB70_3 Depth=1
	s_lshl_b64 s[0:1], s[42:43], 3
	s_add_u32 s38, s64, s0
	s_addc_u32 s39, s65, s1
	s_add_u32 s40, s66, s0
	s_addc_u32 s41, s67, s1
	;; [unrolled: 2-line block ×3, first 2 shown]
	s_branch .LBB70_22
.LBB70_16:                              ;   in Loop: Header=BB70_17 Depth=2
	s_or_b64 exec, exec, s[0:1]
	v_mul_lo_u32 v3, v11, s46
	v_mul_lo_u32 v14, v10, s47
	v_mad_u64_u32 v[12:13], s[0:1], v10, s46, 0
	s_load_dwordx2 s[0:1], s[44:45], 0x0
	s_add_u32 s42, s42, -1
	v_add3_u32 v3, v13, v14, v3
	v_sub_co_u32_e32 v8, vcc, v8, v12
	s_addc_u32 s43, s43, -1
	v_subb_co_u32_e32 v3, vcc, v9, v3, vcc
	s_add_u32 s44, s44, -8
	s_waitcnt lgkmcnt(0)
	v_mul_lo_u32 v3, s0, v3
	v_mul_lo_u32 v9, s1, v8
	v_mad_u64_u32 v[6:7], s[0:1], s0, v8, v[6:7]
	s_addc_u32 s45, s45, -1
	s_add_u32 s40, s40, -8
	s_addc_u32 s41, s41, -1
	s_add_u32 s38, s38, -1
	s_addc_u32 s39, s39, -1
	v_add3_u32 v7, v9, v7, v3
	v_mov_b32_e32 v8, v10
	s_cmp_lg_u64 s[38:39], 0
	v_mov_b32_e32 v9, v11
	s_cbranch_scc0 .LBB70_14
.LBB70_17:                              ;   Parent Loop BB70_3 Depth=1
                                        ; =>  This Inner Loop Header: Depth=2
	s_load_dwordx2 s[46:47], s[40:41], 0x0
                                        ; implicit-def: $vgpr10_vgpr11
	s_waitcnt lgkmcnt(0)
	v_or_b32_e32 v3, s47, v9
	v_cmp_ne_u64_e32 vcc, 0, v[2:3]
	s_and_saveexec_b64 s[0:1], vcc
	s_xor_b64 s[48:49], exec, s[0:1]
	s_cbranch_execz .LBB70_19
; %bb.18:                               ;   in Loop: Header=BB70_17 Depth=2
	s_ashr_i32 s50, s47, 31
	s_add_u32 s0, s46, s50
	s_mov_b32 s51, s50
	s_addc_u32 s1, s47, s50
	s_xor_b64 s[52:53], s[0:1], s[50:51]
	v_cvt_f32_u32_e32 v3, s52
	v_cvt_f32_u32_e32 v10, s53
	s_sub_u32 s51, 0, s52
	s_subb_u32 s54, 0, s53
	v_mac_f32_e32 v3, 0x4f800000, v10
	v_rcp_f32_e32 v3, v3
	v_mul_f32_e32 v3, 0x5f7ffffc, v3
	v_mul_f32_e32 v10, 0x2f800000, v3
	v_trunc_f32_e32 v10, v10
	v_mac_f32_e32 v3, 0xcf800000, v10
	v_cvt_u32_f32_e32 v10, v10
	v_cvt_u32_f32_e32 v3, v3
	v_readfirstlane_b32 s55, v10
	v_readfirstlane_b32 s0, v3
	s_mul_i32 s1, s51, s55
	s_mul_hi_u32 s57, s51, s0
	s_mul_i32 s56, s54, s0
	s_add_i32 s1, s57, s1
	s_add_i32 s1, s1, s56
	s_mul_i32 s58, s51, s0
	s_mul_i32 s57, s0, s1
	s_mul_hi_u32 s59, s0, s58
	s_mul_hi_u32 s56, s0, s1
	s_add_u32 s57, s59, s57
	s_addc_u32 s56, 0, s56
	s_mul_hi_u32 s60, s55, s58
	s_mul_i32 s58, s55, s58
	s_add_u32 s57, s57, s58
	s_mul_hi_u32 s59, s55, s1
	s_addc_u32 s56, s56, s60
	s_addc_u32 s57, s59, 0
	s_mul_i32 s1, s55, s1
	s_add_u32 s1, s56, s1
	s_addc_u32 s56, 0, s57
	s_add_u32 s57, s0, s1
	s_cselect_b64 s[0:1], -1, 0
	s_cmp_lg_u64 s[0:1], 0
	s_addc_u32 s55, s55, s56
	s_mul_i32 s0, s51, s55
	s_mul_hi_u32 s1, s51, s57
	s_add_i32 s0, s1, s0
	s_mul_i32 s54, s54, s57
	s_add_i32 s0, s0, s54
	s_mul_i32 s51, s51, s57
	s_mul_hi_u32 s54, s55, s51
	s_mul_i32 s56, s55, s51
	s_mul_i32 s59, s57, s0
	s_mul_hi_u32 s51, s57, s51
	s_mul_hi_u32 s58, s57, s0
	s_add_u32 s51, s51, s59
	s_addc_u32 s58, 0, s58
	s_add_u32 s51, s51, s56
	s_mul_hi_u32 s1, s55, s0
	s_addc_u32 s51, s58, s54
	s_addc_u32 s1, s1, 0
	s_mul_i32 s0, s55, s0
	s_add_u32 s0, s51, s0
	s_addc_u32 s51, 0, s1
	s_add_u32 s54, s57, s0
	s_cselect_b64 s[0:1], -1, 0
	v_ashrrev_i32_e32 v3, 31, v9
	s_cmp_lg_u64 s[0:1], 0
	v_add_co_u32_e32 v10, vcc, v8, v3
	s_addc_u32 s51, s55, s51
	v_xor_b32_e32 v14, v10, v3
	v_mad_u64_u32 v[10:11], s[0:1], v14, s51, 0
	v_mul_hi_u32 v13, v14, s54
	v_addc_co_u32_e32 v12, vcc, v9, v3, vcc
	v_xor_b32_e32 v15, v12, v3
	v_add_co_u32_e32 v16, vcc, v13, v10
	v_addc_co_u32_e32 v17, vcc, 0, v11, vcc
	v_mad_u64_u32 v[10:11], s[0:1], v15, s54, 0
	v_mad_u64_u32 v[12:13], s[0:1], v15, s51, 0
	v_add_co_u32_e32 v10, vcc, v16, v10
	v_addc_co_u32_e32 v10, vcc, v17, v11, vcc
	v_addc_co_u32_e32 v11, vcc, 0, v13, vcc
	v_add_co_u32_e32 v12, vcc, v10, v12
	v_addc_co_u32_e32 v13, vcc, 0, v11, vcc
	v_mul_lo_u32 v16, s53, v12
	v_mul_lo_u32 v17, s52, v13
	v_mad_u64_u32 v[10:11], s[0:1], s52, v12, 0
	v_xor_b32_e32 v3, s50, v3
	v_add3_u32 v11, v11, v17, v16
	v_sub_u32_e32 v16, v15, v11
	v_mov_b32_e32 v17, s53
	v_sub_co_u32_e32 v10, vcc, v14, v10
	v_subb_co_u32_e64 v14, s[0:1], v16, v17, vcc
	v_subrev_co_u32_e64 v16, s[0:1], s52, v10
	v_subbrev_co_u32_e64 v14, s[0:1], 0, v14, s[0:1]
	v_cmp_le_u32_e64 s[0:1], s53, v14
	v_cndmask_b32_e64 v17, 0, -1, s[0:1]
	v_cmp_le_u32_e64 s[0:1], s52, v16
	v_cndmask_b32_e64 v16, 0, -1, s[0:1]
	v_cmp_eq_u32_e64 s[0:1], s53, v14
	v_cndmask_b32_e64 v14, v17, v16, s[0:1]
	v_add_co_u32_e64 v16, s[0:1], 2, v12
	v_subb_co_u32_e32 v11, vcc, v15, v11, vcc
	v_addc_co_u32_e64 v17, s[0:1], 0, v13, s[0:1]
	v_cmp_le_u32_e32 vcc, s53, v11
	v_add_co_u32_e64 v20, s[0:1], 1, v12
	v_cndmask_b32_e64 v15, 0, -1, vcc
	v_cmp_le_u32_e32 vcc, s52, v10
	v_addc_co_u32_e64 v21, s[0:1], 0, v13, s[0:1]
	v_cndmask_b32_e64 v10, 0, -1, vcc
	v_cmp_eq_u32_e32 vcc, s53, v11
	v_cmp_ne_u32_e64 s[0:1], 0, v14
	v_cndmask_b32_e32 v10, v15, v10, vcc
	v_cndmask_b32_e64 v14, v21, v17, s[0:1]
	v_cmp_ne_u32_e32 vcc, 0, v10
	v_cndmask_b32_e64 v11, v20, v16, s[0:1]
	v_cndmask_b32_e32 v10, v13, v14, vcc
	v_cndmask_b32_e32 v11, v12, v11, vcc
	v_xor_b32_e32 v12, v10, v3
	v_xor_b32_e32 v10, v11, v3
	v_sub_co_u32_e32 v10, vcc, v10, v3
	v_subb_co_u32_e32 v11, vcc, v12, v3, vcc
.LBB70_19:                              ;   in Loop: Header=BB70_17 Depth=2
	s_andn2_saveexec_b64 s[0:1], s[48:49]
	s_cbranch_execz .LBB70_16
; %bb.20:                               ;   in Loop: Header=BB70_17 Depth=2
	v_cvt_f32_u32_e32 v3, s46
	s_sub_i32 s48, 0, s46
	v_rcp_iflag_f32_e32 v3, v3
	v_mul_f32_e32 v3, 0x4f7ffffe, v3
	v_cvt_u32_f32_e32 v3, v3
	v_mul_lo_u32 v10, s48, v3
	v_mul_hi_u32 v10, v3, v10
	v_add_u32_e32 v3, v3, v10
	v_mul_hi_u32 v3, v8, v3
	v_mul_lo_u32 v10, v3, s46
	v_add_u32_e32 v11, 1, v3
	v_sub_u32_e32 v10, v8, v10
	v_subrev_u32_e32 v12, s46, v10
	v_cmp_le_u32_e32 vcc, s46, v10
	v_cndmask_b32_e32 v10, v10, v12, vcc
	v_cndmask_b32_e32 v3, v3, v11, vcc
	v_add_u32_e32 v11, 1, v3
	v_cmp_le_u32_e32 vcc, s46, v10
	v_cndmask_b32_e32 v10, v3, v11, vcc
	v_mov_b32_e32 v11, v2
	s_branch .LBB70_16
.LBB70_21:                              ;   in Loop: Header=BB70_22 Depth=2
	s_or_b64 exec, exec, s[0:1]
	v_mul_lo_u32 v3, v11, s44
	v_mul_lo_u32 v22, v10, s45
	v_mad_u64_u32 v[20:21], s[0:1], v10, s44, 0
	v_add3_u32 v3, v21, v22, v3
	v_sub_co_u32_e32 v8, vcc, v8, v20
	v_subb_co_u32_e32 v3, vcc, v9, v3, vcc
	v_mul_lo_u32 v3, s48, v3
	v_mul_lo_u32 v20, s49, v8
	v_mad_u64_u32 v[6:7], s[0:1], s48, v8, v[6:7]
	v_mul_lo_u32 v21, v13, s46
	v_mul_lo_u32 v22, v12, s47
	v_mad_u64_u32 v[8:9], s[0:1], v12, s46, 0
	v_add3_u32 v7, v20, v7, v3
	v_mul_lo_u32 v20, v14, s51
	v_add3_u32 v3, v9, v22, v21
	v_sub_co_u32_e32 v8, vcc, v10, v8
	v_subb_co_u32_e32 v3, vcc, v11, v3, vcc
	v_mad_u64_u32 v[6:7], s[0:1], s52, v8, v[6:7]
	v_mul_lo_u32 v3, s52, v3
	v_mul_lo_u32 v10, s53, v8
	v_mul_lo_u32 v11, v15, s50
	v_mad_u64_u32 v[8:9], s[0:1], v14, s50, 0
	v_add3_u32 v7, v10, v7, v3
	v_add3_u32 v3, v9, v20, v11
	v_sub_co_u32_e32 v8, vcc, v12, v8
	v_subb_co_u32_e32 v3, vcc, v13, v3, vcc
	v_mad_u64_u32 v[6:7], s[0:1], s56, v8, v[6:7]
	v_mul_lo_u32 v3, s56, v3
	v_mul_lo_u32 v10, s57, v8
	;; [unrolled: 1-line block ×4, first 2 shown]
	v_mad_u64_u32 v[8:9], s[0:1], v16, s54, 0
	s_load_dwordx2 s[0:1], s[38:39], 0x0
	v_add3_u32 v7, v10, v7, v3
	v_add3_u32 v3, v9, v12, v11
	v_sub_co_u32_e32 v8, vcc, v14, v8
	v_subb_co_u32_e32 v3, vcc, v15, v3, vcc
	s_add_u32 s38, s38, 0xffffffe0
	s_waitcnt lgkmcnt(0)
	v_mad_u64_u32 v[6:7], s[44:45], s0, v8, v[6:7]
	v_mul_lo_u32 v3, s0, v3
	v_mul_lo_u32 v8, s1, v8
	s_addc_u32 s39, s39, -1
	s_add_u32 s40, s40, 0xffffffe0
	s_addc_u32 s41, s41, -1
	s_add_u32 s42, s42, -4
	v_add3_u32 v7, v8, v7, v3
	s_addc_u32 s43, s43, -1
	v_mov_b32_e32 v8, v16
	s_cmp_eq_u64 s[42:43], 0
	v_mov_b32_e32 v9, v17
	s_cbranch_scc1 .LBB70_38
.LBB70_22:                              ;   Parent Loop BB70_3 Depth=1
                                        ; =>  This Inner Loop Header: Depth=2
	s_load_dwordx2 s[44:45], s[40:41], 0x18
                                        ; implicit-def: $vgpr10_vgpr11
	s_waitcnt lgkmcnt(0)
	v_or_b32_e32 v3, s45, v9
	v_cmp_ne_u64_e32 vcc, 0, v[2:3]
	s_and_saveexec_b64 s[0:1], vcc
	s_xor_b64 s[46:47], exec, s[0:1]
	s_cbranch_execz .LBB70_24
; %bb.23:                               ;   in Loop: Header=BB70_22 Depth=2
	s_ashr_i32 s48, s45, 31
	s_add_u32 s0, s44, s48
	s_mov_b32 s49, s48
	s_addc_u32 s1, s45, s48
	s_xor_b64 s[50:51], s[0:1], s[48:49]
	v_cvt_f32_u32_e32 v3, s50
	v_cvt_f32_u32_e32 v10, s51
	s_sub_u32 s49, 0, s50
	s_subb_u32 s52, 0, s51
	v_mac_f32_e32 v3, 0x4f800000, v10
	v_rcp_f32_e32 v3, v3
	v_mul_f32_e32 v3, 0x5f7ffffc, v3
	v_mul_f32_e32 v10, 0x2f800000, v3
	v_trunc_f32_e32 v10, v10
	v_mac_f32_e32 v3, 0xcf800000, v10
	v_cvt_u32_f32_e32 v10, v10
	v_cvt_u32_f32_e32 v3, v3
	v_readfirstlane_b32 s53, v10
	v_readfirstlane_b32 s0, v3
	s_mul_i32 s1, s49, s53
	s_mul_hi_u32 s55, s49, s0
	s_mul_i32 s54, s52, s0
	s_add_i32 s1, s55, s1
	s_add_i32 s1, s1, s54
	s_mul_i32 s56, s49, s0
	s_mul_i32 s55, s0, s1
	s_mul_hi_u32 s57, s0, s56
	s_mul_hi_u32 s54, s0, s1
	s_add_u32 s55, s57, s55
	s_addc_u32 s54, 0, s54
	s_mul_hi_u32 s58, s53, s56
	s_mul_i32 s56, s53, s56
	s_add_u32 s55, s55, s56
	s_mul_hi_u32 s57, s53, s1
	s_addc_u32 s54, s54, s58
	s_addc_u32 s55, s57, 0
	s_mul_i32 s1, s53, s1
	s_add_u32 s1, s54, s1
	s_addc_u32 s54, 0, s55
	s_add_u32 s55, s0, s1
	s_cselect_b64 s[0:1], -1, 0
	s_cmp_lg_u64 s[0:1], 0
	s_addc_u32 s53, s53, s54
	s_mul_i32 s0, s49, s53
	s_mul_hi_u32 s1, s49, s55
	s_add_i32 s0, s1, s0
	s_mul_i32 s52, s52, s55
	s_add_i32 s0, s0, s52
	s_mul_i32 s49, s49, s55
	s_mul_hi_u32 s52, s53, s49
	s_mul_i32 s54, s53, s49
	s_mul_i32 s57, s55, s0
	s_mul_hi_u32 s49, s55, s49
	s_mul_hi_u32 s56, s55, s0
	s_add_u32 s49, s49, s57
	s_addc_u32 s56, 0, s56
	s_add_u32 s49, s49, s54
	s_mul_hi_u32 s1, s53, s0
	s_addc_u32 s49, s56, s52
	s_addc_u32 s1, s1, 0
	s_mul_i32 s0, s53, s0
	s_add_u32 s0, s49, s0
	s_addc_u32 s49, 0, s1
	s_add_u32 s52, s55, s0
	s_cselect_b64 s[0:1], -1, 0
	v_ashrrev_i32_e32 v3, 31, v9
	s_cmp_lg_u64 s[0:1], 0
	v_add_co_u32_e32 v10, vcc, v8, v3
	s_addc_u32 s49, s53, s49
	v_xor_b32_e32 v14, v10, v3
	v_mad_u64_u32 v[10:11], s[0:1], v14, s49, 0
	v_mul_hi_u32 v13, v14, s52
	v_addc_co_u32_e32 v12, vcc, v9, v3, vcc
	v_xor_b32_e32 v15, v12, v3
	v_add_co_u32_e32 v16, vcc, v13, v10
	v_addc_co_u32_e32 v17, vcc, 0, v11, vcc
	v_mad_u64_u32 v[10:11], s[0:1], v15, s52, 0
	v_mad_u64_u32 v[12:13], s[0:1], v15, s49, 0
	v_add_co_u32_e32 v10, vcc, v16, v10
	v_addc_co_u32_e32 v10, vcc, v17, v11, vcc
	v_addc_co_u32_e32 v11, vcc, 0, v13, vcc
	v_add_co_u32_e32 v12, vcc, v10, v12
	v_addc_co_u32_e32 v13, vcc, 0, v11, vcc
	v_mul_lo_u32 v16, s51, v12
	v_mul_lo_u32 v17, s50, v13
	v_mad_u64_u32 v[10:11], s[0:1], s50, v12, 0
	v_xor_b32_e32 v3, s48, v3
	v_add3_u32 v11, v11, v17, v16
	v_sub_u32_e32 v16, v15, v11
	v_mov_b32_e32 v17, s51
	v_sub_co_u32_e32 v10, vcc, v14, v10
	v_subb_co_u32_e64 v14, s[0:1], v16, v17, vcc
	v_subrev_co_u32_e64 v16, s[0:1], s50, v10
	v_subbrev_co_u32_e64 v14, s[0:1], 0, v14, s[0:1]
	v_cmp_le_u32_e64 s[0:1], s51, v14
	v_cndmask_b32_e64 v17, 0, -1, s[0:1]
	v_cmp_le_u32_e64 s[0:1], s50, v16
	v_cndmask_b32_e64 v16, 0, -1, s[0:1]
	v_cmp_eq_u32_e64 s[0:1], s51, v14
	v_cndmask_b32_e64 v14, v17, v16, s[0:1]
	v_add_co_u32_e64 v16, s[0:1], 2, v12
	v_subb_co_u32_e32 v11, vcc, v15, v11, vcc
	v_addc_co_u32_e64 v17, s[0:1], 0, v13, s[0:1]
	v_cmp_le_u32_e32 vcc, s51, v11
	v_add_co_u32_e64 v20, s[0:1], 1, v12
	v_cndmask_b32_e64 v15, 0, -1, vcc
	v_cmp_le_u32_e32 vcc, s50, v10
	v_addc_co_u32_e64 v21, s[0:1], 0, v13, s[0:1]
	v_cndmask_b32_e64 v10, 0, -1, vcc
	v_cmp_eq_u32_e32 vcc, s51, v11
	v_cmp_ne_u32_e64 s[0:1], 0, v14
	v_cndmask_b32_e32 v10, v15, v10, vcc
	v_cndmask_b32_e64 v14, v21, v17, s[0:1]
	v_cmp_ne_u32_e32 vcc, 0, v10
	v_cndmask_b32_e64 v11, v20, v16, s[0:1]
	v_cndmask_b32_e32 v10, v13, v14, vcc
	v_cndmask_b32_e32 v11, v12, v11, vcc
	v_xor_b32_e32 v12, v10, v3
	v_xor_b32_e32 v10, v11, v3
	v_sub_co_u32_e32 v10, vcc, v10, v3
	v_subb_co_u32_e32 v11, vcc, v12, v3, vcc
.LBB70_24:                              ;   in Loop: Header=BB70_22 Depth=2
	s_andn2_saveexec_b64 s[0:1], s[46:47]
	s_cbranch_execz .LBB70_26
; %bb.25:                               ;   in Loop: Header=BB70_22 Depth=2
	v_cvt_f32_u32_e32 v3, s44
	s_sub_i32 s46, 0, s44
	v_rcp_iflag_f32_e32 v3, v3
	v_mul_f32_e32 v3, 0x4f7ffffe, v3
	v_cvt_u32_f32_e32 v3, v3
	v_mul_lo_u32 v10, s46, v3
	v_mul_hi_u32 v10, v3, v10
	v_add_u32_e32 v3, v3, v10
	v_mul_hi_u32 v3, v8, v3
	v_mul_lo_u32 v10, v3, s44
	v_add_u32_e32 v11, 1, v3
	v_sub_u32_e32 v10, v8, v10
	v_subrev_u32_e32 v12, s44, v10
	v_cmp_le_u32_e32 vcc, s44, v10
	v_cndmask_b32_e32 v10, v10, v12, vcc
	v_cndmask_b32_e32 v3, v3, v11, vcc
	v_add_u32_e32 v11, 1, v3
	v_cmp_le_u32_e32 vcc, s44, v10
	v_cndmask_b32_e32 v10, v3, v11, vcc
	v_mov_b32_e32 v11, v2
.LBB70_26:                              ;   in Loop: Header=BB70_22 Depth=2
	s_or_b64 exec, exec, s[0:1]
	s_load_dwordx2 s[46:47], s[40:41], 0x10
	s_load_dwordx2 s[48:49], s[38:39], 0x18
                                        ; implicit-def: $vgpr12_vgpr13
	s_waitcnt lgkmcnt(0)
	v_or_b32_e32 v3, s47, v11
	v_cmp_ne_u64_e32 vcc, 0, v[2:3]
	s_and_saveexec_b64 s[0:1], vcc
	s_xor_b64 s[50:51], exec, s[0:1]
	s_cbranch_execz .LBB70_28
; %bb.27:                               ;   in Loop: Header=BB70_22 Depth=2
	s_ashr_i32 s52, s47, 31
	s_add_u32 s0, s46, s52
	s_mov_b32 s53, s52
	s_addc_u32 s1, s47, s52
	s_xor_b64 s[54:55], s[0:1], s[52:53]
	v_cvt_f32_u32_e32 v3, s54
	v_cvt_f32_u32_e32 v12, s55
	s_sub_u32 s53, 0, s54
	s_subb_u32 s56, 0, s55
	v_mac_f32_e32 v3, 0x4f800000, v12
	v_rcp_f32_e32 v3, v3
	v_mul_f32_e32 v3, 0x5f7ffffc, v3
	v_mul_f32_e32 v12, 0x2f800000, v3
	v_trunc_f32_e32 v12, v12
	v_mac_f32_e32 v3, 0xcf800000, v12
	v_cvt_u32_f32_e32 v12, v12
	v_cvt_u32_f32_e32 v3, v3
	v_readfirstlane_b32 s57, v12
	v_readfirstlane_b32 s0, v3
	s_mul_i32 s1, s53, s57
	s_mul_hi_u32 s59, s53, s0
	s_mul_i32 s58, s56, s0
	s_add_i32 s1, s59, s1
	s_add_i32 s1, s1, s58
	s_mul_i32 s60, s53, s0
	s_mul_i32 s59, s0, s1
	s_mul_hi_u32 s61, s0, s60
	s_mul_hi_u32 s58, s0, s1
	s_add_u32 s59, s61, s59
	s_addc_u32 s58, 0, s58
	s_mul_hi_u32 s62, s57, s60
	s_mul_i32 s60, s57, s60
	s_add_u32 s59, s59, s60
	s_mul_hi_u32 s61, s57, s1
	s_addc_u32 s58, s58, s62
	s_addc_u32 s59, s61, 0
	s_mul_i32 s1, s57, s1
	s_add_u32 s1, s58, s1
	s_addc_u32 s58, 0, s59
	s_add_u32 s59, s0, s1
	s_cselect_b64 s[0:1], -1, 0
	s_cmp_lg_u64 s[0:1], 0
	s_addc_u32 s57, s57, s58
	s_mul_i32 s0, s53, s57
	s_mul_hi_u32 s1, s53, s59
	s_add_i32 s0, s1, s0
	s_mul_i32 s56, s56, s59
	s_add_i32 s0, s0, s56
	s_mul_i32 s53, s53, s59
	s_mul_hi_u32 s56, s57, s53
	s_mul_i32 s58, s57, s53
	s_mul_i32 s61, s59, s0
	s_mul_hi_u32 s53, s59, s53
	s_mul_hi_u32 s60, s59, s0
	s_add_u32 s53, s53, s61
	s_addc_u32 s60, 0, s60
	s_add_u32 s53, s53, s58
	s_mul_hi_u32 s1, s57, s0
	s_addc_u32 s53, s60, s56
	s_addc_u32 s1, s1, 0
	s_mul_i32 s0, s57, s0
	s_add_u32 s0, s53, s0
	s_addc_u32 s53, 0, s1
	s_add_u32 s56, s59, s0
	s_cselect_b64 s[0:1], -1, 0
	v_ashrrev_i32_e32 v3, 31, v11
	s_cmp_lg_u64 s[0:1], 0
	v_add_co_u32_e32 v12, vcc, v10, v3
	s_addc_u32 s53, s57, s53
	v_xor_b32_e32 v16, v12, v3
	v_mad_u64_u32 v[12:13], s[0:1], v16, s53, 0
	v_mul_hi_u32 v15, v16, s56
	v_addc_co_u32_e32 v14, vcc, v11, v3, vcc
	v_xor_b32_e32 v17, v14, v3
	v_add_co_u32_e32 v20, vcc, v15, v12
	v_addc_co_u32_e32 v21, vcc, 0, v13, vcc
	v_mad_u64_u32 v[12:13], s[0:1], v17, s56, 0
	v_mad_u64_u32 v[14:15], s[0:1], v17, s53, 0
	v_add_co_u32_e32 v12, vcc, v20, v12
	v_addc_co_u32_e32 v12, vcc, v21, v13, vcc
	v_addc_co_u32_e32 v13, vcc, 0, v15, vcc
	v_add_co_u32_e32 v14, vcc, v12, v14
	v_addc_co_u32_e32 v15, vcc, 0, v13, vcc
	v_mul_lo_u32 v20, s55, v14
	v_mul_lo_u32 v21, s54, v15
	v_mad_u64_u32 v[12:13], s[0:1], s54, v14, 0
	v_xor_b32_e32 v3, s52, v3
	v_add3_u32 v13, v13, v21, v20
	v_sub_u32_e32 v20, v17, v13
	v_mov_b32_e32 v21, s55
	v_sub_co_u32_e32 v12, vcc, v16, v12
	v_subb_co_u32_e64 v16, s[0:1], v20, v21, vcc
	v_subrev_co_u32_e64 v20, s[0:1], s54, v12
	v_subbrev_co_u32_e64 v16, s[0:1], 0, v16, s[0:1]
	v_cmp_le_u32_e64 s[0:1], s55, v16
	v_cndmask_b32_e64 v21, 0, -1, s[0:1]
	v_cmp_le_u32_e64 s[0:1], s54, v20
	v_cndmask_b32_e64 v20, 0, -1, s[0:1]
	v_cmp_eq_u32_e64 s[0:1], s55, v16
	v_cndmask_b32_e64 v16, v21, v20, s[0:1]
	v_add_co_u32_e64 v20, s[0:1], 2, v14
	v_subb_co_u32_e32 v13, vcc, v17, v13, vcc
	v_addc_co_u32_e64 v21, s[0:1], 0, v15, s[0:1]
	v_cmp_le_u32_e32 vcc, s55, v13
	v_add_co_u32_e64 v22, s[0:1], 1, v14
	v_cndmask_b32_e64 v17, 0, -1, vcc
	v_cmp_le_u32_e32 vcc, s54, v12
	v_addc_co_u32_e64 v23, s[0:1], 0, v15, s[0:1]
	v_cndmask_b32_e64 v12, 0, -1, vcc
	v_cmp_eq_u32_e32 vcc, s55, v13
	v_cmp_ne_u32_e64 s[0:1], 0, v16
	v_cndmask_b32_e32 v12, v17, v12, vcc
	v_cndmask_b32_e64 v16, v23, v21, s[0:1]
	v_cmp_ne_u32_e32 vcc, 0, v12
	v_cndmask_b32_e64 v13, v22, v20, s[0:1]
	v_cndmask_b32_e32 v12, v15, v16, vcc
	v_cndmask_b32_e32 v13, v14, v13, vcc
	v_xor_b32_e32 v14, v12, v3
	v_xor_b32_e32 v12, v13, v3
	v_sub_co_u32_e32 v12, vcc, v12, v3
	v_subb_co_u32_e32 v13, vcc, v14, v3, vcc
.LBB70_28:                              ;   in Loop: Header=BB70_22 Depth=2
	s_andn2_saveexec_b64 s[0:1], s[50:51]
	s_cbranch_execz .LBB70_30
; %bb.29:                               ;   in Loop: Header=BB70_22 Depth=2
	v_cvt_f32_u32_e32 v3, s46
	s_sub_i32 s50, 0, s46
	v_rcp_iflag_f32_e32 v3, v3
	v_mul_f32_e32 v3, 0x4f7ffffe, v3
	v_cvt_u32_f32_e32 v3, v3
	v_mul_lo_u32 v12, s50, v3
	v_mul_hi_u32 v12, v3, v12
	v_add_u32_e32 v3, v3, v12
	v_mul_hi_u32 v3, v10, v3
	v_mul_lo_u32 v12, v3, s46
	v_add_u32_e32 v13, 1, v3
	v_sub_u32_e32 v12, v10, v12
	v_subrev_u32_e32 v14, s46, v12
	v_cmp_le_u32_e32 vcc, s46, v12
	v_cndmask_b32_e32 v12, v12, v14, vcc
	v_cndmask_b32_e32 v3, v3, v13, vcc
	v_add_u32_e32 v13, 1, v3
	v_cmp_le_u32_e32 vcc, s46, v12
	v_cndmask_b32_e32 v12, v3, v13, vcc
	v_mov_b32_e32 v13, v2
.LBB70_30:                              ;   in Loop: Header=BB70_22 Depth=2
	s_or_b64 exec, exec, s[0:1]
	s_load_dwordx2 s[50:51], s[40:41], 0x8
	s_load_dwordx2 s[52:53], s[38:39], 0x10
                                        ; implicit-def: $vgpr14_vgpr15
	s_waitcnt lgkmcnt(0)
	v_or_b32_e32 v3, s51, v13
	v_cmp_ne_u64_e32 vcc, 0, v[2:3]
	s_and_saveexec_b64 s[0:1], vcc
	s_xor_b64 s[54:55], exec, s[0:1]
	s_cbranch_execz .LBB70_32
; %bb.31:                               ;   in Loop: Header=BB70_22 Depth=2
	s_ashr_i32 s56, s51, 31
	s_add_u32 s0, s50, s56
	s_mov_b32 s57, s56
	s_addc_u32 s1, s51, s56
	s_xor_b64 s[58:59], s[0:1], s[56:57]
	v_cvt_f32_u32_e32 v3, s58
	v_cvt_f32_u32_e32 v14, s59
	s_sub_u32 s57, 0, s58
	s_subb_u32 s60, 0, s59
	v_mac_f32_e32 v3, 0x4f800000, v14
	v_rcp_f32_e32 v3, v3
	v_mul_f32_e32 v3, 0x5f7ffffc, v3
	v_mul_f32_e32 v14, 0x2f800000, v3
	v_trunc_f32_e32 v14, v14
	v_mac_f32_e32 v3, 0xcf800000, v14
	v_cvt_u32_f32_e32 v14, v14
	v_cvt_u32_f32_e32 v3, v3
	v_readfirstlane_b32 s61, v14
	v_readfirstlane_b32 s0, v3
	s_mul_i32 s1, s57, s61
	s_mul_hi_u32 s63, s57, s0
	s_mul_i32 s62, s60, s0
	s_add_i32 s1, s63, s1
	s_add_i32 s1, s1, s62
	s_mul_i32 s68, s57, s0
	s_mul_i32 s63, s0, s1
	s_mul_hi_u32 s69, s0, s68
	s_mul_hi_u32 s62, s0, s1
	s_add_u32 s63, s69, s63
	s_addc_u32 s62, 0, s62
	s_mul_hi_u32 s70, s61, s68
	s_mul_i32 s68, s61, s68
	s_add_u32 s63, s63, s68
	s_mul_hi_u32 s69, s61, s1
	s_addc_u32 s62, s62, s70
	s_addc_u32 s63, s69, 0
	s_mul_i32 s1, s61, s1
	s_add_u32 s1, s62, s1
	s_addc_u32 s62, 0, s63
	s_add_u32 s63, s0, s1
	s_cselect_b64 s[0:1], -1, 0
	s_cmp_lg_u64 s[0:1], 0
	s_addc_u32 s61, s61, s62
	s_mul_i32 s0, s57, s61
	s_mul_hi_u32 s1, s57, s63
	s_add_i32 s0, s1, s0
	s_mul_i32 s60, s60, s63
	s_add_i32 s0, s0, s60
	s_mul_i32 s57, s57, s63
	s_mul_hi_u32 s60, s61, s57
	s_mul_i32 s62, s61, s57
	s_mul_i32 s69, s63, s0
	s_mul_hi_u32 s57, s63, s57
	s_mul_hi_u32 s68, s63, s0
	s_add_u32 s57, s57, s69
	s_addc_u32 s68, 0, s68
	s_add_u32 s57, s57, s62
	s_mul_hi_u32 s1, s61, s0
	s_addc_u32 s57, s68, s60
	s_addc_u32 s1, s1, 0
	s_mul_i32 s0, s61, s0
	s_add_u32 s0, s57, s0
	s_addc_u32 s57, 0, s1
	s_add_u32 s60, s63, s0
	s_cselect_b64 s[0:1], -1, 0
	v_ashrrev_i32_e32 v3, 31, v13
	s_cmp_lg_u64 s[0:1], 0
	v_add_co_u32_e32 v14, vcc, v12, v3
	s_addc_u32 s57, s61, s57
	v_xor_b32_e32 v20, v14, v3
	v_mad_u64_u32 v[14:15], s[0:1], v20, s57, 0
	v_mul_hi_u32 v17, v20, s60
	v_addc_co_u32_e32 v16, vcc, v13, v3, vcc
	v_xor_b32_e32 v21, v16, v3
	v_add_co_u32_e32 v22, vcc, v17, v14
	v_addc_co_u32_e32 v23, vcc, 0, v15, vcc
	v_mad_u64_u32 v[14:15], s[0:1], v21, s60, 0
	v_mad_u64_u32 v[16:17], s[0:1], v21, s57, 0
	v_add_co_u32_e32 v14, vcc, v22, v14
	v_addc_co_u32_e32 v14, vcc, v23, v15, vcc
	v_addc_co_u32_e32 v15, vcc, 0, v17, vcc
	v_add_co_u32_e32 v16, vcc, v14, v16
	v_addc_co_u32_e32 v17, vcc, 0, v15, vcc
	v_mul_lo_u32 v22, s59, v16
	v_mul_lo_u32 v23, s58, v17
	v_mad_u64_u32 v[14:15], s[0:1], s58, v16, 0
	v_xor_b32_e32 v3, s56, v3
	v_add3_u32 v15, v15, v23, v22
	v_sub_u32_e32 v22, v21, v15
	v_mov_b32_e32 v23, s59
	v_sub_co_u32_e32 v14, vcc, v20, v14
	v_subb_co_u32_e64 v20, s[0:1], v22, v23, vcc
	v_subrev_co_u32_e64 v22, s[0:1], s58, v14
	v_subbrev_co_u32_e64 v20, s[0:1], 0, v20, s[0:1]
	v_cmp_le_u32_e64 s[0:1], s59, v20
	v_cndmask_b32_e64 v23, 0, -1, s[0:1]
	v_cmp_le_u32_e64 s[0:1], s58, v22
	v_cndmask_b32_e64 v22, 0, -1, s[0:1]
	v_cmp_eq_u32_e64 s[0:1], s59, v20
	v_cndmask_b32_e64 v20, v23, v22, s[0:1]
	v_add_co_u32_e64 v22, s[0:1], 2, v16
	v_subb_co_u32_e32 v15, vcc, v21, v15, vcc
	v_addc_co_u32_e64 v23, s[0:1], 0, v17, s[0:1]
	v_cmp_le_u32_e32 vcc, s59, v15
	v_add_co_u32_e64 v24, s[0:1], 1, v16
	v_cndmask_b32_e64 v21, 0, -1, vcc
	v_cmp_le_u32_e32 vcc, s58, v14
	v_addc_co_u32_e64 v25, s[0:1], 0, v17, s[0:1]
	v_cndmask_b32_e64 v14, 0, -1, vcc
	v_cmp_eq_u32_e32 vcc, s59, v15
	v_cmp_ne_u32_e64 s[0:1], 0, v20
	v_cndmask_b32_e32 v14, v21, v14, vcc
	v_cndmask_b32_e64 v20, v25, v23, s[0:1]
	v_cmp_ne_u32_e32 vcc, 0, v14
	v_cndmask_b32_e64 v15, v24, v22, s[0:1]
	v_cndmask_b32_e32 v14, v17, v20, vcc
	v_cndmask_b32_e32 v15, v16, v15, vcc
	v_xor_b32_e32 v16, v14, v3
	v_xor_b32_e32 v14, v15, v3
	v_sub_co_u32_e32 v14, vcc, v14, v3
	v_subb_co_u32_e32 v15, vcc, v16, v3, vcc
.LBB70_32:                              ;   in Loop: Header=BB70_22 Depth=2
	s_andn2_saveexec_b64 s[0:1], s[54:55]
	s_cbranch_execz .LBB70_34
; %bb.33:                               ;   in Loop: Header=BB70_22 Depth=2
	v_cvt_f32_u32_e32 v3, s50
	s_sub_i32 s54, 0, s50
	v_rcp_iflag_f32_e32 v3, v3
	v_mul_f32_e32 v3, 0x4f7ffffe, v3
	v_cvt_u32_f32_e32 v3, v3
	v_mul_lo_u32 v14, s54, v3
	v_mul_hi_u32 v14, v3, v14
	v_add_u32_e32 v3, v3, v14
	v_mul_hi_u32 v3, v12, v3
	v_mul_lo_u32 v14, v3, s50
	v_add_u32_e32 v15, 1, v3
	v_sub_u32_e32 v14, v12, v14
	v_subrev_u32_e32 v16, s50, v14
	v_cmp_le_u32_e32 vcc, s50, v14
	v_cndmask_b32_e32 v14, v14, v16, vcc
	v_cndmask_b32_e32 v3, v3, v15, vcc
	v_add_u32_e32 v15, 1, v3
	v_cmp_le_u32_e32 vcc, s50, v14
	v_cndmask_b32_e32 v14, v3, v15, vcc
	v_mov_b32_e32 v15, v2
.LBB70_34:                              ;   in Loop: Header=BB70_22 Depth=2
	s_or_b64 exec, exec, s[0:1]
	s_load_dwordx2 s[54:55], s[40:41], 0x0
	s_load_dwordx2 s[56:57], s[38:39], 0x8
                                        ; implicit-def: $vgpr16_vgpr17
	s_waitcnt lgkmcnt(0)
	v_or_b32_e32 v3, s55, v15
	v_cmp_ne_u64_e32 vcc, 0, v[2:3]
	s_and_saveexec_b64 s[0:1], vcc
	s_xor_b64 s[58:59], exec, s[0:1]
	s_cbranch_execz .LBB70_36
; %bb.35:                               ;   in Loop: Header=BB70_22 Depth=2
	s_ashr_i32 s60, s55, 31
	s_add_u32 s0, s54, s60
	s_mov_b32 s61, s60
	s_addc_u32 s1, s55, s60
	s_xor_b64 s[62:63], s[0:1], s[60:61]
	v_cvt_f32_u32_e32 v3, s62
	v_cvt_f32_u32_e32 v16, s63
	s_sub_u32 s61, 0, s62
	s_subb_u32 s68, 0, s63
	v_mac_f32_e32 v3, 0x4f800000, v16
	v_rcp_f32_e32 v3, v3
	v_mul_f32_e32 v3, 0x5f7ffffc, v3
	v_mul_f32_e32 v16, 0x2f800000, v3
	v_trunc_f32_e32 v16, v16
	v_mac_f32_e32 v3, 0xcf800000, v16
	v_cvt_u32_f32_e32 v16, v16
	v_cvt_u32_f32_e32 v3, v3
	v_readfirstlane_b32 s69, v16
	v_readfirstlane_b32 s0, v3
	s_mul_i32 s1, s61, s69
	s_mul_hi_u32 s71, s61, s0
	s_mul_i32 s70, s68, s0
	s_add_i32 s1, s71, s1
	s_add_i32 s1, s1, s70
	s_mul_i32 s72, s61, s0
	s_mul_i32 s71, s0, s1
	s_mul_hi_u32 s73, s0, s72
	s_mul_hi_u32 s70, s0, s1
	s_add_u32 s71, s73, s71
	s_addc_u32 s70, 0, s70
	s_mul_hi_u32 s74, s69, s72
	s_mul_i32 s72, s69, s72
	s_add_u32 s71, s71, s72
	s_mul_hi_u32 s73, s69, s1
	s_addc_u32 s70, s70, s74
	s_addc_u32 s71, s73, 0
	s_mul_i32 s1, s69, s1
	s_add_u32 s1, s70, s1
	s_addc_u32 s70, 0, s71
	s_add_u32 s71, s0, s1
	s_cselect_b64 s[0:1], -1, 0
	s_cmp_lg_u64 s[0:1], 0
	s_addc_u32 s69, s69, s70
	s_mul_i32 s0, s61, s69
	s_mul_hi_u32 s1, s61, s71
	s_add_i32 s0, s1, s0
	s_mul_i32 s68, s68, s71
	s_add_i32 s0, s0, s68
	s_mul_i32 s61, s61, s71
	s_mul_hi_u32 s68, s69, s61
	s_mul_i32 s70, s69, s61
	s_mul_i32 s73, s71, s0
	s_mul_hi_u32 s61, s71, s61
	s_mul_hi_u32 s72, s71, s0
	s_add_u32 s61, s61, s73
	s_addc_u32 s72, 0, s72
	s_add_u32 s61, s61, s70
	s_mul_hi_u32 s1, s69, s0
	s_addc_u32 s61, s72, s68
	s_addc_u32 s1, s1, 0
	s_mul_i32 s0, s69, s0
	s_add_u32 s0, s61, s0
	s_addc_u32 s61, 0, s1
	s_add_u32 s68, s71, s0
	s_cselect_b64 s[0:1], -1, 0
	v_ashrrev_i32_e32 v3, 31, v15
	s_cmp_lg_u64 s[0:1], 0
	v_add_co_u32_e32 v16, vcc, v14, v3
	s_addc_u32 s61, s69, s61
	v_xor_b32_e32 v22, v16, v3
	v_mad_u64_u32 v[16:17], s[0:1], v22, s61, 0
	v_mul_hi_u32 v21, v22, s68
	v_addc_co_u32_e32 v20, vcc, v15, v3, vcc
	v_xor_b32_e32 v23, v20, v3
	v_add_co_u32_e32 v24, vcc, v21, v16
	v_addc_co_u32_e32 v25, vcc, 0, v17, vcc
	v_mad_u64_u32 v[16:17], s[0:1], v23, s68, 0
	v_mad_u64_u32 v[20:21], s[0:1], v23, s61, 0
	v_add_co_u32_e32 v16, vcc, v24, v16
	v_addc_co_u32_e32 v16, vcc, v25, v17, vcc
	v_addc_co_u32_e32 v17, vcc, 0, v21, vcc
	v_add_co_u32_e32 v20, vcc, v16, v20
	v_addc_co_u32_e32 v21, vcc, 0, v17, vcc
	v_mul_lo_u32 v24, s63, v20
	v_mul_lo_u32 v25, s62, v21
	v_mad_u64_u32 v[16:17], s[0:1], s62, v20, 0
	v_xor_b32_e32 v3, s60, v3
	v_add3_u32 v17, v17, v25, v24
	v_sub_u32_e32 v24, v23, v17
	v_mov_b32_e32 v25, s63
	v_sub_co_u32_e32 v16, vcc, v22, v16
	v_subb_co_u32_e64 v22, s[0:1], v24, v25, vcc
	v_subrev_co_u32_e64 v24, s[0:1], s62, v16
	v_subbrev_co_u32_e64 v22, s[0:1], 0, v22, s[0:1]
	v_cmp_le_u32_e64 s[0:1], s63, v22
	v_cndmask_b32_e64 v25, 0, -1, s[0:1]
	v_cmp_le_u32_e64 s[0:1], s62, v24
	v_cndmask_b32_e64 v24, 0, -1, s[0:1]
	v_cmp_eq_u32_e64 s[0:1], s63, v22
	v_cndmask_b32_e64 v22, v25, v24, s[0:1]
	v_add_co_u32_e64 v24, s[0:1], 2, v20
	v_subb_co_u32_e32 v17, vcc, v23, v17, vcc
	v_addc_co_u32_e64 v25, s[0:1], 0, v21, s[0:1]
	v_cmp_le_u32_e32 vcc, s63, v17
	v_add_co_u32_e64 v26, s[0:1], 1, v20
	v_cndmask_b32_e64 v23, 0, -1, vcc
	v_cmp_le_u32_e32 vcc, s62, v16
	v_addc_co_u32_e64 v27, s[0:1], 0, v21, s[0:1]
	v_cndmask_b32_e64 v16, 0, -1, vcc
	v_cmp_eq_u32_e32 vcc, s63, v17
	v_cmp_ne_u32_e64 s[0:1], 0, v22
	v_cndmask_b32_e32 v16, v23, v16, vcc
	v_cndmask_b32_e64 v22, v27, v25, s[0:1]
	v_cmp_ne_u32_e32 vcc, 0, v16
	v_cndmask_b32_e64 v17, v26, v24, s[0:1]
	v_cndmask_b32_e32 v16, v21, v22, vcc
	v_cndmask_b32_e32 v17, v20, v17, vcc
	v_xor_b32_e32 v20, v16, v3
	v_xor_b32_e32 v16, v17, v3
	v_sub_co_u32_e32 v16, vcc, v16, v3
	v_subb_co_u32_e32 v17, vcc, v20, v3, vcc
.LBB70_36:                              ;   in Loop: Header=BB70_22 Depth=2
	s_andn2_saveexec_b64 s[0:1], s[58:59]
	s_cbranch_execz .LBB70_21
; %bb.37:                               ;   in Loop: Header=BB70_22 Depth=2
	v_cvt_f32_u32_e32 v3, s54
	s_sub_i32 s58, 0, s54
	v_rcp_iflag_f32_e32 v3, v3
	v_mul_f32_e32 v3, 0x4f7ffffe, v3
	v_cvt_u32_f32_e32 v3, v3
	v_mul_lo_u32 v16, s58, v3
	v_mul_hi_u32 v16, v3, v16
	v_add_u32_e32 v3, v3, v16
	v_mul_hi_u32 v3, v14, v3
	v_mul_lo_u32 v16, v3, s54
	v_add_u32_e32 v17, 1, v3
	v_sub_u32_e32 v16, v14, v16
	v_subrev_u32_e32 v20, s54, v16
	v_cmp_le_u32_e32 vcc, s54, v16
	v_cndmask_b32_e32 v16, v16, v20, vcc
	v_cndmask_b32_e32 v3, v3, v17, vcc
	v_add_u32_e32 v17, 1, v3
	v_cmp_le_u32_e32 vcc, s54, v16
	v_cndmask_b32_e32 v16, v3, v17, vcc
	v_mov_b32_e32 v17, v2
	s_branch .LBB70_21
.LBB70_38:                              ;   in Loop: Header=BB70_3 Depth=1
	s_load_dwordx2 s[0:1], s[22:23], 0x0
	s_waitcnt lgkmcnt(0)
	v_cmp_gt_i64_e32 vcc, s[0:1], v[4:5]
	s_and_b64 exec, exec, vcc
	s_cbranch_execz .LBB70_2
; %bb.39:                               ;   in Loop: Header=BB70_3 Depth=1
	v_lshlrev_b64 v[6:7], 1, v[6:7]
	v_mov_b32_e32 v3, s13
	v_add_co_u32_e32 v6, vcc, s12, v6
	v_addc_co_u32_e32 v7, vcc, v3, v7, vcc
	v_add_co_u32_e32 v8, vcc, 1, v4
	v_addc_co_u32_e32 v9, vcc, 0, v5, vcc
	v_cmp_gt_i64_e32 vcc, s[0:1], v[8:9]
	global_store_short v[6:7], v2, off
	s_and_b64 exec, exec, vcc
	s_cbranch_execz .LBB70_2
; %bb.40:                               ;   in Loop: Header=BB70_3 Depth=1
	v_sub_co_u32_e32 v8, vcc, v8, v18
	v_subb_co_u32_e32 v9, vcc, v9, v19, vcc
	v_cmp_gt_i64_e32 vcc, s[8:9], v[8:9]
	s_and_saveexec_b64 s[38:39], vcc
	s_cbranch_execz .LBB70_42
; %bb.41:                               ;   in Loop: Header=BB70_3 Depth=1
	s_lshl_b64 s[40:41], s[2:3], 1
	v_mov_b32_e32 v3, s41
	v_add_co_u32_e32 v8, vcc, s40, v6
	v_addc_co_u32_e32 v9, vcc, v7, v3, vcc
	global_store_short v[8:9], v2, off
.LBB70_42:                              ;   in Loop: Header=BB70_3 Depth=1
	s_or_b64 exec, exec, s[38:39]
	v_add_co_u32_e32 v8, vcc, 2, v4
	v_addc_co_u32_e32 v9, vcc, 0, v5, vcc
	v_cmp_gt_i64_e32 vcc, s[0:1], v[8:9]
	s_and_b64 exec, exec, vcc
	s_cbranch_execz .LBB70_2
; %bb.43:                               ;   in Loop: Header=BB70_3 Depth=1
	v_sub_co_u32_e32 v8, vcc, v8, v18
	v_subb_co_u32_e32 v9, vcc, v9, v19, vcc
	v_cmp_gt_i64_e32 vcc, s[8:9], v[8:9]
	s_and_saveexec_b64 s[38:39], vcc
	s_cbranch_execz .LBB70_45
; %bb.44:                               ;   in Loop: Header=BB70_3 Depth=1
	s_lshl_b64 s[40:41], s[2:3], 2
	v_mov_b32_e32 v3, s41
	v_add_co_u32_e32 v8, vcc, s40, v6
	v_addc_co_u32_e32 v9, vcc, v7, v3, vcc
	global_store_short v[8:9], v2, off
.LBB70_45:                              ;   in Loop: Header=BB70_3 Depth=1
	s_or_b64 exec, exec, s[38:39]
	v_add_co_u32_e32 v3, vcc, 3, v4
	v_addc_co_u32_e32 v4, vcc, 0, v5, vcc
	v_cmp_gt_i64_e32 vcc, s[0:1], v[3:4]
	v_sub_co_u32_e64 v3, s[0:1], v3, v18
	v_subb_co_u32_e64 v4, s[0:1], v4, v19, s[0:1]
	v_cmp_gt_i64_e64 s[0:1], s[8:9], v[3:4]
	s_and_b64 s[0:1], vcc, s[0:1]
	s_and_b64 exec, exec, s[0:1]
	s_cbranch_execz .LBB70_2
; %bb.46:                               ;   in Loop: Header=BB70_3 Depth=1
	v_mad_u64_u32 v[3:4], s[0:1], s2, 6, v[6:7]
	v_mad_u64_u32 v[4:5], s[0:1], s3, 6, v[4:5]
	global_store_short v[3:4], v2, off
	s_branch .LBB70_2
.LBB70_47:
	s_endpgm
	.section	.rodata,"a",@progbits
	.p2align	6, 0x0
	.amdhsa_kernel _ZN2at6native16triu_tril_kernelIslLb1ELi4ELb1EEEvNS_4cuda6detail10TensorInfoIT_T0_EENS4_IKS5_S6_EEllS6_
		.amdhsa_group_segment_fixed_size 0
		.amdhsa_private_segment_fixed_size 0
		.amdhsa_kernarg_size 1112
		.amdhsa_user_sgpr_count 6
		.amdhsa_user_sgpr_private_segment_buffer 1
		.amdhsa_user_sgpr_dispatch_ptr 0
		.amdhsa_user_sgpr_queue_ptr 0
		.amdhsa_user_sgpr_kernarg_segment_ptr 1
		.amdhsa_user_sgpr_dispatch_id 0
		.amdhsa_user_sgpr_flat_scratch_init 0
		.amdhsa_user_sgpr_private_segment_size 0
		.amdhsa_uses_dynamic_stack 0
		.amdhsa_system_sgpr_private_segment_wavefront_offset 0
		.amdhsa_system_sgpr_workgroup_id_x 1
		.amdhsa_system_sgpr_workgroup_id_y 0
		.amdhsa_system_sgpr_workgroup_id_z 0
		.amdhsa_system_sgpr_workgroup_info 0
		.amdhsa_system_vgpr_workitem_id 0
		.amdhsa_next_free_vgpr 28
		.amdhsa_next_free_sgpr 75
		.amdhsa_reserve_vcc 1
		.amdhsa_reserve_flat_scratch 0
		.amdhsa_float_round_mode_32 0
		.amdhsa_float_round_mode_16_64 0
		.amdhsa_float_denorm_mode_32 3
		.amdhsa_float_denorm_mode_16_64 3
		.amdhsa_dx10_clamp 1
		.amdhsa_ieee_mode 1
		.amdhsa_fp16_overflow 0
		.amdhsa_exception_fp_ieee_invalid_op 0
		.amdhsa_exception_fp_denorm_src 0
		.amdhsa_exception_fp_ieee_div_zero 0
		.amdhsa_exception_fp_ieee_overflow 0
		.amdhsa_exception_fp_ieee_underflow 0
		.amdhsa_exception_fp_ieee_inexact 0
		.amdhsa_exception_int_div_zero 0
	.end_amdhsa_kernel
	.section	.text._ZN2at6native16triu_tril_kernelIslLb1ELi4ELb1EEEvNS_4cuda6detail10TensorInfoIT_T0_EENS4_IKS5_S6_EEllS6_,"axG",@progbits,_ZN2at6native16triu_tril_kernelIslLb1ELi4ELb1EEEvNS_4cuda6detail10TensorInfoIT_T0_EENS4_IKS5_S6_EEllS6_,comdat
.Lfunc_end70:
	.size	_ZN2at6native16triu_tril_kernelIslLb1ELi4ELb1EEEvNS_4cuda6detail10TensorInfoIT_T0_EENS4_IKS5_S6_EEllS6_, .Lfunc_end70-_ZN2at6native16triu_tril_kernelIslLb1ELi4ELb1EEEvNS_4cuda6detail10TensorInfoIT_T0_EENS4_IKS5_S6_EEllS6_
                                        ; -- End function
	.set _ZN2at6native16triu_tril_kernelIslLb1ELi4ELb1EEEvNS_4cuda6detail10TensorInfoIT_T0_EENS4_IKS5_S6_EEllS6_.num_vgpr, 28
	.set _ZN2at6native16triu_tril_kernelIslLb1ELi4ELb1EEEvNS_4cuda6detail10TensorInfoIT_T0_EENS4_IKS5_S6_EEllS6_.num_agpr, 0
	.set _ZN2at6native16triu_tril_kernelIslLb1ELi4ELb1EEEvNS_4cuda6detail10TensorInfoIT_T0_EENS4_IKS5_S6_EEllS6_.numbered_sgpr, 75
	.set _ZN2at6native16triu_tril_kernelIslLb1ELi4ELb1EEEvNS_4cuda6detail10TensorInfoIT_T0_EENS4_IKS5_S6_EEllS6_.num_named_barrier, 0
	.set _ZN2at6native16triu_tril_kernelIslLb1ELi4ELb1EEEvNS_4cuda6detail10TensorInfoIT_T0_EENS4_IKS5_S6_EEllS6_.private_seg_size, 0
	.set _ZN2at6native16triu_tril_kernelIslLb1ELi4ELb1EEEvNS_4cuda6detail10TensorInfoIT_T0_EENS4_IKS5_S6_EEllS6_.uses_vcc, 1
	.set _ZN2at6native16triu_tril_kernelIslLb1ELi4ELb1EEEvNS_4cuda6detail10TensorInfoIT_T0_EENS4_IKS5_S6_EEllS6_.uses_flat_scratch, 0
	.set _ZN2at6native16triu_tril_kernelIslLb1ELi4ELb1EEEvNS_4cuda6detail10TensorInfoIT_T0_EENS4_IKS5_S6_EEllS6_.has_dyn_sized_stack, 0
	.set _ZN2at6native16triu_tril_kernelIslLb1ELi4ELb1EEEvNS_4cuda6detail10TensorInfoIT_T0_EENS4_IKS5_S6_EEllS6_.has_recursion, 0
	.set _ZN2at6native16triu_tril_kernelIslLb1ELi4ELb1EEEvNS_4cuda6detail10TensorInfoIT_T0_EENS4_IKS5_S6_EEllS6_.has_indirect_call, 0
	.section	.AMDGPU.csdata,"",@progbits
; Kernel info:
; codeLenInByte = 6576
; TotalNumSgprs: 79
; NumVgprs: 28
; ScratchSize: 0
; MemoryBound: 0
; FloatMode: 240
; IeeeMode: 1
; LDSByteSize: 0 bytes/workgroup (compile time only)
; SGPRBlocks: 9
; VGPRBlocks: 6
; NumSGPRsForWavesPerEU: 79
; NumVGPRsForWavesPerEU: 28
; Occupancy: 9
; WaveLimiterHint : 0
; COMPUTE_PGM_RSRC2:SCRATCH_EN: 0
; COMPUTE_PGM_RSRC2:USER_SGPR: 6
; COMPUTE_PGM_RSRC2:TRAP_HANDLER: 0
; COMPUTE_PGM_RSRC2:TGID_X_EN: 1
; COMPUTE_PGM_RSRC2:TGID_Y_EN: 0
; COMPUTE_PGM_RSRC2:TGID_Z_EN: 0
; COMPUTE_PGM_RSRC2:TIDIG_COMP_CNT: 0
	.section	.text._ZN2at6native16triu_tril_kernelIslLb1ELi4ELb0EEEvNS_4cuda6detail10TensorInfoIT_T0_EENS4_IKS5_S6_EEllS6_,"axG",@progbits,_ZN2at6native16triu_tril_kernelIslLb1ELi4ELb0EEEvNS_4cuda6detail10TensorInfoIT_T0_EENS4_IKS5_S6_EEllS6_,comdat
	.protected	_ZN2at6native16triu_tril_kernelIslLb1ELi4ELb0EEEvNS_4cuda6detail10TensorInfoIT_T0_EENS4_IKS5_S6_EEllS6_ ; -- Begin function _ZN2at6native16triu_tril_kernelIslLb1ELi4ELb0EEEvNS_4cuda6detail10TensorInfoIT_T0_EENS4_IKS5_S6_EEllS6_
	.globl	_ZN2at6native16triu_tril_kernelIslLb1ELi4ELb0EEEvNS_4cuda6detail10TensorInfoIT_T0_EENS4_IKS5_S6_EEllS6_
	.p2align	8
	.type	_ZN2at6native16triu_tril_kernelIslLb1ELi4ELb0EEEvNS_4cuda6detail10TensorInfoIT_T0_EENS4_IKS5_S6_EEllS6_,@function
_ZN2at6native16triu_tril_kernelIslLb1ELi4ELb0EEEvNS_4cuda6detail10TensorInfoIT_T0_EENS4_IKS5_S6_EEllS6_: ; @_ZN2at6native16triu_tril_kernelIslLb1ELi4ELb0EEEvNS_4cuda6detail10TensorInfoIT_T0_EENS4_IKS5_S6_EEllS6_
; %bb.0:
	s_load_dword s2, s[4:5], 0x364
	s_load_dwordx4 s[8:11], s[4:5], 0x340
	s_add_u32 s0, s4, 0x358
	v_mov_b32_e32 v2, 0
	s_addc_u32 s1, s5, 0
	s_waitcnt lgkmcnt(0)
	s_and_b32 s12, s2, 0xffff
	v_mov_b32_e32 v1, v2
	v_mov_b32_e32 v3, s6
	v_mad_u64_u32 v[0:1], s[2:3], s12, v3, v[0:1]
	s_mov_b32 s33, 0xffff
	v_lshlrev_b64 v[0:1], 2, v[0:1]
	v_cmp_gt_i64_e32 vcc, s[10:11], v[0:1]
	s_and_saveexec_b64 s[2:3], vcc
	s_cbranch_execz .LBB71_44
; %bb.1:
	s_load_dword s1, s[0:1], 0x0
	s_nop 0
	s_load_dword s0, s[4:5], 0x338
	s_load_dwordx2 s[2:3], s[4:5], 0x350
	s_load_dwordx2 s[6:7], s[4:5], 0x1a0
	s_add_u32 s74, s4, 0x1a0
	s_addc_u32 s75, s5, 0
	s_mov_b32 s46, s8
	s_waitcnt lgkmcnt(0)
	s_mul_i32 s30, s1, s12
	s_ashr_i32 s1, s0, 31
	s_lshl_b64 s[20:21], s[0:1], 3
	s_add_u32 s22, s74, s20
	s_addc_u32 s23, s75, s21
	s_add_u32 s26, s22, -8
	s_addc_u32 s27, s23, -1
	s_load_dwordx4 s[12:15], s[26:27], 0x0
	s_load_dwordx4 s[16:19], s[22:23], 0xc0
	s_add_u32 s26, s4, s20
	s_addc_u32 s27, s5, s21
	s_load_dwordx4 s[20:23], s[26:27], 0xc0
	s_load_dwordx2 s[28:29], s[4:5], 0x0
	v_cmp_gt_i64_e64 s[24:25], s[0:1], 2
	s_add_i32 s26, s0, -3
	s_waitcnt lgkmcnt(0)
	s_mul_i32 s0, s19, 6
	s_mul_hi_u32 s1, s18, 6
	s_add_i32 s77, s1, s0
	s_mul_i32 s0, s23, 6
	s_mul_hi_u32 s1, s22, 6
	s_ashr_i32 s27, s26, 31
	s_lshl_b32 s76, s30, 2
	s_lshl_b64 s[30:31], s[18:19], 2
	s_lshl_b64 s[34:35], s[22:23], 2
	s_add_i32 s79, s1, s0
	s_bitcmp0_b32 s26, 0
	s_cselect_b64 s[36:37], -1, 0
	s_lshl_b64 s[0:1], s[26:27], 3
	s_add_u32 s38, s74, s0
	s_addc_u32 s39, s75, s1
	s_add_u32 s40, s4, s0
	s_addc_u32 s41, s5, s1
	s_add_u32 s42, s26, -1
	s_addc_u32 s43, s27, -1
	s_cmp_lg_u32 s26, 0
	s_cselect_b64 s[44:45], -1, 0
	s_add_u32 s81, s4, 0xc8
	s_mul_i32 s78, s18, 6
	s_mul_i32 s80, s22, 6
	s_mov_b32 s47, s9
	s_mov_b32 s48, s8
	;; [unrolled: 1-line block ×7, first 2 shown]
	s_addc_u32 s82, s5, 0
	s_mov_b64 s[4:5], 0
	s_mov_b32 s83, 0x5040100
	s_branch .LBB71_3
.LBB71_2:                               ;   in Loop: Header=BB71_3 Depth=1
	s_or_b64 exec, exec, s[0:1]
	v_add_co_u32_e32 v0, vcc, s76, v0
	v_addc_co_u32_e32 v1, vcc, 0, v1, vcc
	v_cmp_le_i64_e32 vcc, s[10:11], v[0:1]
	s_or_b64 s[4:5], vcc, s[4:5]
	s_andn2_b64 exec, exec, s[4:5]
	s_cbranch_execz .LBB71_44
.LBB71_3:                               ; =>This Loop Header: Depth=1
                                        ;     Child Loop BB71_21 Depth 2
	v_or_b32_e32 v3, s3, v1
	v_cmp_ne_u64_e32 vcc, 0, v[2:3]
                                        ; implicit-def: $vgpr6_vgpr7
	s_and_saveexec_b64 s[0:1], vcc
	s_xor_b64 s[54:55], exec, s[0:1]
	s_cbranch_execz .LBB71_5
; %bb.4:                                ;   in Loop: Header=BB71_3 Depth=1
	s_ashr_i32 s56, s3, 31
	s_add_u32 s0, s2, s56
	s_mov_b32 s57, s56
	s_addc_u32 s1, s3, s56
	s_xor_b64 s[58:59], s[0:1], s[56:57]
	v_cvt_f32_u32_e32 v3, s58
	v_cvt_f32_u32_e32 v4, s59
	s_sub_u32 s57, 0, s58
	s_subb_u32 s60, 0, s59
	v_ashrrev_i32_e32 v7, 31, v1
	v_mac_f32_e32 v3, 0x4f800000, v4
	v_rcp_f32_e32 v3, v3
	v_mul_f32_e32 v3, 0x5f7ffffc, v3
	v_mul_f32_e32 v4, 0x2f800000, v3
	v_trunc_f32_e32 v4, v4
	v_mac_f32_e32 v3, 0xcf800000, v4
	v_cvt_u32_f32_e32 v4, v4
	v_cvt_u32_f32_e32 v3, v3
	v_readfirstlane_b32 s61, v4
	v_readfirstlane_b32 s0, v3
	s_mul_i32 s1, s57, s61
	s_mul_hi_u32 s63, s57, s0
	s_mul_i32 s62, s60, s0
	s_add_i32 s1, s63, s1
	s_add_i32 s1, s1, s62
	s_mul_i32 s64, s57, s0
	s_mul_i32 s63, s0, s1
	s_mul_hi_u32 s65, s0, s64
	s_mul_hi_u32 s62, s0, s1
	s_add_u32 s63, s65, s63
	s_addc_u32 s62, 0, s62
	s_mul_hi_u32 s66, s61, s64
	s_mul_i32 s64, s61, s64
	s_add_u32 s63, s63, s64
	s_mul_hi_u32 s65, s61, s1
	s_addc_u32 s62, s62, s66
	s_addc_u32 s63, s65, 0
	s_mul_i32 s1, s61, s1
	s_add_u32 s1, s62, s1
	s_addc_u32 s62, 0, s63
	s_add_u32 s63, s0, s1
	s_cselect_b64 s[0:1], -1, 0
	s_cmp_lg_u64 s[0:1], 0
	s_addc_u32 s61, s61, s62
	s_mul_i32 s0, s57, s61
	s_mul_hi_u32 s1, s57, s63
	s_add_i32 s0, s1, s0
	s_mul_i32 s60, s60, s63
	s_add_i32 s0, s0, s60
	s_mul_i32 s57, s57, s63
	s_mul_hi_u32 s60, s61, s57
	s_mul_i32 s62, s61, s57
	s_mul_i32 s65, s63, s0
	s_mul_hi_u32 s57, s63, s57
	s_mul_hi_u32 s64, s63, s0
	s_add_u32 s57, s57, s65
	s_addc_u32 s64, 0, s64
	s_add_u32 s57, s57, s62
	s_mul_hi_u32 s1, s61, s0
	s_addc_u32 s57, s64, s60
	s_addc_u32 s1, s1, 0
	s_mul_i32 s0, s61, s0
	s_add_u32 s0, s57, s0
	s_addc_u32 s57, 0, s1
	s_add_u32 s60, s63, s0
	s_cselect_b64 s[0:1], -1, 0
	s_cmp_lg_u64 s[0:1], 0
	v_add_co_u32_e32 v3, vcc, v0, v7
	s_addc_u32 s57, s61, s57
	v_xor_b32_e32 v8, v3, v7
	v_mad_u64_u32 v[3:4], s[0:1], v8, s57, 0
	v_mul_hi_u32 v6, v8, s60
	v_addc_co_u32_e32 v5, vcc, v1, v7, vcc
	v_xor_b32_e32 v9, v5, v7
	v_add_co_u32_e32 v10, vcc, v6, v3
	v_addc_co_u32_e32 v11, vcc, 0, v4, vcc
	v_mad_u64_u32 v[3:4], s[0:1], v9, s60, 0
	v_mad_u64_u32 v[5:6], s[0:1], v9, s57, 0
	v_add_co_u32_e32 v3, vcc, v10, v3
	v_addc_co_u32_e32 v3, vcc, v11, v4, vcc
	v_addc_co_u32_e32 v4, vcc, 0, v6, vcc
	v_add_co_u32_e32 v5, vcc, v3, v5
	v_addc_co_u32_e32 v6, vcc, 0, v4, vcc
	v_mul_lo_u32 v10, s59, v5
	v_mul_lo_u32 v11, s58, v6
	v_mad_u64_u32 v[3:4], s[0:1], s58, v5, 0
	v_add3_u32 v4, v4, v11, v10
	v_sub_u32_e32 v10, v9, v4
	v_mov_b32_e32 v11, s59
	v_sub_co_u32_e32 v3, vcc, v8, v3
	v_subb_co_u32_e64 v8, s[0:1], v10, v11, vcc
	v_subrev_co_u32_e64 v10, s[0:1], s58, v3
	v_subbrev_co_u32_e64 v8, s[0:1], 0, v8, s[0:1]
	v_cmp_le_u32_e64 s[0:1], s59, v8
	v_cndmask_b32_e64 v11, 0, -1, s[0:1]
	v_cmp_le_u32_e64 s[0:1], s58, v10
	v_cndmask_b32_e64 v10, 0, -1, s[0:1]
	v_cmp_eq_u32_e64 s[0:1], s59, v8
	v_cndmask_b32_e64 v8, v11, v10, s[0:1]
	v_add_co_u32_e64 v10, s[0:1], 2, v5
	v_subb_co_u32_e32 v4, vcc, v9, v4, vcc
	v_addc_co_u32_e64 v11, s[0:1], 0, v6, s[0:1]
	v_cmp_le_u32_e32 vcc, s59, v4
	v_add_co_u32_e64 v12, s[0:1], 1, v5
	v_cndmask_b32_e64 v9, 0, -1, vcc
	v_cmp_le_u32_e32 vcc, s58, v3
	v_addc_co_u32_e64 v13, s[0:1], 0, v6, s[0:1]
	v_cndmask_b32_e64 v3, 0, -1, vcc
	v_cmp_eq_u32_e32 vcc, s59, v4
	v_cmp_ne_u32_e64 s[0:1], 0, v8
	v_cndmask_b32_e32 v3, v9, v3, vcc
	v_cmp_ne_u32_e32 vcc, 0, v3
	v_cndmask_b32_e64 v4, v12, v10, s[0:1]
	v_cndmask_b32_e64 v8, v13, v11, s[0:1]
	v_cndmask_b32_e32 v4, v5, v4, vcc
	v_xor_b32_e32 v5, s56, v7
	v_cndmask_b32_e32 v3, v6, v8, vcc
	v_xor_b32_e32 v4, v4, v5
	v_xor_b32_e32 v3, v3, v5
	v_sub_co_u32_e32 v6, vcc, v4, v5
	v_subb_co_u32_e32 v7, vcc, v3, v5, vcc
.LBB71_5:                               ;   in Loop: Header=BB71_3 Depth=1
	s_andn2_saveexec_b64 s[0:1], s[54:55]
	s_cbranch_execz .LBB71_7
; %bb.6:                                ;   in Loop: Header=BB71_3 Depth=1
	v_cvt_f32_u32_e32 v3, s2
	s_sub_i32 s54, 0, s2
	v_mov_b32_e32 v7, v2
	v_rcp_iflag_f32_e32 v3, v3
	v_mul_f32_e32 v3, 0x4f7ffffe, v3
	v_cvt_u32_f32_e32 v3, v3
	v_mul_lo_u32 v4, s54, v3
	v_mul_hi_u32 v4, v3, v4
	v_add_u32_e32 v3, v3, v4
	v_mul_hi_u32 v3, v0, v3
	v_mul_lo_u32 v4, v3, s2
	v_add_u32_e32 v5, 1, v3
	v_sub_u32_e32 v4, v0, v4
	v_subrev_u32_e32 v6, s2, v4
	v_cmp_le_u32_e32 vcc, s2, v4
	v_cndmask_b32_e32 v4, v4, v6, vcc
	v_cndmask_b32_e32 v3, v3, v5, vcc
	v_add_u32_e32 v5, 1, v3
	v_cmp_le_u32_e32 vcc, s2, v4
	v_cndmask_b32_e32 v6, v3, v5, vcc
.LBB71_7:                               ;   in Loop: Header=BB71_3 Depth=1
	s_or_b64 exec, exec, s[0:1]
	v_or_b32_e32 v3, s13, v7
	v_cmp_ne_u64_e32 vcc, 0, v[2:3]
                                        ; implicit-def: $vgpr10_vgpr11
	s_and_saveexec_b64 s[0:1], vcc
	s_xor_b64 s[54:55], exec, s[0:1]
	s_cbranch_execz .LBB71_9
; %bb.8:                                ;   in Loop: Header=BB71_3 Depth=1
	s_ashr_i32 s56, s13, 31
	s_add_u32 s0, s12, s56
	s_mov_b32 s57, s56
	s_addc_u32 s1, s13, s56
	s_xor_b64 s[58:59], s[0:1], s[56:57]
	v_cvt_f32_u32_e32 v3, s58
	v_cvt_f32_u32_e32 v4, s59
	s_sub_u32 s57, 0, s58
	s_subb_u32 s60, 0, s59
	v_ashrrev_i32_e32 v5, 31, v7
	v_mac_f32_e32 v3, 0x4f800000, v4
	v_rcp_f32_e32 v3, v3
	v_mul_f32_e32 v3, 0x5f7ffffc, v3
	v_mul_f32_e32 v4, 0x2f800000, v3
	v_trunc_f32_e32 v4, v4
	v_mac_f32_e32 v3, 0xcf800000, v4
	v_cvt_u32_f32_e32 v4, v4
	v_cvt_u32_f32_e32 v3, v3
	v_readfirstlane_b32 s61, v4
	v_readfirstlane_b32 s0, v3
	s_mul_i32 s1, s57, s61
	s_mul_hi_u32 s63, s57, s0
	s_mul_i32 s62, s60, s0
	s_add_i32 s1, s63, s1
	s_add_i32 s1, s1, s62
	s_mul_i32 s64, s57, s0
	s_mul_i32 s63, s0, s1
	s_mul_hi_u32 s65, s0, s64
	s_mul_hi_u32 s62, s0, s1
	s_add_u32 s63, s65, s63
	s_addc_u32 s62, 0, s62
	s_mul_hi_u32 s66, s61, s64
	s_mul_i32 s64, s61, s64
	s_add_u32 s63, s63, s64
	s_mul_hi_u32 s65, s61, s1
	s_addc_u32 s62, s62, s66
	s_addc_u32 s63, s65, 0
	s_mul_i32 s1, s61, s1
	s_add_u32 s1, s62, s1
	s_addc_u32 s62, 0, s63
	s_add_u32 s63, s0, s1
	s_cselect_b64 s[0:1], -1, 0
	s_cmp_lg_u64 s[0:1], 0
	s_addc_u32 s61, s61, s62
	s_mul_i32 s0, s57, s61
	s_mul_hi_u32 s1, s57, s63
	s_add_i32 s0, s1, s0
	s_mul_i32 s60, s60, s63
	s_add_i32 s0, s0, s60
	s_mul_i32 s57, s57, s63
	s_mul_hi_u32 s60, s61, s57
	s_mul_i32 s62, s61, s57
	s_mul_i32 s65, s63, s0
	s_mul_hi_u32 s57, s63, s57
	s_mul_hi_u32 s64, s63, s0
	s_add_u32 s57, s57, s65
	s_addc_u32 s64, 0, s64
	s_add_u32 s57, s57, s62
	s_mul_hi_u32 s1, s61, s0
	s_addc_u32 s57, s64, s60
	s_addc_u32 s1, s1, 0
	s_mul_i32 s0, s61, s0
	s_add_u32 s0, s57, s0
	s_addc_u32 s57, 0, s1
	s_add_u32 s60, s63, s0
	s_cselect_b64 s[0:1], -1, 0
	s_cmp_lg_u64 s[0:1], 0
	v_add_co_u32_e32 v3, vcc, v6, v5
	s_addc_u32 s57, s61, s57
	v_xor_b32_e32 v10, v3, v5
	v_mad_u64_u32 v[3:4], s[0:1], v10, s57, 0
	v_mul_hi_u32 v9, v10, s60
	v_addc_co_u32_e32 v8, vcc, v7, v5, vcc
	v_xor_b32_e32 v11, v8, v5
	v_add_co_u32_e32 v12, vcc, v9, v3
	v_addc_co_u32_e32 v13, vcc, 0, v4, vcc
	v_mad_u64_u32 v[3:4], s[0:1], v11, s60, 0
	v_mad_u64_u32 v[8:9], s[0:1], v11, s57, 0
	v_add_co_u32_e32 v3, vcc, v12, v3
	v_addc_co_u32_e32 v3, vcc, v13, v4, vcc
	v_addc_co_u32_e32 v4, vcc, 0, v9, vcc
	v_add_co_u32_e32 v8, vcc, v3, v8
	v_addc_co_u32_e32 v9, vcc, 0, v4, vcc
	v_mul_lo_u32 v12, s59, v8
	v_mul_lo_u32 v13, s58, v9
	v_mad_u64_u32 v[3:4], s[0:1], s58, v8, 0
	v_xor_b32_e32 v5, s56, v5
	v_add3_u32 v4, v4, v13, v12
	v_sub_u32_e32 v12, v11, v4
	v_mov_b32_e32 v13, s59
	v_sub_co_u32_e32 v3, vcc, v10, v3
	v_subb_co_u32_e64 v10, s[0:1], v12, v13, vcc
	v_subrev_co_u32_e64 v12, s[0:1], s58, v3
	v_subbrev_co_u32_e64 v10, s[0:1], 0, v10, s[0:1]
	v_cmp_le_u32_e64 s[0:1], s59, v10
	v_cndmask_b32_e64 v13, 0, -1, s[0:1]
	v_cmp_le_u32_e64 s[0:1], s58, v12
	v_cndmask_b32_e64 v12, 0, -1, s[0:1]
	v_cmp_eq_u32_e64 s[0:1], s59, v10
	v_cndmask_b32_e64 v10, v13, v12, s[0:1]
	v_add_co_u32_e64 v12, s[0:1], 2, v8
	v_subb_co_u32_e32 v4, vcc, v11, v4, vcc
	v_addc_co_u32_e64 v13, s[0:1], 0, v9, s[0:1]
	v_cmp_le_u32_e32 vcc, s59, v4
	v_add_co_u32_e64 v14, s[0:1], 1, v8
	v_cndmask_b32_e64 v11, 0, -1, vcc
	v_cmp_le_u32_e32 vcc, s58, v3
	v_addc_co_u32_e64 v15, s[0:1], 0, v9, s[0:1]
	v_cndmask_b32_e64 v3, 0, -1, vcc
	v_cmp_eq_u32_e32 vcc, s59, v4
	v_cmp_ne_u32_e64 s[0:1], 0, v10
	v_cndmask_b32_e32 v3, v11, v3, vcc
	v_cmp_ne_u32_e32 vcc, 0, v3
	v_cndmask_b32_e64 v4, v14, v12, s[0:1]
	v_cndmask_b32_e64 v10, v15, v13, s[0:1]
	v_cndmask_b32_e32 v4, v8, v4, vcc
	v_cndmask_b32_e32 v3, v9, v10, vcc
	v_xor_b32_e32 v4, v4, v5
	v_xor_b32_e32 v3, v3, v5
	v_sub_co_u32_e32 v10, vcc, v4, v5
	v_subb_co_u32_e32 v11, vcc, v3, v5, vcc
.LBB71_9:                               ;   in Loop: Header=BB71_3 Depth=1
	s_andn2_saveexec_b64 s[0:1], s[54:55]
	s_cbranch_execz .LBB71_11
; %bb.10:                               ;   in Loop: Header=BB71_3 Depth=1
	v_cvt_f32_u32_e32 v3, s12
	s_sub_i32 s54, 0, s12
	v_mov_b32_e32 v11, v2
	v_rcp_iflag_f32_e32 v3, v3
	v_mul_f32_e32 v3, 0x4f7ffffe, v3
	v_cvt_u32_f32_e32 v3, v3
	v_mul_lo_u32 v4, s54, v3
	v_mul_hi_u32 v4, v3, v4
	v_add_u32_e32 v3, v3, v4
	v_mul_hi_u32 v3, v6, v3
	v_mul_lo_u32 v4, v3, s12
	v_add_u32_e32 v5, 1, v3
	v_sub_u32_e32 v4, v6, v4
	v_subrev_u32_e32 v8, s12, v4
	v_cmp_le_u32_e32 vcc, s12, v4
	v_cndmask_b32_e32 v4, v4, v8, vcc
	v_cndmask_b32_e32 v3, v3, v5, vcc
	v_add_u32_e32 v5, 1, v3
	v_cmp_le_u32_e32 vcc, s12, v4
	v_cndmask_b32_e32 v10, v3, v5, vcc
.LBB71_11:                              ;   in Loop: Header=BB71_3 Depth=1
	s_or_b64 exec, exec, s[0:1]
	v_mul_lo_u32 v5, v7, s2
	v_mul_lo_u32 v8, v6, s3
	v_mad_u64_u32 v[3:4], s[0:1], v6, s2, 0
	v_mul_lo_u32 v12, v11, s12
	v_mul_lo_u32 v13, v10, s13
	v_add3_u32 v5, v4, v8, v5
	v_mad_u64_u32 v[8:9], s[0:1], v10, s12, 0
	v_sub_co_u32_e32 v4, vcc, v0, v3
	v_subb_co_u32_e32 v5, vcc, v1, v5, vcc
	v_add3_u32 v3, v9, v13, v12
	v_mul_lo_u32 v9, s19, v4
	v_mul_lo_u32 v14, s18, v5
	v_mad_u64_u32 v[12:13], s[0:1], s18, v4, 0
	v_sub_co_u32_e32 v16, vcc, v6, v8
	v_subb_co_u32_e32 v17, vcc, v7, v3, vcc
	v_add3_u32 v13, v13, v14, v9
	v_mul_lo_u32 v3, s23, v4
	v_mul_lo_u32 v14, s22, v5
	v_mad_u64_u32 v[6:7], s[0:1], s22, v4, 0
	v_mad_u64_u32 v[8:9], s[0:1], s16, v16, v[12:13]
	v_mul_lo_u32 v12, s16, v17
	v_mul_lo_u32 v13, s17, v16
	v_add3_u32 v7, v7, v14, v3
	v_mad_u64_u32 v[6:7], s[0:1], s20, v16, v[6:7]
	v_add3_u32 v9, v13, v9, v12
	v_mul_lo_u32 v3, s20, v17
	v_mul_lo_u32 v12, s21, v16
	s_andn2_b64 vcc, exec, s[24:25]
	v_add3_u32 v7, v12, v7, v3
	s_cbranch_vccnz .LBB71_29
; %bb.12:                               ;   in Loop: Header=BB71_3 Depth=1
	s_andn2_b64 vcc, exec, s[36:37]
	s_cbranch_vccnz .LBB71_18
; %bb.13:                               ;   in Loop: Header=BB71_3 Depth=1
	s_load_dwordx2 s[54:55], s[38:39], 0x8
                                        ; implicit-def: $vgpr12_vgpr13
	s_waitcnt lgkmcnt(0)
	v_or_b32_e32 v3, s55, v11
	v_cmp_ne_u64_e32 vcc, 0, v[2:3]
	s_and_saveexec_b64 s[0:1], vcc
	s_xor_b64 s[56:57], exec, s[0:1]
	s_cbranch_execz .LBB71_15
; %bb.14:                               ;   in Loop: Header=BB71_3 Depth=1
	s_ashr_i32 s58, s55, 31
	s_add_u32 s0, s54, s58
	s_mov_b32 s59, s58
	s_addc_u32 s1, s55, s58
	s_xor_b64 s[60:61], s[0:1], s[58:59]
	v_cvt_f32_u32_e32 v3, s60
	v_cvt_f32_u32_e32 v12, s61
	s_sub_u32 s59, 0, s60
	s_subb_u32 s62, 0, s61
	v_mac_f32_e32 v3, 0x4f800000, v12
	v_rcp_f32_e32 v3, v3
	v_mul_f32_e32 v3, 0x5f7ffffc, v3
	v_mul_f32_e32 v12, 0x2f800000, v3
	v_trunc_f32_e32 v12, v12
	v_mac_f32_e32 v3, 0xcf800000, v12
	v_cvt_u32_f32_e32 v12, v12
	v_cvt_u32_f32_e32 v3, v3
	v_readfirstlane_b32 s63, v12
	v_readfirstlane_b32 s0, v3
	s_mul_i32 s1, s59, s63
	s_mul_hi_u32 s65, s59, s0
	s_mul_i32 s64, s62, s0
	s_add_i32 s1, s65, s1
	s_add_i32 s1, s1, s64
	s_mul_i32 s66, s59, s0
	s_mul_i32 s65, s0, s1
	s_mul_hi_u32 s67, s0, s66
	s_mul_hi_u32 s64, s0, s1
	s_add_u32 s65, s67, s65
	s_addc_u32 s64, 0, s64
	s_mul_hi_u32 s68, s63, s66
	s_mul_i32 s66, s63, s66
	s_add_u32 s65, s65, s66
	s_mul_hi_u32 s67, s63, s1
	s_addc_u32 s64, s64, s68
	s_addc_u32 s65, s67, 0
	s_mul_i32 s1, s63, s1
	s_add_u32 s1, s64, s1
	s_addc_u32 s64, 0, s65
	s_add_u32 s65, s0, s1
	s_cselect_b64 s[0:1], -1, 0
	s_cmp_lg_u64 s[0:1], 0
	s_addc_u32 s63, s63, s64
	s_mul_i32 s0, s59, s63
	s_mul_hi_u32 s1, s59, s65
	s_add_i32 s0, s1, s0
	s_mul_i32 s62, s62, s65
	s_add_i32 s0, s0, s62
	s_mul_i32 s59, s59, s65
	s_mul_hi_u32 s62, s63, s59
	s_mul_i32 s64, s63, s59
	s_mul_i32 s67, s65, s0
	s_mul_hi_u32 s59, s65, s59
	s_mul_hi_u32 s66, s65, s0
	s_add_u32 s59, s59, s67
	s_addc_u32 s66, 0, s66
	s_add_u32 s59, s59, s64
	s_mul_hi_u32 s1, s63, s0
	s_addc_u32 s59, s66, s62
	s_addc_u32 s1, s1, 0
	s_mul_i32 s0, s63, s0
	s_add_u32 s0, s59, s0
	s_addc_u32 s59, 0, s1
	s_add_u32 s62, s65, s0
	s_cselect_b64 s[0:1], -1, 0
	v_ashrrev_i32_e32 v3, 31, v11
	s_cmp_lg_u64 s[0:1], 0
	v_add_co_u32_e32 v12, vcc, v10, v3
	s_addc_u32 s59, s63, s59
	v_xor_b32_e32 v18, v12, v3
	v_mad_u64_u32 v[12:13], s[0:1], v18, s59, 0
	v_mul_hi_u32 v15, v18, s62
	v_addc_co_u32_e32 v14, vcc, v11, v3, vcc
	v_xor_b32_e32 v19, v14, v3
	v_add_co_u32_e32 v20, vcc, v15, v12
	v_addc_co_u32_e32 v21, vcc, 0, v13, vcc
	v_mad_u64_u32 v[12:13], s[0:1], v19, s62, 0
	v_mad_u64_u32 v[14:15], s[0:1], v19, s59, 0
	v_add_co_u32_e32 v12, vcc, v20, v12
	v_addc_co_u32_e32 v12, vcc, v21, v13, vcc
	v_addc_co_u32_e32 v13, vcc, 0, v15, vcc
	v_add_co_u32_e32 v14, vcc, v12, v14
	v_addc_co_u32_e32 v15, vcc, 0, v13, vcc
	v_mul_lo_u32 v20, s61, v14
	v_mul_lo_u32 v21, s60, v15
	v_mad_u64_u32 v[12:13], s[0:1], s60, v14, 0
	v_xor_b32_e32 v3, s58, v3
	v_add3_u32 v13, v13, v21, v20
	v_sub_u32_e32 v20, v19, v13
	v_mov_b32_e32 v21, s61
	v_sub_co_u32_e32 v12, vcc, v18, v12
	v_subb_co_u32_e64 v18, s[0:1], v20, v21, vcc
	v_subrev_co_u32_e64 v20, s[0:1], s60, v12
	v_subbrev_co_u32_e64 v18, s[0:1], 0, v18, s[0:1]
	v_cmp_le_u32_e64 s[0:1], s61, v18
	v_cndmask_b32_e64 v21, 0, -1, s[0:1]
	v_cmp_le_u32_e64 s[0:1], s60, v20
	v_cndmask_b32_e64 v20, 0, -1, s[0:1]
	v_cmp_eq_u32_e64 s[0:1], s61, v18
	v_cndmask_b32_e64 v18, v21, v20, s[0:1]
	v_add_co_u32_e64 v20, s[0:1], 2, v14
	v_subb_co_u32_e32 v13, vcc, v19, v13, vcc
	v_addc_co_u32_e64 v21, s[0:1], 0, v15, s[0:1]
	v_cmp_le_u32_e32 vcc, s61, v13
	v_add_co_u32_e64 v22, s[0:1], 1, v14
	v_cndmask_b32_e64 v19, 0, -1, vcc
	v_cmp_le_u32_e32 vcc, s60, v12
	v_addc_co_u32_e64 v23, s[0:1], 0, v15, s[0:1]
	v_cndmask_b32_e64 v12, 0, -1, vcc
	v_cmp_eq_u32_e32 vcc, s61, v13
	v_cmp_ne_u32_e64 s[0:1], 0, v18
	v_cndmask_b32_e32 v12, v19, v12, vcc
	v_cndmask_b32_e64 v18, v23, v21, s[0:1]
	v_cmp_ne_u32_e32 vcc, 0, v12
	v_cndmask_b32_e64 v13, v22, v20, s[0:1]
	v_cndmask_b32_e32 v12, v15, v18, vcc
	v_cndmask_b32_e32 v13, v14, v13, vcc
	v_xor_b32_e32 v14, v12, v3
	v_xor_b32_e32 v12, v13, v3
	v_sub_co_u32_e32 v12, vcc, v12, v3
	v_subb_co_u32_e32 v13, vcc, v14, v3, vcc
.LBB71_15:                              ;   in Loop: Header=BB71_3 Depth=1
	s_andn2_saveexec_b64 s[0:1], s[56:57]
	s_cbranch_execz .LBB71_17
; %bb.16:                               ;   in Loop: Header=BB71_3 Depth=1
	v_cvt_f32_u32_e32 v3, s54
	s_sub_i32 s56, 0, s54
	v_rcp_iflag_f32_e32 v3, v3
	v_mul_f32_e32 v3, 0x4f7ffffe, v3
	v_cvt_u32_f32_e32 v3, v3
	v_mul_lo_u32 v12, s56, v3
	v_mul_hi_u32 v12, v3, v12
	v_add_u32_e32 v3, v3, v12
	v_mul_hi_u32 v3, v10, v3
	v_mul_lo_u32 v12, v3, s54
	v_add_u32_e32 v13, 1, v3
	v_sub_u32_e32 v12, v10, v12
	v_subrev_u32_e32 v14, s54, v12
	v_cmp_le_u32_e32 vcc, s54, v12
	v_cndmask_b32_e32 v12, v12, v14, vcc
	v_cndmask_b32_e32 v3, v3, v13, vcc
	v_add_u32_e32 v13, 1, v3
	v_cmp_le_u32_e32 vcc, s54, v12
	v_cndmask_b32_e32 v12, v3, v13, vcc
	v_mov_b32_e32 v13, v2
.LBB71_17:                              ;   in Loop: Header=BB71_3 Depth=1
	s_or_b64 exec, exec, s[0:1]
	v_mul_lo_u32 v3, v13, s54
	v_mul_lo_u32 v18, v12, s55
	v_mad_u64_u32 v[14:15], s[0:1], v12, s54, 0
	s_load_dwordx2 s[0:1], s[38:39], 0xd0
	s_load_dwordx2 s[54:55], s[40:41], 0xd0
	v_add3_u32 v3, v15, v18, v3
	v_sub_co_u32_e32 v10, vcc, v10, v14
	v_subb_co_u32_e32 v3, vcc, v11, v3, vcc
	s_waitcnt lgkmcnt(0)
	v_mul_lo_u32 v11, s0, v3
	v_mul_lo_u32 v14, s1, v10
	v_mad_u64_u32 v[8:9], s[0:1], s0, v10, v[8:9]
	v_mul_lo_u32 v3, s54, v3
	v_mul_lo_u32 v15, s55, v10
	v_mad_u64_u32 v[6:7], s[0:1], s54, v10, v[6:7]
	v_add3_u32 v9, v14, v9, v11
	v_mov_b32_e32 v10, v12
	v_add3_u32 v7, v15, v7, v3
	v_mov_b32_e32 v11, v13
	s_mov_b64 s[0:1], s[42:43]
	s_andn2_b64 vcc, exec, s[44:45]
	s_cbranch_vccz .LBB71_19
	s_branch .LBB71_29
.LBB71_18:                              ;   in Loop: Header=BB71_3 Depth=1
	s_mov_b64 s[0:1], s[26:27]
	s_andn2_b64 vcc, exec, s[44:45]
	s_cbranch_vccnz .LBB71_29
.LBB71_19:                              ;   in Loop: Header=BB71_3 Depth=1
	s_lshl_b64 s[56:57], s[0:1], 3
	s_add_u32 s54, s81, s56
	s_addc_u32 s55, s82, s57
	s_add_u32 s56, s74, s56
	s_addc_u32 s57, s75, s57
	;; [unrolled: 2-line block ×3, first 2 shown]
	s_branch .LBB71_21
.LBB71_20:                              ;   in Loop: Header=BB71_21 Depth=2
	s_or_b64 exec, exec, s[0:1]
	v_mul_lo_u32 v3, v13, s60
	v_mul_lo_u32 v20, v12, s61
	v_mad_u64_u32 v[18:19], s[0:1], v12, s60, 0
	v_mul_lo_u32 v21, v15, s62
	v_mul_lo_u32 v22, v14, s63
	v_add3_u32 v3, v19, v20, v3
	v_sub_co_u32_e32 v10, vcc, v10, v18
	v_subb_co_u32_e32 v3, vcc, v11, v3, vcc
	v_mul_lo_u32 v18, s66, v3
	v_mul_lo_u32 v19, s67, v10
	v_mad_u64_u32 v[8:9], s[0:1], s66, v10, v[8:9]
	v_mul_lo_u32 v3, s64, v3
	v_mul_lo_u32 v20, s65, v10
	v_mad_u64_u32 v[6:7], s[0:1], s64, v10, v[6:7]
	v_mad_u64_u32 v[10:11], s[0:1], v14, s62, 0
	s_load_dwordx2 s[0:1], s[56:57], 0xc8
	s_load_dwordx2 s[60:61], s[54:55], 0x0
	v_add3_u32 v7, v20, v7, v3
	v_add3_u32 v3, v11, v22, v21
	v_sub_co_u32_e32 v10, vcc, v12, v10
	v_add3_u32 v9, v19, v9, v18
	v_subb_co_u32_e32 v3, vcc, v13, v3, vcc
	s_add_u32 s54, s54, -16
	s_waitcnt lgkmcnt(0)
	v_mad_u64_u32 v[8:9], s[62:63], s0, v10, v[8:9]
	v_mul_lo_u32 v11, s0, v3
	v_mul_lo_u32 v12, s1, v10
	v_mad_u64_u32 v[6:7], s[0:1], s60, v10, v[6:7]
	v_mul_lo_u32 v3, s60, v3
	v_mul_lo_u32 v10, s61, v10
	s_addc_u32 s55, s55, -1
	s_add_u32 s56, s56, -16
	s_addc_u32 s57, s57, -1
	s_add_u32 s58, s58, -2
	v_add3_u32 v9, v12, v9, v11
	v_add3_u32 v7, v10, v7, v3
	s_addc_u32 s59, s59, -1
	v_mov_b32_e32 v10, v14
	s_cmp_eq_u64 s[58:59], 0
	v_mov_b32_e32 v11, v15
	s_cbranch_scc1 .LBB71_29
.LBB71_21:                              ;   Parent Loop BB71_3 Depth=1
                                        ; =>  This Inner Loop Header: Depth=2
	s_load_dwordx2 s[60:61], s[56:57], 0x8
                                        ; implicit-def: $vgpr12_vgpr13
	s_waitcnt lgkmcnt(0)
	v_or_b32_e32 v3, s61, v11
	v_cmp_ne_u64_e32 vcc, 0, v[2:3]
	s_and_saveexec_b64 s[0:1], vcc
	s_xor_b64 s[62:63], exec, s[0:1]
	s_cbranch_execz .LBB71_23
; %bb.22:                               ;   in Loop: Header=BB71_21 Depth=2
	s_ashr_i32 s64, s61, 31
	s_add_u32 s0, s60, s64
	s_mov_b32 s65, s64
	s_addc_u32 s1, s61, s64
	s_xor_b64 s[66:67], s[0:1], s[64:65]
	v_cvt_f32_u32_e32 v3, s66
	v_cvt_f32_u32_e32 v12, s67
	s_sub_u32 s65, 0, s66
	s_subb_u32 s68, 0, s67
	v_mac_f32_e32 v3, 0x4f800000, v12
	v_rcp_f32_e32 v3, v3
	v_mul_f32_e32 v3, 0x5f7ffffc, v3
	v_mul_f32_e32 v12, 0x2f800000, v3
	v_trunc_f32_e32 v12, v12
	v_mac_f32_e32 v3, 0xcf800000, v12
	v_cvt_u32_f32_e32 v12, v12
	v_cvt_u32_f32_e32 v3, v3
	v_readfirstlane_b32 s69, v12
	v_readfirstlane_b32 s0, v3
	s_mul_i32 s1, s65, s69
	s_mul_hi_u32 s71, s65, s0
	s_mul_i32 s70, s68, s0
	s_add_i32 s1, s71, s1
	s_add_i32 s1, s1, s70
	s_mul_i32 s72, s65, s0
	s_mul_i32 s71, s0, s1
	s_mul_hi_u32 s73, s0, s72
	s_mul_hi_u32 s70, s0, s1
	s_add_u32 s71, s73, s71
	s_addc_u32 s70, 0, s70
	s_mul_hi_u32 s84, s69, s72
	s_mul_i32 s72, s69, s72
	s_add_u32 s71, s71, s72
	s_mul_hi_u32 s73, s69, s1
	s_addc_u32 s70, s70, s84
	s_addc_u32 s71, s73, 0
	s_mul_i32 s1, s69, s1
	s_add_u32 s1, s70, s1
	s_addc_u32 s70, 0, s71
	s_add_u32 s71, s0, s1
	s_cselect_b64 s[0:1], -1, 0
	s_cmp_lg_u64 s[0:1], 0
	s_addc_u32 s69, s69, s70
	s_mul_i32 s0, s65, s69
	s_mul_hi_u32 s1, s65, s71
	s_add_i32 s0, s1, s0
	s_mul_i32 s68, s68, s71
	s_add_i32 s0, s0, s68
	s_mul_i32 s65, s65, s71
	s_mul_hi_u32 s68, s69, s65
	s_mul_i32 s70, s69, s65
	s_mul_i32 s73, s71, s0
	s_mul_hi_u32 s65, s71, s65
	s_mul_hi_u32 s72, s71, s0
	s_add_u32 s65, s65, s73
	s_addc_u32 s72, 0, s72
	s_add_u32 s65, s65, s70
	s_mul_hi_u32 s1, s69, s0
	s_addc_u32 s65, s72, s68
	s_addc_u32 s1, s1, 0
	s_mul_i32 s0, s69, s0
	s_add_u32 s0, s65, s0
	s_addc_u32 s65, 0, s1
	s_add_u32 s68, s71, s0
	s_cselect_b64 s[0:1], -1, 0
	v_ashrrev_i32_e32 v3, 31, v11
	s_cmp_lg_u64 s[0:1], 0
	v_add_co_u32_e32 v12, vcc, v10, v3
	s_addc_u32 s65, s69, s65
	v_xor_b32_e32 v18, v12, v3
	v_mad_u64_u32 v[12:13], s[0:1], v18, s65, 0
	v_mul_hi_u32 v15, v18, s68
	v_addc_co_u32_e32 v14, vcc, v11, v3, vcc
	v_xor_b32_e32 v19, v14, v3
	v_add_co_u32_e32 v20, vcc, v15, v12
	v_addc_co_u32_e32 v21, vcc, 0, v13, vcc
	v_mad_u64_u32 v[12:13], s[0:1], v19, s68, 0
	v_mad_u64_u32 v[14:15], s[0:1], v19, s65, 0
	v_add_co_u32_e32 v12, vcc, v20, v12
	v_addc_co_u32_e32 v12, vcc, v21, v13, vcc
	v_addc_co_u32_e32 v13, vcc, 0, v15, vcc
	v_add_co_u32_e32 v14, vcc, v12, v14
	v_addc_co_u32_e32 v15, vcc, 0, v13, vcc
	v_mul_lo_u32 v20, s67, v14
	v_mul_lo_u32 v21, s66, v15
	v_mad_u64_u32 v[12:13], s[0:1], s66, v14, 0
	v_xor_b32_e32 v3, s64, v3
	v_add3_u32 v13, v13, v21, v20
	v_sub_u32_e32 v20, v19, v13
	v_mov_b32_e32 v21, s67
	v_sub_co_u32_e32 v12, vcc, v18, v12
	v_subb_co_u32_e64 v18, s[0:1], v20, v21, vcc
	v_subrev_co_u32_e64 v20, s[0:1], s66, v12
	v_subbrev_co_u32_e64 v18, s[0:1], 0, v18, s[0:1]
	v_cmp_le_u32_e64 s[0:1], s67, v18
	v_cndmask_b32_e64 v21, 0, -1, s[0:1]
	v_cmp_le_u32_e64 s[0:1], s66, v20
	v_cndmask_b32_e64 v20, 0, -1, s[0:1]
	v_cmp_eq_u32_e64 s[0:1], s67, v18
	v_cndmask_b32_e64 v18, v21, v20, s[0:1]
	v_add_co_u32_e64 v20, s[0:1], 2, v14
	v_subb_co_u32_e32 v13, vcc, v19, v13, vcc
	v_addc_co_u32_e64 v21, s[0:1], 0, v15, s[0:1]
	v_cmp_le_u32_e32 vcc, s67, v13
	v_add_co_u32_e64 v22, s[0:1], 1, v14
	v_cndmask_b32_e64 v19, 0, -1, vcc
	v_cmp_le_u32_e32 vcc, s66, v12
	v_addc_co_u32_e64 v23, s[0:1], 0, v15, s[0:1]
	v_cndmask_b32_e64 v12, 0, -1, vcc
	v_cmp_eq_u32_e32 vcc, s67, v13
	v_cmp_ne_u32_e64 s[0:1], 0, v18
	v_cndmask_b32_e32 v12, v19, v12, vcc
	v_cndmask_b32_e64 v18, v23, v21, s[0:1]
	v_cmp_ne_u32_e32 vcc, 0, v12
	v_cndmask_b32_e64 v13, v22, v20, s[0:1]
	v_cndmask_b32_e32 v12, v15, v18, vcc
	v_cndmask_b32_e32 v13, v14, v13, vcc
	v_xor_b32_e32 v14, v12, v3
	v_xor_b32_e32 v12, v13, v3
	v_sub_co_u32_e32 v12, vcc, v12, v3
	v_subb_co_u32_e32 v13, vcc, v14, v3, vcc
.LBB71_23:                              ;   in Loop: Header=BB71_21 Depth=2
	s_andn2_saveexec_b64 s[0:1], s[62:63]
	s_cbranch_execz .LBB71_25
; %bb.24:                               ;   in Loop: Header=BB71_21 Depth=2
	v_cvt_f32_u32_e32 v3, s60
	s_sub_i32 s62, 0, s60
	v_rcp_iflag_f32_e32 v3, v3
	v_mul_f32_e32 v3, 0x4f7ffffe, v3
	v_cvt_u32_f32_e32 v3, v3
	v_mul_lo_u32 v12, s62, v3
	v_mul_hi_u32 v12, v3, v12
	v_add_u32_e32 v3, v3, v12
	v_mul_hi_u32 v3, v10, v3
	v_mul_lo_u32 v12, v3, s60
	v_add_u32_e32 v13, 1, v3
	v_sub_u32_e32 v12, v10, v12
	v_subrev_u32_e32 v14, s60, v12
	v_cmp_le_u32_e32 vcc, s60, v12
	v_cndmask_b32_e32 v12, v12, v14, vcc
	v_cndmask_b32_e32 v3, v3, v13, vcc
	v_add_u32_e32 v13, 1, v3
	v_cmp_le_u32_e32 vcc, s60, v12
	v_cndmask_b32_e32 v12, v3, v13, vcc
	v_mov_b32_e32 v13, v2
.LBB71_25:                              ;   in Loop: Header=BB71_21 Depth=2
	s_or_b64 exec, exec, s[0:1]
	s_load_dwordx2 s[62:63], s[56:57], 0x0
	s_load_dwordx2 s[66:67], s[56:57], 0xd0
	;; [unrolled: 1-line block ×3, first 2 shown]
                                        ; implicit-def: $vgpr14_vgpr15
	s_waitcnt lgkmcnt(0)
	v_or_b32_e32 v3, s63, v13
	v_cmp_ne_u64_e32 vcc, 0, v[2:3]
	s_and_saveexec_b64 s[0:1], vcc
	s_xor_b64 s[68:69], exec, s[0:1]
	s_cbranch_execz .LBB71_27
; %bb.26:                               ;   in Loop: Header=BB71_21 Depth=2
	s_ashr_i32 s70, s63, 31
	s_add_u32 s0, s62, s70
	s_mov_b32 s71, s70
	s_addc_u32 s1, s63, s70
	s_xor_b64 s[72:73], s[0:1], s[70:71]
	v_cvt_f32_u32_e32 v3, s72
	v_cvt_f32_u32_e32 v14, s73
	s_sub_u32 s71, 0, s72
	s_subb_u32 s84, 0, s73
	v_mac_f32_e32 v3, 0x4f800000, v14
	v_rcp_f32_e32 v3, v3
	v_mul_f32_e32 v3, 0x5f7ffffc, v3
	v_mul_f32_e32 v14, 0x2f800000, v3
	v_trunc_f32_e32 v14, v14
	v_mac_f32_e32 v3, 0xcf800000, v14
	v_cvt_u32_f32_e32 v14, v14
	v_cvt_u32_f32_e32 v3, v3
	v_readfirstlane_b32 s85, v14
	v_readfirstlane_b32 s0, v3
	s_mul_i32 s1, s71, s85
	s_mul_hi_u32 s87, s71, s0
	s_mul_i32 s86, s84, s0
	s_add_i32 s1, s87, s1
	s_add_i32 s1, s1, s86
	s_mul_i32 s88, s71, s0
	s_mul_i32 s87, s0, s1
	s_mul_hi_u32 s89, s0, s88
	s_mul_hi_u32 s86, s0, s1
	s_add_u32 s87, s89, s87
	s_addc_u32 s86, 0, s86
	s_mul_hi_u32 s90, s85, s88
	s_mul_i32 s88, s85, s88
	s_add_u32 s87, s87, s88
	s_mul_hi_u32 s89, s85, s1
	s_addc_u32 s86, s86, s90
	s_addc_u32 s87, s89, 0
	s_mul_i32 s1, s85, s1
	s_add_u32 s1, s86, s1
	s_addc_u32 s86, 0, s87
	s_add_u32 s87, s0, s1
	s_cselect_b64 s[0:1], -1, 0
	s_cmp_lg_u64 s[0:1], 0
	s_addc_u32 s85, s85, s86
	s_mul_i32 s0, s71, s85
	s_mul_hi_u32 s1, s71, s87
	s_add_i32 s0, s1, s0
	s_mul_i32 s84, s84, s87
	s_add_i32 s0, s0, s84
	s_mul_i32 s71, s71, s87
	s_mul_hi_u32 s84, s85, s71
	s_mul_i32 s86, s85, s71
	s_mul_i32 s89, s87, s0
	s_mul_hi_u32 s71, s87, s71
	s_mul_hi_u32 s88, s87, s0
	s_add_u32 s71, s71, s89
	s_addc_u32 s88, 0, s88
	s_add_u32 s71, s71, s86
	s_mul_hi_u32 s1, s85, s0
	s_addc_u32 s71, s88, s84
	s_addc_u32 s1, s1, 0
	s_mul_i32 s0, s85, s0
	s_add_u32 s0, s71, s0
	s_addc_u32 s71, 0, s1
	s_add_u32 s84, s87, s0
	s_cselect_b64 s[0:1], -1, 0
	v_ashrrev_i32_e32 v3, 31, v13
	s_cmp_lg_u64 s[0:1], 0
	v_add_co_u32_e32 v14, vcc, v12, v3
	s_addc_u32 s71, s85, s71
	v_xor_b32_e32 v20, v14, v3
	v_mad_u64_u32 v[14:15], s[0:1], v20, s71, 0
	v_mul_hi_u32 v18, v20, s84
	v_addc_co_u32_e32 v19, vcc, v13, v3, vcc
	v_xor_b32_e32 v21, v19, v3
	v_add_co_u32_e32 v22, vcc, v18, v14
	v_addc_co_u32_e32 v23, vcc, 0, v15, vcc
	v_mad_u64_u32 v[14:15], s[0:1], v21, s84, 0
	v_mad_u64_u32 v[18:19], s[0:1], v21, s71, 0
	v_add_co_u32_e32 v14, vcc, v22, v14
	v_addc_co_u32_e32 v14, vcc, v23, v15, vcc
	v_addc_co_u32_e32 v15, vcc, 0, v19, vcc
	v_add_co_u32_e32 v18, vcc, v14, v18
	v_addc_co_u32_e32 v19, vcc, 0, v15, vcc
	v_mul_lo_u32 v22, s73, v18
	v_mul_lo_u32 v23, s72, v19
	v_mad_u64_u32 v[14:15], s[0:1], s72, v18, 0
	v_xor_b32_e32 v3, s70, v3
	v_add3_u32 v15, v15, v23, v22
	v_sub_u32_e32 v22, v21, v15
	v_mov_b32_e32 v23, s73
	v_sub_co_u32_e32 v14, vcc, v20, v14
	v_subb_co_u32_e64 v20, s[0:1], v22, v23, vcc
	v_subrev_co_u32_e64 v22, s[0:1], s72, v14
	v_subbrev_co_u32_e64 v20, s[0:1], 0, v20, s[0:1]
	v_cmp_le_u32_e64 s[0:1], s73, v20
	v_cndmask_b32_e64 v23, 0, -1, s[0:1]
	v_cmp_le_u32_e64 s[0:1], s72, v22
	v_cndmask_b32_e64 v22, 0, -1, s[0:1]
	v_cmp_eq_u32_e64 s[0:1], s73, v20
	v_cndmask_b32_e64 v20, v23, v22, s[0:1]
	v_add_co_u32_e64 v22, s[0:1], 2, v18
	v_subb_co_u32_e32 v15, vcc, v21, v15, vcc
	v_addc_co_u32_e64 v23, s[0:1], 0, v19, s[0:1]
	v_cmp_le_u32_e32 vcc, s73, v15
	v_add_co_u32_e64 v24, s[0:1], 1, v18
	v_cndmask_b32_e64 v21, 0, -1, vcc
	v_cmp_le_u32_e32 vcc, s72, v14
	v_addc_co_u32_e64 v25, s[0:1], 0, v19, s[0:1]
	v_cndmask_b32_e64 v14, 0, -1, vcc
	v_cmp_eq_u32_e32 vcc, s73, v15
	v_cmp_ne_u32_e64 s[0:1], 0, v20
	v_cndmask_b32_e32 v14, v21, v14, vcc
	v_cndmask_b32_e64 v20, v25, v23, s[0:1]
	v_cmp_ne_u32_e32 vcc, 0, v14
	v_cndmask_b32_e64 v15, v24, v22, s[0:1]
	v_cndmask_b32_e32 v14, v19, v20, vcc
	v_cndmask_b32_e32 v15, v18, v15, vcc
	v_xor_b32_e32 v18, v14, v3
	v_xor_b32_e32 v14, v15, v3
	v_sub_co_u32_e32 v14, vcc, v14, v3
	v_subb_co_u32_e32 v15, vcc, v18, v3, vcc
.LBB71_27:                              ;   in Loop: Header=BB71_21 Depth=2
	s_andn2_saveexec_b64 s[0:1], s[68:69]
	s_cbranch_execz .LBB71_20
; %bb.28:                               ;   in Loop: Header=BB71_21 Depth=2
	v_cvt_f32_u32_e32 v3, s62
	s_sub_i32 s68, 0, s62
	v_rcp_iflag_f32_e32 v3, v3
	v_mul_f32_e32 v3, 0x4f7ffffe, v3
	v_cvt_u32_f32_e32 v3, v3
	v_mul_lo_u32 v14, s68, v3
	v_mul_hi_u32 v14, v3, v14
	v_add_u32_e32 v3, v3, v14
	v_mul_hi_u32 v3, v12, v3
	v_mul_lo_u32 v14, v3, s62
	v_add_u32_e32 v15, 1, v3
	v_sub_u32_e32 v14, v12, v14
	v_subrev_u32_e32 v18, s62, v14
	v_cmp_le_u32_e32 vcc, s62, v14
	v_cndmask_b32_e32 v14, v14, v18, vcc
	v_cndmask_b32_e32 v3, v3, v15, vcc
	v_add_u32_e32 v15, 1, v3
	v_cmp_le_u32_e32 vcc, s62, v14
	v_cndmask_b32_e32 v14, v3, v15, vcc
	v_mov_b32_e32 v15, v2
	s_branch .LBB71_20
.LBB71_29:                              ;   in Loop: Header=BB71_3 Depth=1
	v_sub_co_u32_e32 v10, vcc, v4, v16
	v_subb_co_u32_e32 v11, vcc, v5, v17, vcc
	v_add_co_u32_e32 v12, vcc, 4, v10
	v_addc_co_u32_e32 v13, vcc, 0, v11, vcc
	v_cmp_le_i64_e32 vcc, s[8:9], v[12:13]
	v_mov_b32_e32 v3, 0
	v_mov_b32_e32 v12, 0
	s_and_saveexec_b64 s[54:55], vcc
	s_cbranch_execz .LBB71_39
; %bb.30:                               ;   in Loop: Header=BB71_3 Depth=1
	v_cmp_gt_i64_e32 vcc, s[14:15], v[4:5]
	v_mov_b32_e32 v3, 0
	v_mov_b32_e32 v12, 0
	s_and_saveexec_b64 s[0:1], vcc
	s_cbranch_execz .LBB71_38
; %bb.31:                               ;   in Loop: Header=BB71_3 Depth=1
	v_lshlrev_b64 v[8:9], 1, v[8:9]
	v_mov_b32_e32 v3, s7
	v_add_co_u32_e32 v8, vcc, s6, v8
	v_addc_co_u32_e32 v9, vcc, v3, v9, vcc
	global_load_ushort v3, v[8:9], off
	v_add_co_u32_e32 v12, vcc, 1, v4
	v_addc_co_u32_e32 v13, vcc, 0, v5, vcc
	v_cmp_gt_i64_e32 vcc, s[14:15], v[12:13]
	v_mov_b32_e32 v12, 0
	s_waitcnt vmcnt(0)
	v_and_b32_e32 v3, 0xffff, v3
	s_and_saveexec_b64 s[56:57], vcc
	s_xor_b64 s[56:57], exec, s[56:57]
	s_cbranch_execz .LBB71_37
; %bb.32:                               ;   in Loop: Header=BB71_3 Depth=1
	s_lshl_b64 s[58:59], s[18:19], 1
	v_mov_b32_e32 v13, s59
	v_add_co_u32_e32 v12, vcc, s58, v8
	v_addc_co_u32_e32 v13, vcc, v9, v13, vcc
	global_load_ushort v14, v[12:13], off
	v_add_co_u32_e32 v12, vcc, 2, v4
	v_addc_co_u32_e32 v13, vcc, 0, v5, vcc
	v_cmp_gt_i64_e32 vcc, s[14:15], v[12:13]
	v_mov_b32_e32 v12, 0
	s_waitcnt vmcnt(0)
	v_perm_b32 v3, v14, v3, s83
	s_and_saveexec_b64 s[58:59], vcc
	s_xor_b64 s[58:59], exec, s[58:59]
	s_cbranch_execz .LBB71_36
; %bb.33:                               ;   in Loop: Header=BB71_3 Depth=1
	v_mov_b32_e32 v13, s31
	v_add_co_u32_e32 v12, vcc, s30, v8
	v_addc_co_u32_e32 v13, vcc, v9, v13, vcc
	global_load_ushort v14, v[12:13], off
	v_add_co_u32_e32 v12, vcc, 3, v4
	v_addc_co_u32_e32 v13, vcc, 0, v5, vcc
	v_cmp_gt_i64_e32 vcc, s[14:15], v[12:13]
	s_waitcnt vmcnt(0)
	v_bfi_b32 v12, s33, v14, 0
	s_and_saveexec_b64 s[60:61], vcc
	s_xor_b64 s[60:61], exec, s[60:61]
	s_cbranch_execz .LBB71_35
; %bb.34:                               ;   in Loop: Header=BB71_3 Depth=1
	v_mov_b32_e32 v13, s77
	v_add_co_u32_e32 v8, vcc, s78, v8
	v_addc_co_u32_e32 v9, vcc, v9, v13, vcc
	global_load_ushort v8, v[8:9], off
	s_waitcnt vmcnt(0)
	v_perm_b32 v12, v8, v12, s83
.LBB71_35:                              ;   in Loop: Header=BB71_3 Depth=1
	s_or_b64 exec, exec, s[60:61]
.LBB71_36:                              ;   in Loop: Header=BB71_3 Depth=1
	s_or_b64 exec, exec, s[58:59]
.LBB71_37:                              ;   in Loop: Header=BB71_3 Depth=1
	s_or_b64 exec, exec, s[56:57]
.LBB71_38:                              ;   in Loop: Header=BB71_3 Depth=1
	s_or_b64 exec, exec, s[0:1]
	v_add_co_u32_e32 v8, vcc, 1, v10
	v_addc_co_u32_e32 v9, vcc, 0, v11, vcc
	v_add_co_u32_e32 v13, vcc, 3, v10
	v_addc_co_u32_e32 v14, vcc, 0, v11, vcc
	;; [unrolled: 2-line block ×3, first 2 shown]
	v_cmp_le_i64_e32 vcc, s[52:53], v[13:14]
	v_cmp_le_i64_e64 s[0:1], s[50:51], v[15:16]
	v_cndmask_b32_sdwa v14, v2, v12, vcc dst_sel:DWORD dst_unused:UNUSED_PAD src0_sel:DWORD src1_sel:WORD_1
	v_cndmask_b32_e64 v13, 0, v12, s[0:1]
	v_cmp_le_i64_e32 vcc, s[48:49], v[8:9]
	v_cmp_le_i64_e64 s[0:1], s[46:47], v[10:11]
	v_cndmask_b32_e64 v8, 0, v3, s[0:1]
	v_cndmask_b32_sdwa v3, v2, v3, vcc dst_sel:DWORD dst_unused:UNUSED_PAD src0_sel:DWORD src1_sel:WORD_1
	v_perm_b32 v12, v3, v8, s83
	v_perm_b32 v3, v14, v13, s83
.LBB71_39:                              ;   in Loop: Header=BB71_3 Depth=1
	s_or_b64 exec, exec, s[54:55]
	v_cmp_gt_i64_e32 vcc, s[14:15], v[4:5]
	s_and_saveexec_b64 s[0:1], vcc
	s_cbranch_execz .LBB71_2
; %bb.40:                               ;   in Loop: Header=BB71_3 Depth=1
	v_lshlrev_b64 v[6:7], 1, v[6:7]
	v_mov_b32_e32 v8, s29
	v_add_co_u32_e32 v6, vcc, s28, v6
	v_addc_co_u32_e32 v7, vcc, v8, v7, vcc
	v_add_co_u32_e32 v8, vcc, 1, v4
	v_addc_co_u32_e32 v9, vcc, 0, v5, vcc
	v_cmp_gt_i64_e32 vcc, s[14:15], v[8:9]
	global_store_short v[6:7], v12, off
	s_and_saveexec_b64 s[54:55], vcc
	s_xor_b64 s[54:55], exec, s[54:55]
	s_cbranch_execz .LBB71_2
; %bb.41:                               ;   in Loop: Header=BB71_3 Depth=1
	s_lshl_b64 s[54:55], s[22:23], 1
	v_mov_b32_e32 v9, s55
	v_add_co_u32_e32 v8, vcc, s54, v6
	v_addc_co_u32_e32 v9, vcc, v7, v9, vcc
	v_add_co_u32_e32 v10, vcc, 2, v4
	v_addc_co_u32_e32 v11, vcc, 0, v5, vcc
	v_cmp_gt_i64_e32 vcc, s[14:15], v[10:11]
	global_store_short_d16_hi v[8:9], v12, off
	s_and_saveexec_b64 s[54:55], vcc
	s_xor_b64 s[54:55], exec, s[54:55]
	s_cbranch_execz .LBB71_2
; %bb.42:                               ;   in Loop: Header=BB71_3 Depth=1
	v_mov_b32_e32 v9, s35
	v_add_co_u32_e32 v8, vcc, s34, v6
	v_addc_co_u32_e32 v9, vcc, v7, v9, vcc
	v_add_co_u32_e32 v4, vcc, 3, v4
	v_addc_co_u32_e32 v5, vcc, 0, v5, vcc
	v_cmp_gt_i64_e32 vcc, s[14:15], v[4:5]
	global_store_short v[8:9], v3, off
	s_and_saveexec_b64 s[54:55], vcc
	s_xor_b64 s[54:55], exec, s[54:55]
	s_cbranch_execz .LBB71_2
; %bb.43:                               ;   in Loop: Header=BB71_3 Depth=1
	v_mov_b32_e32 v5, s79
	v_add_co_u32_e32 v4, vcc, s80, v6
	v_addc_co_u32_e32 v5, vcc, v7, v5, vcc
	global_store_short_d16_hi v[4:5], v3, off
	s_branch .LBB71_2
.LBB71_44:
	s_endpgm
	.section	.rodata,"a",@progbits
	.p2align	6, 0x0
	.amdhsa_kernel _ZN2at6native16triu_tril_kernelIslLb1ELi4ELb0EEEvNS_4cuda6detail10TensorInfoIT_T0_EENS4_IKS5_S6_EEllS6_
		.amdhsa_group_segment_fixed_size 0
		.amdhsa_private_segment_fixed_size 0
		.amdhsa_kernarg_size 1112
		.amdhsa_user_sgpr_count 6
		.amdhsa_user_sgpr_private_segment_buffer 1
		.amdhsa_user_sgpr_dispatch_ptr 0
		.amdhsa_user_sgpr_queue_ptr 0
		.amdhsa_user_sgpr_kernarg_segment_ptr 1
		.amdhsa_user_sgpr_dispatch_id 0
		.amdhsa_user_sgpr_flat_scratch_init 0
		.amdhsa_user_sgpr_private_segment_size 0
		.amdhsa_uses_dynamic_stack 0
		.amdhsa_system_sgpr_private_segment_wavefront_offset 0
		.amdhsa_system_sgpr_workgroup_id_x 1
		.amdhsa_system_sgpr_workgroup_id_y 0
		.amdhsa_system_sgpr_workgroup_id_z 0
		.amdhsa_system_sgpr_workgroup_info 0
		.amdhsa_system_vgpr_workitem_id 0
		.amdhsa_next_free_vgpr 26
		.amdhsa_next_free_sgpr 91
		.amdhsa_reserve_vcc 1
		.amdhsa_reserve_flat_scratch 0
		.amdhsa_float_round_mode_32 0
		.amdhsa_float_round_mode_16_64 0
		.amdhsa_float_denorm_mode_32 3
		.amdhsa_float_denorm_mode_16_64 3
		.amdhsa_dx10_clamp 1
		.amdhsa_ieee_mode 1
		.amdhsa_fp16_overflow 0
		.amdhsa_exception_fp_ieee_invalid_op 0
		.amdhsa_exception_fp_denorm_src 0
		.amdhsa_exception_fp_ieee_div_zero 0
		.amdhsa_exception_fp_ieee_overflow 0
		.amdhsa_exception_fp_ieee_underflow 0
		.amdhsa_exception_fp_ieee_inexact 0
		.amdhsa_exception_int_div_zero 0
	.end_amdhsa_kernel
	.section	.text._ZN2at6native16triu_tril_kernelIslLb1ELi4ELb0EEEvNS_4cuda6detail10TensorInfoIT_T0_EENS4_IKS5_S6_EEllS6_,"axG",@progbits,_ZN2at6native16triu_tril_kernelIslLb1ELi4ELb0EEEvNS_4cuda6detail10TensorInfoIT_T0_EENS4_IKS5_S6_EEllS6_,comdat
.Lfunc_end71:
	.size	_ZN2at6native16triu_tril_kernelIslLb1ELi4ELb0EEEvNS_4cuda6detail10TensorInfoIT_T0_EENS4_IKS5_S6_EEllS6_, .Lfunc_end71-_ZN2at6native16triu_tril_kernelIslLb1ELi4ELb0EEEvNS_4cuda6detail10TensorInfoIT_T0_EENS4_IKS5_S6_EEllS6_
                                        ; -- End function
	.set _ZN2at6native16triu_tril_kernelIslLb1ELi4ELb0EEEvNS_4cuda6detail10TensorInfoIT_T0_EENS4_IKS5_S6_EEllS6_.num_vgpr, 26
	.set _ZN2at6native16triu_tril_kernelIslLb1ELi4ELb0EEEvNS_4cuda6detail10TensorInfoIT_T0_EENS4_IKS5_S6_EEllS6_.num_agpr, 0
	.set _ZN2at6native16triu_tril_kernelIslLb1ELi4ELb0EEEvNS_4cuda6detail10TensorInfoIT_T0_EENS4_IKS5_S6_EEllS6_.numbered_sgpr, 91
	.set _ZN2at6native16triu_tril_kernelIslLb1ELi4ELb0EEEvNS_4cuda6detail10TensorInfoIT_T0_EENS4_IKS5_S6_EEllS6_.num_named_barrier, 0
	.set _ZN2at6native16triu_tril_kernelIslLb1ELi4ELb0EEEvNS_4cuda6detail10TensorInfoIT_T0_EENS4_IKS5_S6_EEllS6_.private_seg_size, 0
	.set _ZN2at6native16triu_tril_kernelIslLb1ELi4ELb0EEEvNS_4cuda6detail10TensorInfoIT_T0_EENS4_IKS5_S6_EEllS6_.uses_vcc, 1
	.set _ZN2at6native16triu_tril_kernelIslLb1ELi4ELb0EEEvNS_4cuda6detail10TensorInfoIT_T0_EENS4_IKS5_S6_EEllS6_.uses_flat_scratch, 0
	.set _ZN2at6native16triu_tril_kernelIslLb1ELi4ELb0EEEvNS_4cuda6detail10TensorInfoIT_T0_EENS4_IKS5_S6_EEllS6_.has_dyn_sized_stack, 0
	.set _ZN2at6native16triu_tril_kernelIslLb1ELi4ELb0EEEvNS_4cuda6detail10TensorInfoIT_T0_EENS4_IKS5_S6_EEllS6_.has_recursion, 0
	.set _ZN2at6native16triu_tril_kernelIslLb1ELi4ELb0EEEvNS_4cuda6detail10TensorInfoIT_T0_EENS4_IKS5_S6_EEllS6_.has_indirect_call, 0
	.section	.AMDGPU.csdata,"",@progbits
; Kernel info:
; codeLenInByte = 5400
; TotalNumSgprs: 95
; NumVgprs: 26
; ScratchSize: 0
; MemoryBound: 0
; FloatMode: 240
; IeeeMode: 1
; LDSByteSize: 0 bytes/workgroup (compile time only)
; SGPRBlocks: 11
; VGPRBlocks: 6
; NumSGPRsForWavesPerEU: 95
; NumVGPRsForWavesPerEU: 26
; Occupancy: 8
; WaveLimiterHint : 0
; COMPUTE_PGM_RSRC2:SCRATCH_EN: 0
; COMPUTE_PGM_RSRC2:USER_SGPR: 6
; COMPUTE_PGM_RSRC2:TRAP_HANDLER: 0
; COMPUTE_PGM_RSRC2:TGID_X_EN: 1
; COMPUTE_PGM_RSRC2:TGID_Y_EN: 0
; COMPUTE_PGM_RSRC2:TGID_Z_EN: 0
; COMPUTE_PGM_RSRC2:TIDIG_COMP_CNT: 0
	.section	.text._ZN2at6native16triu_tril_kernelIdiLb1ELi2ELb1EEEvNS_4cuda6detail10TensorInfoIT_T0_EENS4_IKS5_S6_EEllS6_,"axG",@progbits,_ZN2at6native16triu_tril_kernelIdiLb1ELi2ELb1EEEvNS_4cuda6detail10TensorInfoIT_T0_EENS4_IKS5_S6_EEllS6_,comdat
	.protected	_ZN2at6native16triu_tril_kernelIdiLb1ELi2ELb1EEEvNS_4cuda6detail10TensorInfoIT_T0_EENS4_IKS5_S6_EEllS6_ ; -- Begin function _ZN2at6native16triu_tril_kernelIdiLb1ELi2ELb1EEEvNS_4cuda6detail10TensorInfoIT_T0_EENS4_IKS5_S6_EEllS6_
	.globl	_ZN2at6native16triu_tril_kernelIdiLb1ELi2ELb1EEEvNS_4cuda6detail10TensorInfoIT_T0_EENS4_IKS5_S6_EEllS6_
	.p2align	8
	.type	_ZN2at6native16triu_tril_kernelIdiLb1ELi2ELb1EEEvNS_4cuda6detail10TensorInfoIT_T0_EENS4_IKS5_S6_EEllS6_,@function
_ZN2at6native16triu_tril_kernelIdiLb1ELi2ELb1EEEvNS_4cuda6detail10TensorInfoIT_T0_EENS4_IKS5_S6_EEllS6_: ; @_ZN2at6native16triu_tril_kernelIdiLb1ELi2ELb1EEEvNS_4cuda6detail10TensorInfoIT_T0_EENS4_IKS5_S6_EEllS6_
; %bb.0:
	s_load_dword s2, s[4:5], 0x1d4
	s_load_dwordx4 s[8:11], s[4:5], 0x1b0
	s_add_u32 s0, s4, 0x1c8
	v_mov_b32_e32 v2, 0
	s_addc_u32 s1, s5, 0
	s_waitcnt lgkmcnt(0)
	s_and_b32 s7, s2, 0xffff
	v_mov_b32_e32 v1, v2
	v_mov_b32_e32 v3, s6
	v_mad_u64_u32 v[0:1], s[2:3], s7, v3, v[0:1]
	v_lshlrev_b64 v[0:1], 1, v[0:1]
	v_cmp_gt_i64_e32 vcc, s[10:11], v[0:1]
	s_and_saveexec_b64 s[2:3], vcc
	s_cbranch_execz .LBB72_61
; %bb.1:
	s_load_dword s33, s[4:5], 0x1c0
	s_load_dword s16, s[4:5], 0x1a8
	s_add_u32 s42, s4, 0xd8
	s_addc_u32 s43, s5, 0
	s_load_dword s6, s[0:1], 0x0
	s_waitcnt lgkmcnt(0)
	s_ashr_i32 s44, s33, 31
	s_ashr_i32 s17, s16, 31
	s_lshl_b64 s[0:1], s[16:17], 2
	s_add_u32 s2, s42, s0
	s_addc_u32 s3, s43, s1
	s_load_dword s45, s[2:3], 0x0
	s_load_dwordx2 s[12:13], s[4:5], 0x0
	s_mul_i32 s18, s6, s7
	v_cmp_gt_i64_e64 s[6:7], s[16:17], 2
	s_mov_b32 s17, 0
	s_waitcnt lgkmcnt(0)
	s_ashr_i32 s46, s45, 31
	s_add_u32 s14, s4, s0
	s_addc_u32 s15, s5, s1
	s_add_i32 s0, s16, 6
	s_add_i32 s47, s16, -3
	s_lshl_b32 s48, s18, 1
	s_and_b32 s49, s0, 7
	s_and_b32 s0, s16, 7
	s_cmp_lg_u32 s0, 2
	s_cselect_b64 s[18:19], -1, 0
	s_cmp_gt_u32 s47, 6
	s_cselect_b64 s[20:21], -1, 0
	s_mov_b64 s[22:23], 0
	s_ashr_i32 s24, s44, 31
	s_branch .LBB72_3
.LBB72_2:                               ;   in Loop: Header=BB72_3 Depth=1
	s_or_b64 exec, exec, s[26:27]
	v_add_co_u32_e32 v0, vcc, s48, v0
	v_addc_co_u32_e32 v1, vcc, 0, v1, vcc
	v_cmp_le_i64_e32 vcc, s[10:11], v[0:1]
	s_or_b64 s[22:23], vcc, s[22:23]
	s_andn2_b64 exec, exec, s[22:23]
	s_cbranch_execz .LBB72_61
.LBB72_3:                               ; =>This Loop Header: Depth=1
                                        ;     Child Loop BB72_14 Depth 2
                                        ;     Child Loop BB72_23 Depth 2
	v_or_b32_e32 v3, s44, v1
	v_cmp_ne_u64_e32 vcc, 0, v[2:3]
                                        ; implicit-def: $vgpr4_vgpr5
	s_and_saveexec_b64 s[0:1], vcc
	s_xor_b64 s[26:27], exec, s[0:1]
	s_cbranch_execz .LBB72_5
; %bb.4:                                ;   in Loop: Header=BB72_3 Depth=1
	s_add_u32 s0, s33, s24
	s_mov_b32 s25, s24
	s_addc_u32 s1, s44, s24
	s_xor_b64 s[28:29], s[0:1], s[24:25]
	v_cvt_f32_u32_e32 v3, s28
	v_cvt_f32_u32_e32 v4, s29
	s_sub_u32 s16, 0, s28
	s_subb_u32 s25, 0, s29
	v_ashrrev_i32_e32 v7, 31, v1
	v_mac_f32_e32 v3, 0x4f800000, v4
	v_rcp_f32_e32 v3, v3
	v_mul_f32_e32 v3, 0x5f7ffffc, v3
	v_mul_f32_e32 v4, 0x2f800000, v3
	v_trunc_f32_e32 v4, v4
	v_mac_f32_e32 v3, 0xcf800000, v4
	v_cvt_u32_f32_e32 v4, v4
	v_cvt_u32_f32_e32 v3, v3
	v_readfirstlane_b32 s30, v4
	v_readfirstlane_b32 s0, v3
	s_mul_i32 s1, s16, s30
	s_mul_hi_u32 s34, s16, s0
	s_mul_i32 s31, s25, s0
	s_add_i32 s1, s34, s1
	s_add_i32 s1, s1, s31
	s_mul_i32 s35, s16, s0
	s_mul_i32 s34, s0, s1
	s_mul_hi_u32 s36, s0, s35
	s_mul_hi_u32 s31, s0, s1
	s_add_u32 s34, s36, s34
	s_addc_u32 s31, 0, s31
	s_mul_hi_u32 s37, s30, s35
	s_mul_i32 s35, s30, s35
	s_add_u32 s34, s34, s35
	s_mul_hi_u32 s36, s30, s1
	s_addc_u32 s31, s31, s37
	s_addc_u32 s34, s36, 0
	s_mul_i32 s1, s30, s1
	s_add_u32 s1, s31, s1
	s_addc_u32 s31, 0, s34
	s_add_u32 s34, s0, s1
	s_cselect_b64 s[0:1], -1, 0
	s_cmp_lg_u64 s[0:1], 0
	s_addc_u32 s30, s30, s31
	s_mul_i32 s0, s16, s30
	s_mul_hi_u32 s1, s16, s34
	s_add_i32 s0, s1, s0
	s_mul_i32 s25, s25, s34
	s_add_i32 s0, s0, s25
	s_mul_i32 s16, s16, s34
	s_mul_hi_u32 s25, s30, s16
	s_mul_i32 s31, s30, s16
	s_mul_i32 s36, s34, s0
	s_mul_hi_u32 s16, s34, s16
	s_mul_hi_u32 s35, s34, s0
	s_add_u32 s16, s16, s36
	s_addc_u32 s35, 0, s35
	s_add_u32 s16, s16, s31
	s_mul_hi_u32 s1, s30, s0
	s_addc_u32 s16, s35, s25
	s_addc_u32 s1, s1, 0
	s_mul_i32 s0, s30, s0
	s_add_u32 s0, s16, s0
	s_addc_u32 s16, 0, s1
	s_add_u32 s25, s34, s0
	s_cselect_b64 s[0:1], -1, 0
	s_cmp_lg_u64 s[0:1], 0
	v_add_co_u32_e32 v3, vcc, v0, v7
	s_addc_u32 s16, s30, s16
	v_xor_b32_e32 v8, v3, v7
	v_mad_u64_u32 v[3:4], s[0:1], v8, s16, 0
	v_mul_hi_u32 v6, v8, s25
	v_addc_co_u32_e32 v5, vcc, v1, v7, vcc
	v_xor_b32_e32 v9, v5, v7
	v_add_co_u32_e32 v10, vcc, v6, v3
	v_addc_co_u32_e32 v11, vcc, 0, v4, vcc
	v_mad_u64_u32 v[3:4], s[0:1], v9, s25, 0
	v_mad_u64_u32 v[5:6], s[0:1], v9, s16, 0
	v_add_co_u32_e32 v3, vcc, v10, v3
	v_addc_co_u32_e32 v3, vcc, v11, v4, vcc
	v_addc_co_u32_e32 v4, vcc, 0, v6, vcc
	v_add_co_u32_e32 v5, vcc, v3, v5
	v_addc_co_u32_e32 v6, vcc, 0, v4, vcc
	v_mul_lo_u32 v10, s29, v5
	v_mul_lo_u32 v11, s28, v6
	v_mad_u64_u32 v[3:4], s[0:1], s28, v5, 0
	v_add3_u32 v4, v4, v11, v10
	v_sub_u32_e32 v10, v9, v4
	v_mov_b32_e32 v11, s29
	v_sub_co_u32_e32 v3, vcc, v8, v3
	v_subb_co_u32_e64 v8, s[0:1], v10, v11, vcc
	v_subrev_co_u32_e64 v10, s[0:1], s28, v3
	v_subbrev_co_u32_e64 v8, s[0:1], 0, v8, s[0:1]
	v_cmp_le_u32_e64 s[0:1], s29, v8
	v_cndmask_b32_e64 v11, 0, -1, s[0:1]
	v_cmp_le_u32_e64 s[0:1], s28, v10
	v_cndmask_b32_e64 v10, 0, -1, s[0:1]
	v_cmp_eq_u32_e64 s[0:1], s29, v8
	v_cndmask_b32_e64 v8, v11, v10, s[0:1]
	v_add_co_u32_e64 v10, s[0:1], 2, v5
	v_subb_co_u32_e32 v4, vcc, v9, v4, vcc
	v_addc_co_u32_e64 v11, s[0:1], 0, v6, s[0:1]
	v_cmp_le_u32_e32 vcc, s29, v4
	v_add_co_u32_e64 v12, s[0:1], 1, v5
	v_cndmask_b32_e64 v9, 0, -1, vcc
	v_cmp_le_u32_e32 vcc, s28, v3
	v_addc_co_u32_e64 v13, s[0:1], 0, v6, s[0:1]
	v_cndmask_b32_e64 v3, 0, -1, vcc
	v_cmp_eq_u32_e32 vcc, s29, v4
	v_cmp_ne_u32_e64 s[0:1], 0, v8
	v_cndmask_b32_e32 v3, v9, v3, vcc
	v_cmp_ne_u32_e32 vcc, 0, v3
	v_cndmask_b32_e64 v4, v12, v10, s[0:1]
	v_cndmask_b32_e64 v8, v13, v11, s[0:1]
	v_cndmask_b32_e32 v4, v5, v4, vcc
	v_xor_b32_e32 v5, s24, v7
	v_cndmask_b32_e32 v3, v6, v8, vcc
	v_xor_b32_e32 v4, v4, v5
	v_xor_b32_e32 v3, v3, v5
	v_sub_co_u32_e32 v4, vcc, v4, v5
	v_subb_co_u32_e32 v5, vcc, v3, v5, vcc
.LBB72_5:                               ;   in Loop: Header=BB72_3 Depth=1
	s_andn2_saveexec_b64 s[0:1], s[26:27]
	s_cbranch_execz .LBB72_7
; %bb.6:                                ;   in Loop: Header=BB72_3 Depth=1
	v_cvt_f32_u32_e32 v3, s33
	s_sub_i32 s16, 0, s33
	v_rcp_iflag_f32_e32 v3, v3
	v_mul_f32_e32 v3, 0x4f7ffffe, v3
	v_cvt_u32_f32_e32 v3, v3
	v_mul_lo_u32 v4, s16, v3
	v_mul_hi_u32 v4, v3, v4
	v_add_u32_e32 v3, v3, v4
	v_mul_hi_u32 v3, v0, v3
	v_mul_lo_u32 v4, v3, s33
	v_add_u32_e32 v5, 1, v3
	v_sub_u32_e32 v4, v0, v4
	v_subrev_u32_e32 v6, s33, v4
	v_cmp_le_u32_e32 vcc, s33, v4
	v_cndmask_b32_e32 v4, v4, v6, vcc
	v_cndmask_b32_e32 v3, v3, v5, vcc
	v_add_u32_e32 v5, 1, v3
	v_cmp_le_u32_e32 vcc, s33, v4
	v_cndmask_b32_e32 v4, v3, v5, vcc
	v_mov_b32_e32 v5, v2
.LBB72_7:                               ;   in Loop: Header=BB72_3 Depth=1
	s_or_b64 exec, exec, s[0:1]
	v_or_b32_e32 v3, s46, v5
	v_cmp_ne_u64_e32 vcc, 0, v[2:3]
                                        ; implicit-def: $vgpr6_vgpr7
	s_and_saveexec_b64 s[0:1], vcc
	s_xor_b64 s[26:27], exec, s[0:1]
	s_cbranch_execz .LBB72_9
; %bb.8:                                ;   in Loop: Header=BB72_3 Depth=1
	s_ashr_i32 s28, s46, 31
	s_add_u32 s0, s45, s28
	s_mov_b32 s29, s28
	s_addc_u32 s1, s46, s28
	s_xor_b64 s[30:31], s[0:1], s[28:29]
	v_cvt_f32_u32_e32 v3, s30
	v_cvt_f32_u32_e32 v6, s31
	s_sub_u32 s16, 0, s30
	s_subb_u32 s25, 0, s31
	v_mac_f32_e32 v3, 0x4f800000, v6
	v_rcp_f32_e32 v3, v3
	v_mul_f32_e32 v3, 0x5f7ffffc, v3
	v_mul_f32_e32 v6, 0x2f800000, v3
	v_trunc_f32_e32 v6, v6
	v_mac_f32_e32 v3, 0xcf800000, v6
	v_cvt_u32_f32_e32 v6, v6
	v_cvt_u32_f32_e32 v3, v3
	v_readfirstlane_b32 s29, v6
	v_readfirstlane_b32 s0, v3
	s_mul_i32 s1, s16, s29
	s_mul_hi_u32 s35, s16, s0
	s_mul_i32 s34, s25, s0
	s_add_i32 s1, s35, s1
	s_add_i32 s1, s1, s34
	s_mul_i32 s36, s16, s0
	s_mul_i32 s35, s0, s1
	s_mul_hi_u32 s37, s0, s36
	s_mul_hi_u32 s34, s0, s1
	s_add_u32 s35, s37, s35
	s_addc_u32 s34, 0, s34
	s_mul_hi_u32 s38, s29, s36
	s_mul_i32 s36, s29, s36
	s_add_u32 s35, s35, s36
	s_mul_hi_u32 s37, s29, s1
	s_addc_u32 s34, s34, s38
	s_addc_u32 s35, s37, 0
	s_mul_i32 s1, s29, s1
	s_add_u32 s1, s34, s1
	s_addc_u32 s34, 0, s35
	s_add_u32 s35, s0, s1
	s_cselect_b64 s[0:1], -1, 0
	s_cmp_lg_u64 s[0:1], 0
	s_addc_u32 s29, s29, s34
	s_mul_i32 s0, s16, s29
	s_mul_hi_u32 s1, s16, s35
	s_add_i32 s0, s1, s0
	s_mul_i32 s25, s25, s35
	s_add_i32 s0, s0, s25
	s_mul_i32 s16, s16, s35
	s_mul_hi_u32 s25, s29, s16
	s_mul_i32 s34, s29, s16
	s_mul_i32 s37, s35, s0
	s_mul_hi_u32 s16, s35, s16
	s_mul_hi_u32 s36, s35, s0
	s_add_u32 s16, s16, s37
	s_addc_u32 s36, 0, s36
	s_add_u32 s16, s16, s34
	s_mul_hi_u32 s1, s29, s0
	s_addc_u32 s16, s36, s25
	s_addc_u32 s1, s1, 0
	s_mul_i32 s0, s29, s0
	s_add_u32 s0, s16, s0
	s_addc_u32 s16, 0, s1
	s_add_u32 s25, s35, s0
	s_cselect_b64 s[0:1], -1, 0
	v_ashrrev_i32_e32 v3, 31, v5
	s_cmp_lg_u64 s[0:1], 0
	v_add_co_u32_e32 v6, vcc, v4, v3
	s_addc_u32 s16, s29, s16
	v_xor_b32_e32 v9, v6, v3
	v_addc_co_u32_e32 v7, vcc, v5, v3, vcc
	v_mad_u64_u32 v[5:6], s[0:1], v9, s16, 0
	v_mul_hi_u32 v8, v9, s25
	v_xor_b32_e32 v10, v7, v3
	v_xor_b32_e32 v3, s28, v3
	v_add_co_u32_e32 v11, vcc, v8, v5
	v_addc_co_u32_e32 v12, vcc, 0, v6, vcc
	v_mad_u64_u32 v[5:6], s[0:1], v10, s25, 0
	v_mad_u64_u32 v[7:8], s[0:1], v10, s16, 0
	v_add_co_u32_e32 v5, vcc, v11, v5
	v_addc_co_u32_e32 v5, vcc, v12, v6, vcc
	v_addc_co_u32_e32 v6, vcc, 0, v8, vcc
	v_add_co_u32_e32 v7, vcc, v5, v7
	v_addc_co_u32_e32 v8, vcc, 0, v6, vcc
	v_mul_lo_u32 v11, s31, v7
	v_mul_lo_u32 v12, s30, v8
	v_mad_u64_u32 v[5:6], s[0:1], s30, v7, 0
	v_add3_u32 v6, v6, v12, v11
	v_sub_u32_e32 v11, v10, v6
	v_mov_b32_e32 v12, s31
	v_sub_co_u32_e32 v5, vcc, v9, v5
	v_subb_co_u32_e64 v9, s[0:1], v11, v12, vcc
	v_subrev_co_u32_e64 v11, s[0:1], s30, v5
	v_subbrev_co_u32_e64 v9, s[0:1], 0, v9, s[0:1]
	v_cmp_le_u32_e64 s[0:1], s31, v9
	v_cndmask_b32_e64 v12, 0, -1, s[0:1]
	v_cmp_le_u32_e64 s[0:1], s30, v11
	v_cndmask_b32_e64 v11, 0, -1, s[0:1]
	v_cmp_eq_u32_e64 s[0:1], s31, v9
	v_cndmask_b32_e64 v9, v12, v11, s[0:1]
	v_add_co_u32_e64 v11, s[0:1], 2, v7
	v_subb_co_u32_e32 v6, vcc, v10, v6, vcc
	v_addc_co_u32_e64 v12, s[0:1], 0, v8, s[0:1]
	v_cmp_le_u32_e32 vcc, s31, v6
	v_add_co_u32_e64 v13, s[0:1], 1, v7
	v_cndmask_b32_e64 v10, 0, -1, vcc
	v_cmp_le_u32_e32 vcc, s30, v5
	v_addc_co_u32_e64 v14, s[0:1], 0, v8, s[0:1]
	v_cndmask_b32_e64 v5, 0, -1, vcc
	v_cmp_eq_u32_e32 vcc, s31, v6
	v_cmp_ne_u32_e64 s[0:1], 0, v9
	v_cndmask_b32_e32 v5, v10, v5, vcc
	v_cmp_ne_u32_e32 vcc, 0, v5
	v_cndmask_b32_e64 v6, v13, v11, s[0:1]
	v_cndmask_b32_e64 v9, v14, v12, s[0:1]
	v_cndmask_b32_e32 v6, v7, v6, vcc
	v_cndmask_b32_e32 v5, v8, v9, vcc
	v_xor_b32_e32 v6, v6, v3
	v_xor_b32_e32 v5, v5, v3
	v_sub_co_u32_e32 v6, vcc, v6, v3
	v_subb_co_u32_e32 v7, vcc, v5, v3, vcc
.LBB72_9:                               ;   in Loop: Header=BB72_3 Depth=1
	s_andn2_saveexec_b64 s[0:1], s[26:27]
	s_cbranch_execz .LBB72_11
; %bb.10:                               ;   in Loop: Header=BB72_3 Depth=1
	v_cvt_f32_u32_e32 v3, s45
	s_sub_i32 s16, 0, s45
	v_rcp_iflag_f32_e32 v3, v3
	v_mul_f32_e32 v3, 0x4f7ffffe, v3
	v_cvt_u32_f32_e32 v3, v3
	v_mul_lo_u32 v5, s16, v3
	v_mul_hi_u32 v5, v3, v5
	v_add_u32_e32 v3, v3, v5
	v_mul_hi_u32 v3, v4, v3
	v_mul_lo_u32 v5, v3, s45
	v_add_u32_e32 v6, 1, v3
	v_sub_u32_e32 v5, v4, v5
	v_subrev_u32_e32 v7, s45, v5
	v_cmp_le_u32_e32 vcc, s45, v5
	v_cndmask_b32_e32 v5, v5, v7, vcc
	v_cndmask_b32_e32 v3, v3, v6, vcc
	v_add_u32_e32 v6, 1, v3
	v_cmp_le_u32_e32 vcc, s45, v5
	v_cndmask_b32_e32 v6, v3, v6, vcc
	v_mov_b32_e32 v7, v2
.LBB72_11:                              ;   in Loop: Header=BB72_3 Depth=1
	s_or_b64 exec, exec, s[0:1]
	v_mad_u64_u32 v[8:9], s[0:1], v4, s33, 0
	v_mad_u64_u32 v[9:10], s[0:1], v6, s45, 0
	v_sub_co_u32_e32 v25, vcc, v0, v8
	v_sub_co_u32_e32 v24, vcc, v4, v9
	v_sub_u32_e32 v3, v25, v24
	v_ashrrev_i32_e32 v4, 31, v3
	v_cmp_gt_i64_e32 vcc, s[8:9], v[3:4]
	s_and_saveexec_b64 s[26:27], vcc
	s_cbranch_execz .LBB72_2
; %bb.12:                               ;   in Loop: Header=BB72_3 Depth=1
	s_load_dwordx2 s[28:29], s[14:15], 0x64
	s_andn2_b64 vcc, exec, s[6:7]
	s_waitcnt lgkmcnt(0)
	v_mul_lo_u32 v3, s29, v25
	v_mad_u64_u32 v[4:5], s[0:1], s28, v24, v[3:4]
	s_cbranch_vccnz .LBB72_57
; %bb.13:                               ;   in Loop: Header=BB72_3 Depth=1
	s_andn2_b64 vcc, exec, s[18:19]
	s_mov_b32 s25, s49
	s_mov_b32 s16, s47
	;; [unrolled: 1-line block ×3, first 2 shown]
	s_cbranch_vccnz .LBB72_21
.LBB72_14:                              ;   Parent Loop BB72_3 Depth=1
                                        ; =>  This Inner Loop Header: Depth=2
	s_lshl_b64 s[30:31], s[16:17], 2
	s_add_u32 s0, s42, s30
	s_addc_u32 s1, s43, s31
	s_load_dword s28, s[0:1], 0x8
                                        ; implicit-def: $vgpr8_vgpr9
	s_waitcnt lgkmcnt(0)
	s_ashr_i32 s0, s28, 31
	v_or_b32_e32 v3, s0, v7
	v_cmp_ne_u64_e32 vcc, 0, v[2:3]
	s_and_saveexec_b64 s[34:35], vcc
	s_xor_b64 s[34:35], exec, s[34:35]
	s_cbranch_execz .LBB72_16
; %bb.15:                               ;   in Loop: Header=BB72_14 Depth=2
	s_ashr_i32 s36, s0, 31
	s_add_u32 s38, s28, s36
	s_mov_b32 s37, s36
	s_addc_u32 s39, s0, s36
	s_xor_b64 s[38:39], s[38:39], s[36:37]
	v_cvt_f32_u32_e32 v3, s38
	v_cvt_f32_u32_e32 v5, s39
	s_sub_u32 s37, 0, s38
	s_subb_u32 s40, 0, s39
	v_mac_f32_e32 v3, 0x4f800000, v5
	v_rcp_f32_e32 v3, v3
	v_mul_f32_e32 v3, 0x5f7ffffc, v3
	v_mul_f32_e32 v5, 0x2f800000, v3
	v_trunc_f32_e32 v5, v5
	v_mac_f32_e32 v3, 0xcf800000, v5
	v_cvt_u32_f32_e32 v5, v5
	v_cvt_u32_f32_e32 v3, v3
	v_readfirstlane_b32 s41, v5
	v_readfirstlane_b32 s0, v3
	s_mul_i32 s1, s37, s41
	s_mul_hi_u32 s51, s37, s0
	s_mul_i32 s50, s40, s0
	s_add_i32 s1, s51, s1
	s_add_i32 s1, s1, s50
	s_mul_i32 s52, s37, s0
	s_mul_i32 s51, s0, s1
	s_mul_hi_u32 s53, s0, s52
	s_mul_hi_u32 s50, s0, s1
	s_add_u32 s51, s53, s51
	s_addc_u32 s50, 0, s50
	s_mul_hi_u32 s54, s41, s52
	s_mul_i32 s52, s41, s52
	s_add_u32 s51, s51, s52
	s_mul_hi_u32 s53, s41, s1
	s_addc_u32 s50, s50, s54
	s_addc_u32 s51, s53, 0
	s_mul_i32 s1, s41, s1
	s_add_u32 s1, s50, s1
	s_addc_u32 s50, 0, s51
	s_add_u32 s51, s0, s1
	s_cselect_b64 s[0:1], -1, 0
	s_cmp_lg_u64 s[0:1], 0
	s_addc_u32 s41, s41, s50
	s_mul_i32 s0, s37, s41
	s_mul_hi_u32 s1, s37, s51
	s_add_i32 s0, s1, s0
	s_mul_i32 s40, s40, s51
	s_add_i32 s0, s0, s40
	s_mul_i32 s37, s37, s51
	s_mul_hi_u32 s40, s41, s37
	s_mul_i32 s50, s41, s37
	s_mul_i32 s53, s51, s0
	s_mul_hi_u32 s37, s51, s37
	s_mul_hi_u32 s52, s51, s0
	s_add_u32 s37, s37, s53
	s_addc_u32 s52, 0, s52
	s_add_u32 s37, s37, s50
	s_mul_hi_u32 s1, s41, s0
	s_addc_u32 s37, s52, s40
	s_addc_u32 s1, s1, 0
	s_mul_i32 s0, s41, s0
	s_add_u32 s0, s37, s0
	s_addc_u32 s37, 0, s1
	s_add_u32 s40, s51, s0
	s_cselect_b64 s[0:1], -1, 0
	v_ashrrev_i32_e32 v3, 31, v7
	s_cmp_lg_u64 s[0:1], 0
	v_add_co_u32_e32 v5, vcc, v6, v3
	s_addc_u32 s37, s41, s37
	v_xor_b32_e32 v5, v5, v3
	v_addc_co_u32_e32 v9, vcc, v7, v3, vcc
	v_mad_u64_u32 v[7:8], s[0:1], v5, s37, 0
	v_mul_hi_u32 v10, v5, s40
	v_xor_b32_e32 v11, v9, v3
	v_xor_b32_e32 v3, s36, v3
	v_add_co_u32_e32 v12, vcc, v10, v7
	v_addc_co_u32_e32 v13, vcc, 0, v8, vcc
	v_mad_u64_u32 v[7:8], s[0:1], v11, s40, 0
	v_mad_u64_u32 v[9:10], s[0:1], v11, s37, 0
	v_add_co_u32_e32 v7, vcc, v12, v7
	v_addc_co_u32_e32 v7, vcc, v13, v8, vcc
	v_addc_co_u32_e32 v8, vcc, 0, v10, vcc
	v_add_co_u32_e32 v9, vcc, v7, v9
	v_addc_co_u32_e32 v10, vcc, 0, v8, vcc
	v_mul_lo_u32 v12, s39, v9
	v_mul_lo_u32 v13, s38, v10
	v_mad_u64_u32 v[7:8], s[0:1], s38, v9, 0
	v_add3_u32 v8, v8, v13, v12
	v_sub_u32_e32 v12, v11, v8
	v_mov_b32_e32 v13, s39
	v_sub_co_u32_e32 v5, vcc, v5, v7
	v_subb_co_u32_e64 v7, s[0:1], v12, v13, vcc
	v_subrev_co_u32_e64 v12, s[0:1], s38, v5
	v_subbrev_co_u32_e64 v7, s[0:1], 0, v7, s[0:1]
	v_cmp_le_u32_e64 s[0:1], s39, v7
	v_cndmask_b32_e64 v13, 0, -1, s[0:1]
	v_cmp_le_u32_e64 s[0:1], s38, v12
	v_cndmask_b32_e64 v12, 0, -1, s[0:1]
	v_cmp_eq_u32_e64 s[0:1], s39, v7
	v_cndmask_b32_e64 v7, v13, v12, s[0:1]
	v_add_co_u32_e64 v12, s[0:1], 2, v9
	v_subb_co_u32_e32 v8, vcc, v11, v8, vcc
	v_addc_co_u32_e64 v13, s[0:1], 0, v10, s[0:1]
	v_cmp_le_u32_e32 vcc, s39, v8
	v_add_co_u32_e64 v14, s[0:1], 1, v9
	v_cndmask_b32_e64 v11, 0, -1, vcc
	v_cmp_le_u32_e32 vcc, s38, v5
	v_addc_co_u32_e64 v15, s[0:1], 0, v10, s[0:1]
	v_cndmask_b32_e64 v5, 0, -1, vcc
	v_cmp_eq_u32_e32 vcc, s39, v8
	v_cmp_ne_u32_e64 s[0:1], 0, v7
	v_cndmask_b32_e32 v5, v11, v5, vcc
	v_cndmask_b32_e64 v7, v15, v13, s[0:1]
	v_cmp_ne_u32_e32 vcc, 0, v5
	v_cndmask_b32_e32 v5, v10, v7, vcc
	v_cndmask_b32_e64 v7, v14, v12, s[0:1]
	v_cndmask_b32_e32 v7, v9, v7, vcc
	v_xor_b32_e32 v7, v7, v3
	v_xor_b32_e32 v5, v5, v3
	v_sub_co_u32_e32 v8, vcc, v7, v3
	v_subb_co_u32_e32 v9, vcc, v5, v3, vcc
.LBB72_16:                              ;   in Loop: Header=BB72_14 Depth=2
	s_andn2_saveexec_b64 s[0:1], s[34:35]
	s_cbranch_execz .LBB72_18
; %bb.17:                               ;   in Loop: Header=BB72_14 Depth=2
	v_cvt_f32_u32_e32 v3, s28
	s_sub_i32 s34, 0, s28
	v_mov_b32_e32 v9, v2
	v_rcp_iflag_f32_e32 v3, v3
	v_mul_f32_e32 v3, 0x4f7ffffe, v3
	v_cvt_u32_f32_e32 v3, v3
	v_mul_lo_u32 v5, s34, v3
	v_mul_hi_u32 v5, v3, v5
	v_add_u32_e32 v3, v3, v5
	v_mul_hi_u32 v3, v6, v3
	v_mul_lo_u32 v5, v3, s28
	v_add_u32_e32 v7, 1, v3
	v_sub_u32_e32 v5, v6, v5
	v_subrev_u32_e32 v8, s28, v5
	v_cmp_le_u32_e32 vcc, s28, v5
	v_cndmask_b32_e32 v5, v5, v8, vcc
	v_cndmask_b32_e32 v3, v3, v7, vcc
	v_add_u32_e32 v7, 1, v3
	v_cmp_le_u32_e32 vcc, s28, v5
	v_cndmask_b32_e32 v8, v3, v7, vcc
.LBB72_18:                              ;   in Loop: Header=BB72_14 Depth=2
	s_or_b64 exec, exec, s[0:1]
	s_add_u32 s0, s4, s30
	s_addc_u32 s1, s5, s31
	v_mul_lo_u32 v3, v8, s28
	s_load_dword s0, s[0:1], 0x6c
	s_add_i32 s16, s16, -1
	s_add_i32 s25, s25, -1
	v_sub_u32_e32 v3, v6, v3
	s_cmp_lg_u32 s25, 0
	s_waitcnt lgkmcnt(0)
	v_mad_u64_u32 v[4:5], s[0:1], s0, v3, v[4:5]
	s_cbranch_scc0 .LBB72_20
; %bb.19:                               ;   in Loop: Header=BB72_14 Depth=2
	v_mov_b32_e32 v6, v8
	v_mov_b32_e32 v7, v9
	s_branch .LBB72_14
.LBB72_20:                              ;   in Loop: Header=BB72_3 Depth=1
	v_mov_b32_e32 v6, v8
	s_mov_b32 s0, s16
	v_mov_b32_e32 v7, v9
.LBB72_21:                              ;   in Loop: Header=BB72_3 Depth=1
	s_andn2_b64 vcc, exec, s[20:21]
	s_cbranch_vccnz .LBB72_57
; %bb.22:                               ;   in Loop: Header=BB72_3 Depth=1
	s_add_i32 s30, s0, -7
.LBB72_23:                              ;   Parent Loop BB72_3 Depth=1
                                        ; =>  This Inner Loop Header: Depth=2
	s_add_i32 s16, s30, 7
	s_lshl_b64 s[34:35], s[16:17], 2
	s_add_u32 s0, s42, s34
	s_addc_u32 s1, s43, s35
	s_load_dword s25, s[0:1], 0x8
                                        ; implicit-def: $vgpr8_vgpr9
	s_waitcnt lgkmcnt(0)
	s_ashr_i32 s0, s25, 31
	v_or_b32_e32 v3, s0, v7
	v_cmp_ne_u64_e32 vcc, 0, v[2:3]
	s_and_saveexec_b64 s[36:37], vcc
	s_xor_b64 s[36:37], exec, s[36:37]
	s_cbranch_execz .LBB72_25
; %bb.24:                               ;   in Loop: Header=BB72_23 Depth=2
	s_ashr_i32 s38, s0, 31
	s_add_u32 s40, s25, s38
	s_mov_b32 s39, s38
	s_addc_u32 s41, s0, s38
	s_xor_b64 s[40:41], s[40:41], s[38:39]
	v_cvt_f32_u32_e32 v3, s40
	v_cvt_f32_u32_e32 v5, s41
	s_sub_u32 s16, 0, s40
	s_subb_u32 s28, 0, s41
	v_mac_f32_e32 v3, 0x4f800000, v5
	v_rcp_f32_e32 v3, v3
	v_mul_f32_e32 v3, 0x5f7ffffc, v3
	v_mul_f32_e32 v5, 0x2f800000, v3
	v_trunc_f32_e32 v5, v5
	v_mac_f32_e32 v3, 0xcf800000, v5
	v_cvt_u32_f32_e32 v5, v5
	v_cvt_u32_f32_e32 v3, v3
	v_readfirstlane_b32 s31, v5
	v_readfirstlane_b32 s0, v3
	s_mul_i32 s1, s16, s31
	s_mul_hi_u32 s50, s16, s0
	s_mul_i32 s39, s28, s0
	s_add_i32 s1, s50, s1
	s_add_i32 s1, s1, s39
	s_mul_i32 s51, s16, s0
	s_mul_i32 s50, s0, s1
	s_mul_hi_u32 s52, s0, s51
	s_mul_hi_u32 s39, s0, s1
	s_add_u32 s50, s52, s50
	s_addc_u32 s39, 0, s39
	s_mul_hi_u32 s53, s31, s51
	s_mul_i32 s51, s31, s51
	s_add_u32 s50, s50, s51
	s_mul_hi_u32 s52, s31, s1
	s_addc_u32 s39, s39, s53
	s_addc_u32 s50, s52, 0
	s_mul_i32 s1, s31, s1
	s_add_u32 s1, s39, s1
	s_addc_u32 s39, 0, s50
	s_add_u32 s50, s0, s1
	s_cselect_b64 s[0:1], -1, 0
	s_cmp_lg_u64 s[0:1], 0
	s_addc_u32 s31, s31, s39
	s_mul_i32 s0, s16, s31
	s_mul_hi_u32 s1, s16, s50
	s_add_i32 s0, s1, s0
	s_mul_i32 s28, s28, s50
	s_add_i32 s0, s0, s28
	s_mul_i32 s16, s16, s50
	s_mul_hi_u32 s28, s31, s16
	s_mul_i32 s39, s31, s16
	s_mul_i32 s52, s50, s0
	s_mul_hi_u32 s16, s50, s16
	s_mul_hi_u32 s51, s50, s0
	s_add_u32 s16, s16, s52
	s_addc_u32 s51, 0, s51
	s_add_u32 s16, s16, s39
	s_mul_hi_u32 s1, s31, s0
	s_addc_u32 s16, s51, s28
	s_addc_u32 s1, s1, 0
	s_mul_i32 s0, s31, s0
	s_add_u32 s0, s16, s0
	s_addc_u32 s16, 0, s1
	s_add_u32 s28, s50, s0
	s_cselect_b64 s[0:1], -1, 0
	v_ashrrev_i32_e32 v3, 31, v7
	s_cmp_lg_u64 s[0:1], 0
	v_add_co_u32_e32 v5, vcc, v6, v3
	s_addc_u32 s16, s31, s16
	v_xor_b32_e32 v5, v5, v3
	v_addc_co_u32_e32 v9, vcc, v7, v3, vcc
	v_mad_u64_u32 v[7:8], s[0:1], v5, s16, 0
	v_mul_hi_u32 v10, v5, s28
	v_xor_b32_e32 v11, v9, v3
	v_xor_b32_e32 v3, s38, v3
	v_add_co_u32_e32 v12, vcc, v10, v7
	v_addc_co_u32_e32 v13, vcc, 0, v8, vcc
	v_mad_u64_u32 v[7:8], s[0:1], v11, s28, 0
	v_mad_u64_u32 v[9:10], s[0:1], v11, s16, 0
	v_add_co_u32_e32 v7, vcc, v12, v7
	v_addc_co_u32_e32 v7, vcc, v13, v8, vcc
	v_addc_co_u32_e32 v8, vcc, 0, v10, vcc
	v_add_co_u32_e32 v9, vcc, v7, v9
	v_addc_co_u32_e32 v10, vcc, 0, v8, vcc
	v_mul_lo_u32 v12, s41, v9
	v_mul_lo_u32 v13, s40, v10
	v_mad_u64_u32 v[7:8], s[0:1], s40, v9, 0
	v_add3_u32 v8, v8, v13, v12
	v_sub_u32_e32 v12, v11, v8
	v_mov_b32_e32 v13, s41
	v_sub_co_u32_e32 v5, vcc, v5, v7
	v_subb_co_u32_e64 v7, s[0:1], v12, v13, vcc
	v_subrev_co_u32_e64 v12, s[0:1], s40, v5
	v_subbrev_co_u32_e64 v7, s[0:1], 0, v7, s[0:1]
	v_cmp_le_u32_e64 s[0:1], s41, v7
	v_cndmask_b32_e64 v13, 0, -1, s[0:1]
	v_cmp_le_u32_e64 s[0:1], s40, v12
	v_cndmask_b32_e64 v12, 0, -1, s[0:1]
	v_cmp_eq_u32_e64 s[0:1], s41, v7
	v_cndmask_b32_e64 v7, v13, v12, s[0:1]
	v_add_co_u32_e64 v12, s[0:1], 2, v9
	v_subb_co_u32_e32 v8, vcc, v11, v8, vcc
	v_addc_co_u32_e64 v13, s[0:1], 0, v10, s[0:1]
	v_cmp_le_u32_e32 vcc, s41, v8
	v_add_co_u32_e64 v14, s[0:1], 1, v9
	v_cndmask_b32_e64 v11, 0, -1, vcc
	v_cmp_le_u32_e32 vcc, s40, v5
	v_addc_co_u32_e64 v15, s[0:1], 0, v10, s[0:1]
	v_cndmask_b32_e64 v5, 0, -1, vcc
	v_cmp_eq_u32_e32 vcc, s41, v8
	v_cmp_ne_u32_e64 s[0:1], 0, v7
	v_cndmask_b32_e32 v5, v11, v5, vcc
	v_cndmask_b32_e64 v7, v15, v13, s[0:1]
	v_cmp_ne_u32_e32 vcc, 0, v5
	v_cndmask_b32_e32 v5, v10, v7, vcc
	v_cndmask_b32_e64 v7, v14, v12, s[0:1]
	v_cndmask_b32_e32 v7, v9, v7, vcc
	v_xor_b32_e32 v7, v7, v3
	v_xor_b32_e32 v5, v5, v3
	v_sub_co_u32_e32 v8, vcc, v7, v3
	v_subb_co_u32_e32 v9, vcc, v5, v3, vcc
.LBB72_25:                              ;   in Loop: Header=BB72_23 Depth=2
	s_andn2_saveexec_b64 s[0:1], s[36:37]
	s_cbranch_execz .LBB72_27
; %bb.26:                               ;   in Loop: Header=BB72_23 Depth=2
	v_cvt_f32_u32_e32 v3, s25
	s_sub_i32 s16, 0, s25
	v_mov_b32_e32 v9, v2
	v_rcp_iflag_f32_e32 v3, v3
	v_mul_f32_e32 v3, 0x4f7ffffe, v3
	v_cvt_u32_f32_e32 v3, v3
	v_mul_lo_u32 v5, s16, v3
	v_mul_hi_u32 v5, v3, v5
	v_add_u32_e32 v3, v3, v5
	v_mul_hi_u32 v3, v6, v3
	v_mul_lo_u32 v5, v3, s25
	v_add_u32_e32 v7, 1, v3
	v_sub_u32_e32 v5, v6, v5
	v_subrev_u32_e32 v8, s25, v5
	v_cmp_le_u32_e32 vcc, s25, v5
	v_cndmask_b32_e32 v5, v5, v8, vcc
	v_cndmask_b32_e32 v3, v3, v7, vcc
	v_add_u32_e32 v7, 1, v3
	v_cmp_le_u32_e32 vcc, s25, v5
	v_cndmask_b32_e32 v8, v3, v7, vcc
.LBB72_27:                              ;   in Loop: Header=BB72_23 Depth=2
	s_or_b64 exec, exec, s[0:1]
	s_add_u32 s0, s4, s34
	s_addc_u32 s1, s5, s35
	s_add_i32 s16, s30, 6
	s_lshl_b64 s[34:35], s[16:17], 2
	s_add_u32 s36, s42, s34
	s_addc_u32 s37, s43, s35
	s_load_dword s50, s[36:37], 0x8
	s_load_dword s28, s[0:1], 0x6c
                                        ; implicit-def: $vgpr10_vgpr11
	s_waitcnt lgkmcnt(0)
	s_ashr_i32 s0, s50, 31
	v_or_b32_e32 v3, s0, v9
	v_cmp_ne_u64_e32 vcc, 0, v[2:3]
	s_and_saveexec_b64 s[36:37], vcc
	s_xor_b64 s[36:37], exec, s[36:37]
	s_cbranch_execz .LBB72_29
; %bb.28:                               ;   in Loop: Header=BB72_23 Depth=2
	s_ashr_i32 s38, s0, 31
	s_add_u32 s40, s50, s38
	s_mov_b32 s39, s38
	s_addc_u32 s41, s0, s38
	s_xor_b64 s[40:41], s[40:41], s[38:39]
	v_cvt_f32_u32_e32 v3, s40
	v_cvt_f32_u32_e32 v5, s41
	s_sub_u32 s16, 0, s40
	s_subb_u32 s31, 0, s41
	v_mac_f32_e32 v3, 0x4f800000, v5
	v_rcp_f32_e32 v3, v3
	v_mul_f32_e32 v3, 0x5f7ffffc, v3
	v_mul_f32_e32 v5, 0x2f800000, v3
	v_trunc_f32_e32 v5, v5
	v_mac_f32_e32 v3, 0xcf800000, v5
	v_cvt_u32_f32_e32 v5, v5
	v_cvt_u32_f32_e32 v3, v3
	v_readfirstlane_b32 s39, v5
	v_readfirstlane_b32 s0, v3
	s_mul_i32 s1, s16, s39
	s_mul_hi_u32 s52, s16, s0
	s_mul_i32 s51, s31, s0
	s_add_i32 s1, s52, s1
	s_add_i32 s1, s1, s51
	s_mul_i32 s53, s16, s0
	s_mul_i32 s52, s0, s1
	s_mul_hi_u32 s54, s0, s53
	s_mul_hi_u32 s51, s0, s1
	s_add_u32 s52, s54, s52
	s_addc_u32 s51, 0, s51
	s_mul_hi_u32 s55, s39, s53
	s_mul_i32 s53, s39, s53
	s_add_u32 s52, s52, s53
	s_mul_hi_u32 s54, s39, s1
	s_addc_u32 s51, s51, s55
	s_addc_u32 s52, s54, 0
	s_mul_i32 s1, s39, s1
	s_add_u32 s1, s51, s1
	s_addc_u32 s51, 0, s52
	s_add_u32 s52, s0, s1
	s_cselect_b64 s[0:1], -1, 0
	s_cmp_lg_u64 s[0:1], 0
	s_addc_u32 s39, s39, s51
	s_mul_i32 s0, s16, s39
	s_mul_hi_u32 s1, s16, s52
	s_add_i32 s0, s1, s0
	s_mul_i32 s31, s31, s52
	s_add_i32 s0, s0, s31
	s_mul_i32 s16, s16, s52
	s_mul_hi_u32 s31, s39, s16
	s_mul_i32 s51, s39, s16
	s_mul_i32 s54, s52, s0
	s_mul_hi_u32 s16, s52, s16
	s_mul_hi_u32 s53, s52, s0
	s_add_u32 s16, s16, s54
	s_addc_u32 s53, 0, s53
	s_add_u32 s16, s16, s51
	s_mul_hi_u32 s1, s39, s0
	s_addc_u32 s16, s53, s31
	s_addc_u32 s1, s1, 0
	s_mul_i32 s0, s39, s0
	s_add_u32 s0, s16, s0
	s_addc_u32 s16, 0, s1
	s_add_u32 s31, s52, s0
	s_cselect_b64 s[0:1], -1, 0
	v_ashrrev_i32_e32 v3, 31, v9
	s_cmp_lg_u64 s[0:1], 0
	v_add_co_u32_e32 v5, vcc, v8, v3
	s_addc_u32 s16, s39, s16
	v_xor_b32_e32 v5, v5, v3
	v_addc_co_u32_e32 v7, vcc, v9, v3, vcc
	v_mad_u64_u32 v[9:10], s[0:1], v5, s16, 0
	v_mul_hi_u32 v11, v5, s31
	v_xor_b32_e32 v7, v7, v3
	v_xor_b32_e32 v3, s38, v3
	v_add_co_u32_e32 v13, vcc, v11, v9
	v_addc_co_u32_e32 v14, vcc, 0, v10, vcc
	v_mad_u64_u32 v[9:10], s[0:1], v7, s31, 0
	v_mad_u64_u32 v[11:12], s[0:1], v7, s16, 0
	v_add_co_u32_e32 v9, vcc, v13, v9
	v_addc_co_u32_e32 v9, vcc, v14, v10, vcc
	v_addc_co_u32_e32 v10, vcc, 0, v12, vcc
	v_add_co_u32_e32 v11, vcc, v9, v11
	v_addc_co_u32_e32 v12, vcc, 0, v10, vcc
	v_mul_lo_u32 v13, s41, v11
	v_mul_lo_u32 v14, s40, v12
	v_mad_u64_u32 v[9:10], s[0:1], s40, v11, 0
	v_add3_u32 v10, v10, v14, v13
	v_sub_u32_e32 v13, v7, v10
	v_mov_b32_e32 v14, s41
	v_sub_co_u32_e32 v5, vcc, v5, v9
	v_subb_co_u32_e64 v9, s[0:1], v13, v14, vcc
	v_subrev_co_u32_e64 v13, s[0:1], s40, v5
	v_subbrev_co_u32_e64 v9, s[0:1], 0, v9, s[0:1]
	v_cmp_le_u32_e64 s[0:1], s41, v9
	v_cndmask_b32_e64 v14, 0, -1, s[0:1]
	v_cmp_le_u32_e64 s[0:1], s40, v13
	v_cndmask_b32_e64 v13, 0, -1, s[0:1]
	v_cmp_eq_u32_e64 s[0:1], s41, v9
	v_cndmask_b32_e64 v9, v14, v13, s[0:1]
	v_add_co_u32_e64 v13, s[0:1], 2, v11
	v_subb_co_u32_e32 v7, vcc, v7, v10, vcc
	v_addc_co_u32_e64 v14, s[0:1], 0, v12, s[0:1]
	v_cmp_le_u32_e32 vcc, s41, v7
	v_add_co_u32_e64 v15, s[0:1], 1, v11
	v_cndmask_b32_e64 v10, 0, -1, vcc
	v_cmp_le_u32_e32 vcc, s40, v5
	v_addc_co_u32_e64 v16, s[0:1], 0, v12, s[0:1]
	v_cndmask_b32_e64 v5, 0, -1, vcc
	v_cmp_eq_u32_e32 vcc, s41, v7
	v_cmp_ne_u32_e64 s[0:1], 0, v9
	v_cndmask_b32_e32 v5, v10, v5, vcc
	v_cmp_ne_u32_e32 vcc, 0, v5
	v_cndmask_b32_e64 v7, v15, v13, s[0:1]
	v_cndmask_b32_e64 v9, v16, v14, s[0:1]
	v_cndmask_b32_e32 v7, v11, v7, vcc
	v_cndmask_b32_e32 v5, v12, v9, vcc
	v_xor_b32_e32 v7, v7, v3
	v_xor_b32_e32 v5, v5, v3
	v_sub_co_u32_e32 v10, vcc, v7, v3
	v_subb_co_u32_e32 v11, vcc, v5, v3, vcc
.LBB72_29:                              ;   in Loop: Header=BB72_23 Depth=2
	s_andn2_saveexec_b64 s[0:1], s[36:37]
	s_cbranch_execz .LBB72_31
; %bb.30:                               ;   in Loop: Header=BB72_23 Depth=2
	v_cvt_f32_u32_e32 v3, s50
	s_sub_i32 s16, 0, s50
	v_mov_b32_e32 v11, v2
	v_rcp_iflag_f32_e32 v3, v3
	v_mul_f32_e32 v3, 0x4f7ffffe, v3
	v_cvt_u32_f32_e32 v3, v3
	v_mul_lo_u32 v5, s16, v3
	v_mul_hi_u32 v5, v3, v5
	v_add_u32_e32 v3, v3, v5
	v_mul_hi_u32 v3, v8, v3
	v_mul_lo_u32 v5, v3, s50
	v_add_u32_e32 v7, 1, v3
	v_sub_u32_e32 v5, v8, v5
	v_subrev_u32_e32 v9, s50, v5
	v_cmp_le_u32_e32 vcc, s50, v5
	v_cndmask_b32_e32 v5, v5, v9, vcc
	v_cndmask_b32_e32 v3, v3, v7, vcc
	v_add_u32_e32 v7, 1, v3
	v_cmp_le_u32_e32 vcc, s50, v5
	v_cndmask_b32_e32 v10, v3, v7, vcc
.LBB72_31:                              ;   in Loop: Header=BB72_23 Depth=2
	s_or_b64 exec, exec, s[0:1]
	s_add_u32 s0, s4, s34
	s_addc_u32 s1, s5, s35
	s_add_i32 s16, s30, 5
	s_lshl_b64 s[34:35], s[16:17], 2
	s_add_u32 s36, s42, s34
	s_addc_u32 s37, s43, s35
	s_load_dword s52, s[36:37], 0x8
	s_load_dword s51, s[0:1], 0x6c
                                        ; implicit-def: $vgpr12_vgpr13
	s_waitcnt lgkmcnt(0)
	s_ashr_i32 s0, s52, 31
	v_or_b32_e32 v3, s0, v11
	v_cmp_ne_u64_e32 vcc, 0, v[2:3]
	s_and_saveexec_b64 s[36:37], vcc
	s_xor_b64 s[36:37], exec, s[36:37]
	s_cbranch_execz .LBB72_33
; %bb.32:                               ;   in Loop: Header=BB72_23 Depth=2
	s_ashr_i32 s38, s0, 31
	s_add_u32 s40, s52, s38
	s_mov_b32 s39, s38
	s_addc_u32 s41, s0, s38
	s_xor_b64 s[40:41], s[40:41], s[38:39]
	v_cvt_f32_u32_e32 v3, s40
	v_cvt_f32_u32_e32 v5, s41
	s_sub_u32 s16, 0, s40
	s_subb_u32 s31, 0, s41
	v_mac_f32_e32 v3, 0x4f800000, v5
	v_rcp_f32_e32 v3, v3
	v_mul_f32_e32 v3, 0x5f7ffffc, v3
	v_mul_f32_e32 v5, 0x2f800000, v3
	v_trunc_f32_e32 v5, v5
	v_mac_f32_e32 v3, 0xcf800000, v5
	v_cvt_u32_f32_e32 v5, v5
	v_cvt_u32_f32_e32 v3, v3
	v_readfirstlane_b32 s39, v5
	v_readfirstlane_b32 s0, v3
	s_mul_i32 s1, s16, s39
	s_mul_hi_u32 s54, s16, s0
	s_mul_i32 s53, s31, s0
	s_add_i32 s1, s54, s1
	s_add_i32 s1, s1, s53
	s_mul_i32 s55, s16, s0
	s_mul_i32 s54, s0, s1
	s_mul_hi_u32 s56, s0, s55
	s_mul_hi_u32 s53, s0, s1
	s_add_u32 s54, s56, s54
	s_addc_u32 s53, 0, s53
	s_mul_hi_u32 s57, s39, s55
	s_mul_i32 s55, s39, s55
	s_add_u32 s54, s54, s55
	s_mul_hi_u32 s56, s39, s1
	s_addc_u32 s53, s53, s57
	s_addc_u32 s54, s56, 0
	s_mul_i32 s1, s39, s1
	s_add_u32 s1, s53, s1
	s_addc_u32 s53, 0, s54
	s_add_u32 s54, s0, s1
	s_cselect_b64 s[0:1], -1, 0
	s_cmp_lg_u64 s[0:1], 0
	s_addc_u32 s39, s39, s53
	s_mul_i32 s0, s16, s39
	s_mul_hi_u32 s1, s16, s54
	s_add_i32 s0, s1, s0
	s_mul_i32 s31, s31, s54
	s_add_i32 s0, s0, s31
	s_mul_i32 s16, s16, s54
	s_mul_hi_u32 s31, s39, s16
	s_mul_i32 s53, s39, s16
	s_mul_i32 s56, s54, s0
	s_mul_hi_u32 s16, s54, s16
	s_mul_hi_u32 s55, s54, s0
	s_add_u32 s16, s16, s56
	s_addc_u32 s55, 0, s55
	s_add_u32 s16, s16, s53
	s_mul_hi_u32 s1, s39, s0
	s_addc_u32 s16, s55, s31
	s_addc_u32 s1, s1, 0
	s_mul_i32 s0, s39, s0
	s_add_u32 s0, s16, s0
	s_addc_u32 s16, 0, s1
	s_add_u32 s31, s54, s0
	s_cselect_b64 s[0:1], -1, 0
	v_ashrrev_i32_e32 v3, 31, v11
	s_cmp_lg_u64 s[0:1], 0
	v_add_co_u32_e32 v5, vcc, v10, v3
	s_addc_u32 s16, s39, s16
	v_xor_b32_e32 v5, v5, v3
	v_addc_co_u32_e32 v7, vcc, v11, v3, vcc
	v_mad_u64_u32 v[11:12], s[0:1], v5, s16, 0
	v_mul_hi_u32 v9, v5, s31
	v_xor_b32_e32 v7, v7, v3
	v_mad_u64_u32 v[13:14], s[0:1], v7, s16, 0
	v_add_co_u32_e32 v9, vcc, v9, v11
	v_addc_co_u32_e32 v15, vcc, 0, v12, vcc
	v_mad_u64_u32 v[11:12], s[0:1], v7, s31, 0
	v_xor_b32_e32 v3, s38, v3
	v_add_co_u32_e32 v9, vcc, v9, v11
	v_addc_co_u32_e32 v9, vcc, v15, v12, vcc
	v_addc_co_u32_e32 v11, vcc, 0, v14, vcc
	v_add_co_u32_e32 v9, vcc, v9, v13
	v_addc_co_u32_e32 v13, vcc, 0, v11, vcc
	v_mul_lo_u32 v14, s41, v9
	v_mul_lo_u32 v15, s40, v13
	v_mad_u64_u32 v[11:12], s[0:1], s40, v9, 0
	v_add3_u32 v12, v12, v15, v14
	v_sub_u32_e32 v14, v7, v12
	v_mov_b32_e32 v15, s41
	v_sub_co_u32_e32 v5, vcc, v5, v11
	v_subb_co_u32_e64 v11, s[0:1], v14, v15, vcc
	v_subrev_co_u32_e64 v14, s[0:1], s40, v5
	v_subbrev_co_u32_e64 v11, s[0:1], 0, v11, s[0:1]
	v_cmp_le_u32_e64 s[0:1], s41, v11
	v_cndmask_b32_e64 v15, 0, -1, s[0:1]
	v_cmp_le_u32_e64 s[0:1], s40, v14
	v_cndmask_b32_e64 v14, 0, -1, s[0:1]
	v_cmp_eq_u32_e64 s[0:1], s41, v11
	v_cndmask_b32_e64 v11, v15, v14, s[0:1]
	v_add_co_u32_e64 v14, s[0:1], 2, v9
	v_subb_co_u32_e32 v7, vcc, v7, v12, vcc
	v_addc_co_u32_e64 v15, s[0:1], 0, v13, s[0:1]
	v_cmp_le_u32_e32 vcc, s41, v7
	v_add_co_u32_e64 v16, s[0:1], 1, v9
	v_cndmask_b32_e64 v12, 0, -1, vcc
	v_cmp_le_u32_e32 vcc, s40, v5
	v_addc_co_u32_e64 v17, s[0:1], 0, v13, s[0:1]
	v_cndmask_b32_e64 v5, 0, -1, vcc
	v_cmp_eq_u32_e32 vcc, s41, v7
	v_cmp_ne_u32_e64 s[0:1], 0, v11
	v_cndmask_b32_e32 v5, v12, v5, vcc
	v_cmp_ne_u32_e32 vcc, 0, v5
	v_cndmask_b32_e64 v7, v16, v14, s[0:1]
	v_cndmask_b32_e64 v11, v17, v15, s[0:1]
	v_cndmask_b32_e32 v7, v9, v7, vcc
	v_cndmask_b32_e32 v5, v13, v11, vcc
	v_xor_b32_e32 v7, v7, v3
	v_xor_b32_e32 v5, v5, v3
	v_sub_co_u32_e32 v12, vcc, v7, v3
	v_subb_co_u32_e32 v13, vcc, v5, v3, vcc
.LBB72_33:                              ;   in Loop: Header=BB72_23 Depth=2
	s_andn2_saveexec_b64 s[0:1], s[36:37]
	s_cbranch_execz .LBB72_35
; %bb.34:                               ;   in Loop: Header=BB72_23 Depth=2
	v_cvt_f32_u32_e32 v3, s52
	s_sub_i32 s16, 0, s52
	v_mov_b32_e32 v13, v2
	v_rcp_iflag_f32_e32 v3, v3
	v_mul_f32_e32 v3, 0x4f7ffffe, v3
	v_cvt_u32_f32_e32 v3, v3
	v_mul_lo_u32 v5, s16, v3
	v_mul_hi_u32 v5, v3, v5
	v_add_u32_e32 v3, v3, v5
	v_mul_hi_u32 v3, v10, v3
	v_mul_lo_u32 v5, v3, s52
	v_add_u32_e32 v7, 1, v3
	v_sub_u32_e32 v5, v10, v5
	v_subrev_u32_e32 v9, s52, v5
	v_cmp_le_u32_e32 vcc, s52, v5
	v_cndmask_b32_e32 v5, v5, v9, vcc
	v_cndmask_b32_e32 v3, v3, v7, vcc
	v_add_u32_e32 v7, 1, v3
	v_cmp_le_u32_e32 vcc, s52, v5
	v_cndmask_b32_e32 v12, v3, v7, vcc
.LBB72_35:                              ;   in Loop: Header=BB72_23 Depth=2
	s_or_b64 exec, exec, s[0:1]
	s_add_u32 s0, s4, s34
	s_addc_u32 s1, s5, s35
	s_add_i32 s16, s30, 4
	s_lshl_b64 s[34:35], s[16:17], 2
	s_add_u32 s36, s42, s34
	s_addc_u32 s37, s43, s35
	s_load_dword s54, s[36:37], 0x8
	s_load_dword s53, s[0:1], 0x6c
                                        ; implicit-def: $vgpr14_vgpr15
	s_waitcnt lgkmcnt(0)
	s_ashr_i32 s0, s54, 31
	v_or_b32_e32 v3, s0, v13
	v_cmp_ne_u64_e32 vcc, 0, v[2:3]
	s_and_saveexec_b64 s[36:37], vcc
	s_xor_b64 s[36:37], exec, s[36:37]
	s_cbranch_execz .LBB72_37
; %bb.36:                               ;   in Loop: Header=BB72_23 Depth=2
	s_ashr_i32 s38, s0, 31
	s_add_u32 s40, s54, s38
	s_mov_b32 s39, s38
	s_addc_u32 s41, s0, s38
	s_xor_b64 s[40:41], s[40:41], s[38:39]
	v_cvt_f32_u32_e32 v3, s40
	v_cvt_f32_u32_e32 v5, s41
	s_sub_u32 s16, 0, s40
	s_subb_u32 s31, 0, s41
	v_mac_f32_e32 v3, 0x4f800000, v5
	v_rcp_f32_e32 v3, v3
	v_mul_f32_e32 v3, 0x5f7ffffc, v3
	v_mul_f32_e32 v5, 0x2f800000, v3
	v_trunc_f32_e32 v5, v5
	v_mac_f32_e32 v3, 0xcf800000, v5
	v_cvt_u32_f32_e32 v5, v5
	v_cvt_u32_f32_e32 v3, v3
	v_readfirstlane_b32 s39, v5
	v_readfirstlane_b32 s0, v3
	s_mul_i32 s1, s16, s39
	s_mul_hi_u32 s56, s16, s0
	s_mul_i32 s55, s31, s0
	s_add_i32 s1, s56, s1
	s_add_i32 s1, s1, s55
	s_mul_i32 s57, s16, s0
	s_mul_i32 s56, s0, s1
	s_mul_hi_u32 s58, s0, s57
	s_mul_hi_u32 s55, s0, s1
	s_add_u32 s56, s58, s56
	s_addc_u32 s55, 0, s55
	s_mul_hi_u32 s59, s39, s57
	s_mul_i32 s57, s39, s57
	s_add_u32 s56, s56, s57
	s_mul_hi_u32 s58, s39, s1
	s_addc_u32 s55, s55, s59
	s_addc_u32 s56, s58, 0
	s_mul_i32 s1, s39, s1
	s_add_u32 s1, s55, s1
	s_addc_u32 s55, 0, s56
	s_add_u32 s56, s0, s1
	s_cselect_b64 s[0:1], -1, 0
	s_cmp_lg_u64 s[0:1], 0
	s_addc_u32 s39, s39, s55
	s_mul_i32 s0, s16, s39
	s_mul_hi_u32 s1, s16, s56
	s_add_i32 s0, s1, s0
	s_mul_i32 s31, s31, s56
	s_add_i32 s0, s0, s31
	s_mul_i32 s16, s16, s56
	s_mul_hi_u32 s31, s39, s16
	s_mul_i32 s55, s39, s16
	s_mul_i32 s58, s56, s0
	s_mul_hi_u32 s16, s56, s16
	s_mul_hi_u32 s57, s56, s0
	s_add_u32 s16, s16, s58
	s_addc_u32 s57, 0, s57
	s_add_u32 s16, s16, s55
	s_mul_hi_u32 s1, s39, s0
	s_addc_u32 s16, s57, s31
	s_addc_u32 s1, s1, 0
	s_mul_i32 s0, s39, s0
	s_add_u32 s0, s16, s0
	s_addc_u32 s16, 0, s1
	s_add_u32 s31, s56, s0
	s_cselect_b64 s[0:1], -1, 0
	v_ashrrev_i32_e32 v3, 31, v13
	s_cmp_lg_u64 s[0:1], 0
	v_add_co_u32_e32 v5, vcc, v12, v3
	s_addc_u32 s16, s39, s16
	v_xor_b32_e32 v5, v5, v3
	v_addc_co_u32_e32 v7, vcc, v13, v3, vcc
	v_mad_u64_u32 v[13:14], s[0:1], v5, s16, 0
	v_mul_hi_u32 v9, v5, s31
	v_xor_b32_e32 v7, v7, v3
	v_mad_u64_u32 v[15:16], s[0:1], v7, s16, 0
	v_add_co_u32_e32 v9, vcc, v9, v13
	v_addc_co_u32_e32 v11, vcc, 0, v14, vcc
	v_mad_u64_u32 v[13:14], s[0:1], v7, s31, 0
	v_xor_b32_e32 v3, s38, v3
	v_add_co_u32_e32 v9, vcc, v9, v13
	v_addc_co_u32_e32 v9, vcc, v11, v14, vcc
	v_addc_co_u32_e32 v11, vcc, 0, v16, vcc
	v_add_co_u32_e32 v9, vcc, v9, v15
	v_addc_co_u32_e32 v11, vcc, 0, v11, vcc
	v_mul_lo_u32 v15, s41, v9
	v_mul_lo_u32 v16, s40, v11
	v_mad_u64_u32 v[13:14], s[0:1], s40, v9, 0
	v_add3_u32 v14, v14, v16, v15
	v_sub_u32_e32 v15, v7, v14
	v_mov_b32_e32 v16, s41
	v_sub_co_u32_e32 v5, vcc, v5, v13
	v_subb_co_u32_e64 v13, s[0:1], v15, v16, vcc
	v_subrev_co_u32_e64 v15, s[0:1], s40, v5
	v_subbrev_co_u32_e64 v13, s[0:1], 0, v13, s[0:1]
	v_cmp_le_u32_e64 s[0:1], s41, v13
	v_cndmask_b32_e64 v16, 0, -1, s[0:1]
	v_cmp_le_u32_e64 s[0:1], s40, v15
	v_cndmask_b32_e64 v15, 0, -1, s[0:1]
	v_cmp_eq_u32_e64 s[0:1], s41, v13
	v_cndmask_b32_e64 v13, v16, v15, s[0:1]
	v_add_co_u32_e64 v15, s[0:1], 2, v9
	v_subb_co_u32_e32 v7, vcc, v7, v14, vcc
	v_addc_co_u32_e64 v16, s[0:1], 0, v11, s[0:1]
	v_cmp_le_u32_e32 vcc, s41, v7
	v_add_co_u32_e64 v17, s[0:1], 1, v9
	v_cndmask_b32_e64 v14, 0, -1, vcc
	v_cmp_le_u32_e32 vcc, s40, v5
	v_addc_co_u32_e64 v18, s[0:1], 0, v11, s[0:1]
	v_cndmask_b32_e64 v5, 0, -1, vcc
	v_cmp_eq_u32_e32 vcc, s41, v7
	v_cmp_ne_u32_e64 s[0:1], 0, v13
	v_cndmask_b32_e32 v5, v14, v5, vcc
	v_cmp_ne_u32_e32 vcc, 0, v5
	v_cndmask_b32_e64 v7, v17, v15, s[0:1]
	v_cndmask_b32_e64 v13, v18, v16, s[0:1]
	v_cndmask_b32_e32 v7, v9, v7, vcc
	v_cndmask_b32_e32 v5, v11, v13, vcc
	v_xor_b32_e32 v7, v7, v3
	v_xor_b32_e32 v5, v5, v3
	v_sub_co_u32_e32 v14, vcc, v7, v3
	v_subb_co_u32_e32 v15, vcc, v5, v3, vcc
.LBB72_37:                              ;   in Loop: Header=BB72_23 Depth=2
	s_andn2_saveexec_b64 s[0:1], s[36:37]
	s_cbranch_execz .LBB72_39
; %bb.38:                               ;   in Loop: Header=BB72_23 Depth=2
	v_cvt_f32_u32_e32 v3, s54
	s_sub_i32 s16, 0, s54
	v_mov_b32_e32 v15, v2
	v_rcp_iflag_f32_e32 v3, v3
	v_mul_f32_e32 v3, 0x4f7ffffe, v3
	v_cvt_u32_f32_e32 v3, v3
	v_mul_lo_u32 v5, s16, v3
	v_mul_hi_u32 v5, v3, v5
	v_add_u32_e32 v3, v3, v5
	v_mul_hi_u32 v3, v12, v3
	v_mul_lo_u32 v5, v3, s54
	v_add_u32_e32 v7, 1, v3
	v_sub_u32_e32 v5, v12, v5
	v_subrev_u32_e32 v9, s54, v5
	v_cmp_le_u32_e32 vcc, s54, v5
	v_cndmask_b32_e32 v5, v5, v9, vcc
	v_cndmask_b32_e32 v3, v3, v7, vcc
	v_add_u32_e32 v7, 1, v3
	v_cmp_le_u32_e32 vcc, s54, v5
	v_cndmask_b32_e32 v14, v3, v7, vcc
.LBB72_39:                              ;   in Loop: Header=BB72_23 Depth=2
	s_or_b64 exec, exec, s[0:1]
	s_add_u32 s0, s4, s34
	s_addc_u32 s1, s5, s35
	s_add_i32 s16, s30, 3
	s_lshl_b64 s[34:35], s[16:17], 2
	s_add_u32 s36, s42, s34
	s_addc_u32 s37, s43, s35
	s_load_dword s55, s[36:37], 0x8
	s_load_dword s56, s[0:1], 0x6c
                                        ; implicit-def: $vgpr16_vgpr17
	s_waitcnt lgkmcnt(0)
	s_ashr_i32 s0, s55, 31
	v_or_b32_e32 v3, s0, v15
	v_cmp_ne_u64_e32 vcc, 0, v[2:3]
	s_and_saveexec_b64 s[36:37], vcc
	s_xor_b64 s[36:37], exec, s[36:37]
	s_cbranch_execz .LBB72_41
; %bb.40:                               ;   in Loop: Header=BB72_23 Depth=2
	s_ashr_i32 s38, s0, 31
	s_add_u32 s40, s55, s38
	s_mov_b32 s39, s38
	s_addc_u32 s41, s0, s38
	s_xor_b64 s[40:41], s[40:41], s[38:39]
	v_cvt_f32_u32_e32 v3, s40
	v_cvt_f32_u32_e32 v5, s41
	s_sub_u32 s16, 0, s40
	s_subb_u32 s31, 0, s41
	v_mac_f32_e32 v3, 0x4f800000, v5
	v_rcp_f32_e32 v3, v3
	v_mul_f32_e32 v3, 0x5f7ffffc, v3
	v_mul_f32_e32 v5, 0x2f800000, v3
	v_trunc_f32_e32 v5, v5
	v_mac_f32_e32 v3, 0xcf800000, v5
	v_cvt_u32_f32_e32 v5, v5
	v_cvt_u32_f32_e32 v3, v3
	v_readfirstlane_b32 s39, v5
	v_readfirstlane_b32 s0, v3
	s_mul_i32 s1, s16, s39
	s_mul_hi_u32 s58, s16, s0
	s_mul_i32 s57, s31, s0
	s_add_i32 s1, s58, s1
	s_add_i32 s1, s1, s57
	s_mul_i32 s59, s16, s0
	s_mul_i32 s58, s0, s1
	s_mul_hi_u32 s60, s0, s59
	s_mul_hi_u32 s57, s0, s1
	s_add_u32 s58, s60, s58
	s_addc_u32 s57, 0, s57
	s_mul_hi_u32 s61, s39, s59
	s_mul_i32 s59, s39, s59
	s_add_u32 s58, s58, s59
	s_mul_hi_u32 s60, s39, s1
	s_addc_u32 s57, s57, s61
	s_addc_u32 s58, s60, 0
	s_mul_i32 s1, s39, s1
	s_add_u32 s1, s57, s1
	s_addc_u32 s57, 0, s58
	s_add_u32 s58, s0, s1
	s_cselect_b64 s[0:1], -1, 0
	s_cmp_lg_u64 s[0:1], 0
	s_addc_u32 s39, s39, s57
	s_mul_i32 s0, s16, s39
	s_mul_hi_u32 s1, s16, s58
	s_add_i32 s0, s1, s0
	s_mul_i32 s31, s31, s58
	s_add_i32 s0, s0, s31
	s_mul_i32 s16, s16, s58
	s_mul_hi_u32 s31, s39, s16
	s_mul_i32 s57, s39, s16
	s_mul_i32 s60, s58, s0
	s_mul_hi_u32 s16, s58, s16
	s_mul_hi_u32 s59, s58, s0
	s_add_u32 s16, s16, s60
	s_addc_u32 s59, 0, s59
	s_add_u32 s16, s16, s57
	s_mul_hi_u32 s1, s39, s0
	s_addc_u32 s16, s59, s31
	s_addc_u32 s1, s1, 0
	s_mul_i32 s0, s39, s0
	s_add_u32 s0, s16, s0
	s_addc_u32 s16, 0, s1
	s_add_u32 s31, s58, s0
	s_cselect_b64 s[0:1], -1, 0
	v_ashrrev_i32_e32 v3, 31, v15
	s_cmp_lg_u64 s[0:1], 0
	v_add_co_u32_e32 v5, vcc, v14, v3
	s_addc_u32 s16, s39, s16
	v_xor_b32_e32 v5, v5, v3
	v_addc_co_u32_e32 v7, vcc, v15, v3, vcc
	v_mad_u64_u32 v[15:16], s[0:1], v5, s16, 0
	v_mul_hi_u32 v9, v5, s31
	v_xor_b32_e32 v7, v7, v3
	v_mad_u64_u32 v[17:18], s[0:1], v7, s16, 0
	v_add_co_u32_e32 v9, vcc, v9, v15
	v_addc_co_u32_e32 v11, vcc, 0, v16, vcc
	v_mad_u64_u32 v[15:16], s[0:1], v7, s31, 0
	v_xor_b32_e32 v3, s38, v3
	v_add_co_u32_e32 v9, vcc, v9, v15
	v_addc_co_u32_e32 v9, vcc, v11, v16, vcc
	v_addc_co_u32_e32 v11, vcc, 0, v18, vcc
	v_add_co_u32_e32 v9, vcc, v9, v17
	v_addc_co_u32_e32 v11, vcc, 0, v11, vcc
	v_mul_lo_u32 v13, s41, v9
	v_mul_lo_u32 v17, s40, v11
	v_mad_u64_u32 v[15:16], s[0:1], s40, v9, 0
	v_add3_u32 v13, v16, v17, v13
	v_sub_u32_e32 v16, v7, v13
	v_mov_b32_e32 v17, s41
	v_sub_co_u32_e32 v5, vcc, v5, v15
	v_subb_co_u32_e64 v15, s[0:1], v16, v17, vcc
	v_subrev_co_u32_e64 v16, s[0:1], s40, v5
	v_subbrev_co_u32_e64 v15, s[0:1], 0, v15, s[0:1]
	v_cmp_le_u32_e64 s[0:1], s41, v15
	v_cndmask_b32_e64 v17, 0, -1, s[0:1]
	v_cmp_le_u32_e64 s[0:1], s40, v16
	v_cndmask_b32_e64 v16, 0, -1, s[0:1]
	v_cmp_eq_u32_e64 s[0:1], s41, v15
	v_cndmask_b32_e64 v15, v17, v16, s[0:1]
	v_add_co_u32_e64 v16, s[0:1], 2, v9
	v_subb_co_u32_e32 v7, vcc, v7, v13, vcc
	v_addc_co_u32_e64 v17, s[0:1], 0, v11, s[0:1]
	v_cmp_le_u32_e32 vcc, s41, v7
	v_add_co_u32_e64 v18, s[0:1], 1, v9
	v_cndmask_b32_e64 v13, 0, -1, vcc
	v_cmp_le_u32_e32 vcc, s40, v5
	v_addc_co_u32_e64 v19, s[0:1], 0, v11, s[0:1]
	v_cndmask_b32_e64 v5, 0, -1, vcc
	v_cmp_eq_u32_e32 vcc, s41, v7
	v_cmp_ne_u32_e64 s[0:1], 0, v15
	v_cndmask_b32_e32 v5, v13, v5, vcc
	v_cmp_ne_u32_e32 vcc, 0, v5
	v_cndmask_b32_e64 v7, v18, v16, s[0:1]
	v_cndmask_b32_e64 v15, v19, v17, s[0:1]
	v_cndmask_b32_e32 v7, v9, v7, vcc
	v_cndmask_b32_e32 v5, v11, v15, vcc
	v_xor_b32_e32 v7, v7, v3
	v_xor_b32_e32 v5, v5, v3
	v_sub_co_u32_e32 v16, vcc, v7, v3
	v_subb_co_u32_e32 v17, vcc, v5, v3, vcc
.LBB72_41:                              ;   in Loop: Header=BB72_23 Depth=2
	s_andn2_saveexec_b64 s[0:1], s[36:37]
	s_cbranch_execz .LBB72_43
; %bb.42:                               ;   in Loop: Header=BB72_23 Depth=2
	v_cvt_f32_u32_e32 v3, s55
	s_sub_i32 s16, 0, s55
	v_mov_b32_e32 v17, v2
	v_rcp_iflag_f32_e32 v3, v3
	v_mul_f32_e32 v3, 0x4f7ffffe, v3
	v_cvt_u32_f32_e32 v3, v3
	v_mul_lo_u32 v5, s16, v3
	v_mul_hi_u32 v5, v3, v5
	v_add_u32_e32 v3, v3, v5
	v_mul_hi_u32 v3, v14, v3
	v_mul_lo_u32 v5, v3, s55
	v_add_u32_e32 v7, 1, v3
	v_sub_u32_e32 v5, v14, v5
	v_subrev_u32_e32 v9, s55, v5
	v_cmp_le_u32_e32 vcc, s55, v5
	v_cndmask_b32_e32 v5, v5, v9, vcc
	v_cndmask_b32_e32 v3, v3, v7, vcc
	v_add_u32_e32 v7, 1, v3
	v_cmp_le_u32_e32 vcc, s55, v5
	v_cndmask_b32_e32 v16, v3, v7, vcc
.LBB72_43:                              ;   in Loop: Header=BB72_23 Depth=2
	s_or_b64 exec, exec, s[0:1]
	s_add_u32 s0, s4, s34
	s_addc_u32 s1, s5, s35
	s_add_i32 s16, s30, 2
	s_lshl_b64 s[34:35], s[16:17], 2
	s_add_u32 s36, s42, s34
	s_addc_u32 s37, s43, s35
	s_load_dword s58, s[36:37], 0x8
	s_load_dword s57, s[0:1], 0x6c
                                        ; implicit-def: $vgpr18_vgpr19
	s_waitcnt lgkmcnt(0)
	s_ashr_i32 s0, s58, 31
	v_or_b32_e32 v3, s0, v17
	v_cmp_ne_u64_e32 vcc, 0, v[2:3]
	s_and_saveexec_b64 s[36:37], vcc
	s_xor_b64 s[36:37], exec, s[36:37]
	s_cbranch_execz .LBB72_45
; %bb.44:                               ;   in Loop: Header=BB72_23 Depth=2
	s_ashr_i32 s38, s0, 31
	s_add_u32 s40, s58, s38
	s_mov_b32 s39, s38
	s_addc_u32 s41, s0, s38
	s_xor_b64 s[40:41], s[40:41], s[38:39]
	v_cvt_f32_u32_e32 v3, s40
	v_cvt_f32_u32_e32 v5, s41
	s_sub_u32 s16, 0, s40
	s_subb_u32 s31, 0, s41
	v_mac_f32_e32 v3, 0x4f800000, v5
	v_rcp_f32_e32 v3, v3
	v_mul_f32_e32 v3, 0x5f7ffffc, v3
	v_mul_f32_e32 v5, 0x2f800000, v3
	v_trunc_f32_e32 v5, v5
	v_mac_f32_e32 v3, 0xcf800000, v5
	v_cvt_u32_f32_e32 v5, v5
	v_cvt_u32_f32_e32 v3, v3
	v_readfirstlane_b32 s39, v5
	v_readfirstlane_b32 s0, v3
	s_mul_i32 s1, s16, s39
	s_mul_hi_u32 s60, s16, s0
	s_mul_i32 s59, s31, s0
	s_add_i32 s1, s60, s1
	s_add_i32 s1, s1, s59
	s_mul_i32 s61, s16, s0
	s_mul_i32 s60, s0, s1
	s_mul_hi_u32 s62, s0, s61
	s_mul_hi_u32 s59, s0, s1
	s_add_u32 s60, s62, s60
	s_addc_u32 s59, 0, s59
	s_mul_hi_u32 s63, s39, s61
	s_mul_i32 s61, s39, s61
	s_add_u32 s60, s60, s61
	s_mul_hi_u32 s62, s39, s1
	s_addc_u32 s59, s59, s63
	s_addc_u32 s60, s62, 0
	s_mul_i32 s1, s39, s1
	s_add_u32 s1, s59, s1
	s_addc_u32 s59, 0, s60
	s_add_u32 s60, s0, s1
	s_cselect_b64 s[0:1], -1, 0
	s_cmp_lg_u64 s[0:1], 0
	s_addc_u32 s39, s39, s59
	s_mul_i32 s0, s16, s39
	s_mul_hi_u32 s1, s16, s60
	s_add_i32 s0, s1, s0
	s_mul_i32 s31, s31, s60
	s_add_i32 s0, s0, s31
	s_mul_i32 s16, s16, s60
	s_mul_hi_u32 s31, s39, s16
	s_mul_i32 s59, s39, s16
	s_mul_i32 s62, s60, s0
	s_mul_hi_u32 s16, s60, s16
	s_mul_hi_u32 s61, s60, s0
	s_add_u32 s16, s16, s62
	s_addc_u32 s61, 0, s61
	s_add_u32 s16, s16, s59
	s_mul_hi_u32 s1, s39, s0
	s_addc_u32 s16, s61, s31
	s_addc_u32 s1, s1, 0
	s_mul_i32 s0, s39, s0
	s_add_u32 s0, s16, s0
	s_addc_u32 s16, 0, s1
	s_add_u32 s31, s60, s0
	s_cselect_b64 s[0:1], -1, 0
	v_ashrrev_i32_e32 v3, 31, v17
	s_cmp_lg_u64 s[0:1], 0
	v_add_co_u32_e32 v5, vcc, v16, v3
	s_addc_u32 s16, s39, s16
	v_xor_b32_e32 v5, v5, v3
	v_addc_co_u32_e32 v7, vcc, v17, v3, vcc
	v_mad_u64_u32 v[17:18], s[0:1], v5, s16, 0
	v_mul_hi_u32 v9, v5, s31
	v_xor_b32_e32 v7, v7, v3
	v_mad_u64_u32 v[19:20], s[0:1], v7, s16, 0
	v_add_co_u32_e32 v9, vcc, v9, v17
	v_addc_co_u32_e32 v11, vcc, 0, v18, vcc
	v_mad_u64_u32 v[17:18], s[0:1], v7, s31, 0
	v_xor_b32_e32 v3, s38, v3
	v_add_co_u32_e32 v9, vcc, v9, v17
	v_addc_co_u32_e32 v9, vcc, v11, v18, vcc
	v_addc_co_u32_e32 v11, vcc, 0, v20, vcc
	v_add_co_u32_e32 v9, vcc, v9, v19
	v_addc_co_u32_e32 v11, vcc, 0, v11, vcc
	v_mul_lo_u32 v13, s41, v9
	v_mul_lo_u32 v15, s40, v11
	v_mad_u64_u32 v[17:18], s[0:1], s40, v9, 0
	v_add3_u32 v13, v18, v15, v13
	v_sub_u32_e32 v15, v7, v13
	v_mov_b32_e32 v18, s41
	v_sub_co_u32_e32 v5, vcc, v5, v17
	v_subb_co_u32_e64 v15, s[0:1], v15, v18, vcc
	v_subrev_co_u32_e64 v17, s[0:1], s40, v5
	v_subbrev_co_u32_e64 v15, s[0:1], 0, v15, s[0:1]
	v_cmp_le_u32_e64 s[0:1], s41, v15
	v_cndmask_b32_e64 v18, 0, -1, s[0:1]
	v_cmp_le_u32_e64 s[0:1], s40, v17
	v_cndmask_b32_e64 v17, 0, -1, s[0:1]
	v_cmp_eq_u32_e64 s[0:1], s41, v15
	v_cndmask_b32_e64 v15, v18, v17, s[0:1]
	v_add_co_u32_e64 v17, s[0:1], 2, v9
	v_subb_co_u32_e32 v7, vcc, v7, v13, vcc
	v_addc_co_u32_e64 v18, s[0:1], 0, v11, s[0:1]
	v_cmp_le_u32_e32 vcc, s41, v7
	v_add_co_u32_e64 v19, s[0:1], 1, v9
	v_cndmask_b32_e64 v13, 0, -1, vcc
	v_cmp_le_u32_e32 vcc, s40, v5
	v_addc_co_u32_e64 v20, s[0:1], 0, v11, s[0:1]
	v_cndmask_b32_e64 v5, 0, -1, vcc
	v_cmp_eq_u32_e32 vcc, s41, v7
	v_cmp_ne_u32_e64 s[0:1], 0, v15
	v_cndmask_b32_e32 v5, v13, v5, vcc
	v_cmp_ne_u32_e32 vcc, 0, v5
	v_cndmask_b32_e64 v7, v19, v17, s[0:1]
	v_cndmask_b32_e64 v15, v20, v18, s[0:1]
	v_cndmask_b32_e32 v7, v9, v7, vcc
	v_cndmask_b32_e32 v5, v11, v15, vcc
	v_xor_b32_e32 v7, v7, v3
	v_xor_b32_e32 v5, v5, v3
	v_sub_co_u32_e32 v18, vcc, v7, v3
	v_subb_co_u32_e32 v19, vcc, v5, v3, vcc
.LBB72_45:                              ;   in Loop: Header=BB72_23 Depth=2
	s_andn2_saveexec_b64 s[0:1], s[36:37]
	s_cbranch_execz .LBB72_47
; %bb.46:                               ;   in Loop: Header=BB72_23 Depth=2
	v_cvt_f32_u32_e32 v3, s58
	s_sub_i32 s16, 0, s58
	v_mov_b32_e32 v19, v2
	v_rcp_iflag_f32_e32 v3, v3
	v_mul_f32_e32 v3, 0x4f7ffffe, v3
	v_cvt_u32_f32_e32 v3, v3
	v_mul_lo_u32 v5, s16, v3
	v_mul_hi_u32 v5, v3, v5
	v_add_u32_e32 v3, v3, v5
	v_mul_hi_u32 v3, v16, v3
	v_mul_lo_u32 v5, v3, s58
	v_add_u32_e32 v7, 1, v3
	v_sub_u32_e32 v5, v16, v5
	v_subrev_u32_e32 v9, s58, v5
	v_cmp_le_u32_e32 vcc, s58, v5
	v_cndmask_b32_e32 v5, v5, v9, vcc
	v_cndmask_b32_e32 v3, v3, v7, vcc
	v_add_u32_e32 v7, 1, v3
	v_cmp_le_u32_e32 vcc, s58, v5
	v_cndmask_b32_e32 v18, v3, v7, vcc
.LBB72_47:                              ;   in Loop: Header=BB72_23 Depth=2
	s_or_b64 exec, exec, s[0:1]
	s_add_u32 s0, s4, s34
	s_addc_u32 s1, s5, s35
	s_add_i32 s16, s30, 1
	s_lshl_b64 s[34:35], s[16:17], 2
	s_add_u32 s36, s42, s34
	s_addc_u32 s37, s43, s35
	s_load_dword s59, s[36:37], 0x8
	s_load_dword s16, s[0:1], 0x6c
                                        ; implicit-def: $vgpr20_vgpr21
	s_waitcnt lgkmcnt(0)
	s_ashr_i32 s0, s59, 31
	v_or_b32_e32 v3, s0, v19
	v_cmp_ne_u64_e32 vcc, 0, v[2:3]
	s_and_saveexec_b64 s[36:37], vcc
	s_xor_b64 s[36:37], exec, s[36:37]
	s_cbranch_execz .LBB72_49
; %bb.48:                               ;   in Loop: Header=BB72_23 Depth=2
	s_ashr_i32 s38, s0, 31
	s_add_u32 s40, s59, s38
	s_mov_b32 s39, s38
	s_addc_u32 s41, s0, s38
	s_xor_b64 s[40:41], s[40:41], s[38:39]
	v_cvt_f32_u32_e32 v3, s40
	v_cvt_f32_u32_e32 v5, s41
	s_sub_u32 s31, 0, s40
	s_subb_u32 s39, 0, s41
	v_mov_b32_e32 v17, s41
	v_mac_f32_e32 v3, 0x4f800000, v5
	v_rcp_f32_e32 v3, v3
	v_mul_f32_e32 v3, 0x5f7ffffc, v3
	v_mul_f32_e32 v5, 0x2f800000, v3
	v_trunc_f32_e32 v5, v5
	v_mac_f32_e32 v3, 0xcf800000, v5
	v_cvt_u32_f32_e32 v5, v5
	v_cvt_u32_f32_e32 v3, v3
	v_readfirstlane_b32 s60, v5
	v_readfirstlane_b32 s0, v3
	s_mul_i32 s1, s31, s60
	s_mul_hi_u32 s62, s31, s0
	s_mul_i32 s61, s39, s0
	s_add_i32 s1, s62, s1
	s_add_i32 s1, s1, s61
	s_mul_i32 s63, s31, s0
	s_mul_i32 s62, s0, s1
	s_mul_hi_u32 s64, s0, s63
	s_mul_hi_u32 s61, s0, s1
	s_add_u32 s62, s64, s62
	s_addc_u32 s61, 0, s61
	s_mul_hi_u32 s65, s60, s63
	s_mul_i32 s63, s60, s63
	s_add_u32 s62, s62, s63
	s_mul_hi_u32 s64, s60, s1
	s_addc_u32 s61, s61, s65
	s_addc_u32 s62, s64, 0
	s_mul_i32 s1, s60, s1
	s_add_u32 s1, s61, s1
	s_addc_u32 s61, 0, s62
	s_add_u32 s62, s0, s1
	s_cselect_b64 s[0:1], -1, 0
	s_cmp_lg_u64 s[0:1], 0
	s_addc_u32 s60, s60, s61
	s_mul_i32 s0, s31, s60
	s_mul_hi_u32 s1, s31, s62
	s_add_i32 s0, s1, s0
	s_mul_i32 s39, s39, s62
	s_add_i32 s0, s0, s39
	s_mul_i32 s31, s31, s62
	s_mul_hi_u32 s39, s60, s31
	s_mul_i32 s61, s60, s31
	s_mul_i32 s64, s62, s0
	s_mul_hi_u32 s31, s62, s31
	s_mul_hi_u32 s63, s62, s0
	s_add_u32 s31, s31, s64
	s_addc_u32 s63, 0, s63
	s_add_u32 s31, s31, s61
	s_mul_hi_u32 s1, s60, s0
	s_addc_u32 s31, s63, s39
	s_addc_u32 s1, s1, 0
	s_mul_i32 s0, s60, s0
	s_add_u32 s0, s31, s0
	s_addc_u32 s31, 0, s1
	s_add_u32 s39, s62, s0
	s_cselect_b64 s[0:1], -1, 0
	v_ashrrev_i32_e32 v3, 31, v19
	s_cmp_lg_u64 s[0:1], 0
	v_add_co_u32_e32 v5, vcc, v18, v3
	s_addc_u32 s31, s60, s31
	v_xor_b32_e32 v5, v5, v3
	v_addc_co_u32_e32 v7, vcc, v19, v3, vcc
	v_mad_u64_u32 v[19:20], s[0:1], v5, s31, 0
	v_mul_hi_u32 v9, v5, s39
	v_xor_b32_e32 v7, v7, v3
	v_mad_u64_u32 v[21:22], s[0:1], v7, s31, 0
	v_add_co_u32_e32 v9, vcc, v9, v19
	v_addc_co_u32_e32 v11, vcc, 0, v20, vcc
	v_mad_u64_u32 v[19:20], s[0:1], v7, s39, 0
	v_xor_b32_e32 v3, s38, v3
	v_add_co_u32_e32 v9, vcc, v9, v19
	v_addc_co_u32_e32 v9, vcc, v11, v20, vcc
	v_addc_co_u32_e32 v11, vcc, 0, v22, vcc
	v_add_co_u32_e32 v9, vcc, v9, v21
	v_addc_co_u32_e32 v11, vcc, 0, v11, vcc
	v_mul_lo_u32 v13, s41, v9
	v_mul_lo_u32 v15, s40, v11
	v_mad_u64_u32 v[19:20], s[0:1], s40, v9, 0
	v_add3_u32 v13, v20, v15, v13
	v_sub_u32_e32 v15, v7, v13
	v_sub_co_u32_e32 v5, vcc, v5, v19
	v_subb_co_u32_e64 v15, s[0:1], v15, v17, vcc
	v_subrev_co_u32_e64 v17, s[0:1], s40, v5
	v_subbrev_co_u32_e64 v15, s[0:1], 0, v15, s[0:1]
	v_cmp_le_u32_e64 s[0:1], s41, v15
	v_cndmask_b32_e64 v19, 0, -1, s[0:1]
	v_cmp_le_u32_e64 s[0:1], s40, v17
	v_cndmask_b32_e64 v17, 0, -1, s[0:1]
	v_cmp_eq_u32_e64 s[0:1], s41, v15
	v_cndmask_b32_e64 v15, v19, v17, s[0:1]
	v_add_co_u32_e64 v17, s[0:1], 2, v9
	v_subb_co_u32_e32 v7, vcc, v7, v13, vcc
	v_addc_co_u32_e64 v19, s[0:1], 0, v11, s[0:1]
	v_cmp_le_u32_e32 vcc, s41, v7
	v_add_co_u32_e64 v20, s[0:1], 1, v9
	v_cndmask_b32_e64 v13, 0, -1, vcc
	v_cmp_le_u32_e32 vcc, s40, v5
	v_addc_co_u32_e64 v21, s[0:1], 0, v11, s[0:1]
	v_cndmask_b32_e64 v5, 0, -1, vcc
	v_cmp_eq_u32_e32 vcc, s41, v7
	v_cmp_ne_u32_e64 s[0:1], 0, v15
	v_cndmask_b32_e32 v5, v13, v5, vcc
	v_cmp_ne_u32_e32 vcc, 0, v5
	v_cndmask_b32_e64 v7, v20, v17, s[0:1]
	v_cndmask_b32_e64 v15, v21, v19, s[0:1]
	v_cndmask_b32_e32 v7, v9, v7, vcc
	v_cndmask_b32_e32 v5, v11, v15, vcc
	v_xor_b32_e32 v7, v7, v3
	v_xor_b32_e32 v5, v5, v3
	v_sub_co_u32_e32 v20, vcc, v7, v3
	v_subb_co_u32_e32 v21, vcc, v5, v3, vcc
.LBB72_49:                              ;   in Loop: Header=BB72_23 Depth=2
	s_andn2_saveexec_b64 s[0:1], s[36:37]
	s_cbranch_execz .LBB72_51
; %bb.50:                               ;   in Loop: Header=BB72_23 Depth=2
	v_cvt_f32_u32_e32 v3, s59
	s_sub_i32 s31, 0, s59
	v_mov_b32_e32 v21, v2
	v_rcp_iflag_f32_e32 v3, v3
	v_mul_f32_e32 v3, 0x4f7ffffe, v3
	v_cvt_u32_f32_e32 v3, v3
	v_mul_lo_u32 v5, s31, v3
	v_mul_hi_u32 v5, v3, v5
	v_add_u32_e32 v3, v3, v5
	v_mul_hi_u32 v3, v18, v3
	v_mul_lo_u32 v5, v3, s59
	v_add_u32_e32 v7, 1, v3
	v_sub_u32_e32 v5, v18, v5
	v_subrev_u32_e32 v9, s59, v5
	v_cmp_le_u32_e32 vcc, s59, v5
	v_cndmask_b32_e32 v5, v5, v9, vcc
	v_cndmask_b32_e32 v3, v3, v7, vcc
	v_add_u32_e32 v7, 1, v3
	v_cmp_le_u32_e32 vcc, s59, v5
	v_cndmask_b32_e32 v20, v3, v7, vcc
.LBB72_51:                              ;   in Loop: Header=BB72_23 Depth=2
	s_or_b64 exec, exec, s[0:1]
	s_add_u32 s0, s4, s34
	s_mov_b32 s31, s17
	s_addc_u32 s1, s5, s35
	s_lshl_b64 s[34:35], s[30:31], 2
	s_add_u32 s36, s42, s34
	s_addc_u32 s37, s43, s35
	s_load_dword s60, s[36:37], 0x8
	s_load_dword s31, s[0:1], 0x6c
                                        ; implicit-def: $vgpr22_vgpr23
	s_waitcnt lgkmcnt(0)
	s_ashr_i32 s0, s60, 31
	v_or_b32_e32 v3, s0, v21
	v_cmp_ne_u64_e32 vcc, 0, v[2:3]
	s_and_saveexec_b64 s[36:37], vcc
	s_xor_b64 s[36:37], exec, s[36:37]
	s_cbranch_execz .LBB72_53
; %bb.52:                               ;   in Loop: Header=BB72_23 Depth=2
	s_ashr_i32 s38, s0, 31
	s_add_u32 s40, s60, s38
	s_mov_b32 s39, s38
	s_addc_u32 s41, s0, s38
	s_xor_b64 s[40:41], s[40:41], s[38:39]
	v_cvt_f32_u32_e32 v3, s40
	v_cvt_f32_u32_e32 v5, s41
	s_sub_u32 s39, 0, s40
	s_subb_u32 s61, 0, s41
	v_mov_b32_e32 v17, s41
	v_mac_f32_e32 v3, 0x4f800000, v5
	v_rcp_f32_e32 v3, v3
	v_mul_f32_e32 v3, 0x5f7ffffc, v3
	v_mul_f32_e32 v5, 0x2f800000, v3
	v_trunc_f32_e32 v5, v5
	v_mac_f32_e32 v3, 0xcf800000, v5
	v_cvt_u32_f32_e32 v5, v5
	v_cvt_u32_f32_e32 v3, v3
	v_readfirstlane_b32 s62, v5
	v_readfirstlane_b32 s0, v3
	s_mul_i32 s1, s39, s62
	s_mul_hi_u32 s64, s39, s0
	s_mul_i32 s63, s61, s0
	s_add_i32 s1, s64, s1
	s_add_i32 s1, s1, s63
	s_mul_i32 s65, s39, s0
	s_mul_i32 s64, s0, s1
	s_mul_hi_u32 s66, s0, s65
	s_mul_hi_u32 s63, s0, s1
	s_add_u32 s64, s66, s64
	s_addc_u32 s63, 0, s63
	s_mul_hi_u32 s67, s62, s65
	s_mul_i32 s65, s62, s65
	s_add_u32 s64, s64, s65
	s_mul_hi_u32 s66, s62, s1
	s_addc_u32 s63, s63, s67
	s_addc_u32 s64, s66, 0
	s_mul_i32 s1, s62, s1
	s_add_u32 s1, s63, s1
	s_addc_u32 s63, 0, s64
	s_add_u32 s64, s0, s1
	s_cselect_b64 s[0:1], -1, 0
	s_cmp_lg_u64 s[0:1], 0
	s_addc_u32 s62, s62, s63
	s_mul_i32 s0, s39, s62
	s_mul_hi_u32 s1, s39, s64
	s_add_i32 s0, s1, s0
	s_mul_i32 s61, s61, s64
	s_add_i32 s0, s0, s61
	s_mul_i32 s39, s39, s64
	s_mul_hi_u32 s61, s62, s39
	s_mul_i32 s63, s62, s39
	s_mul_i32 s66, s64, s0
	s_mul_hi_u32 s39, s64, s39
	s_mul_hi_u32 s65, s64, s0
	s_add_u32 s39, s39, s66
	s_addc_u32 s65, 0, s65
	s_add_u32 s39, s39, s63
	s_mul_hi_u32 s1, s62, s0
	s_addc_u32 s39, s65, s61
	s_addc_u32 s1, s1, 0
	s_mul_i32 s0, s62, s0
	s_add_u32 s0, s39, s0
	s_addc_u32 s39, 0, s1
	s_add_u32 s61, s64, s0
	s_cselect_b64 s[0:1], -1, 0
	v_ashrrev_i32_e32 v3, 31, v21
	s_cmp_lg_u64 s[0:1], 0
	v_add_co_u32_e32 v5, vcc, v20, v3
	s_addc_u32 s39, s62, s39
	v_xor_b32_e32 v5, v5, v3
	v_addc_co_u32_e32 v7, vcc, v21, v3, vcc
	v_mad_u64_u32 v[21:22], s[0:1], v5, s39, 0
	v_mul_hi_u32 v9, v5, s61
	v_xor_b32_e32 v7, v7, v3
	v_mad_u64_u32 v[26:27], s[0:1], v7, s39, 0
	v_add_co_u32_e32 v9, vcc, v9, v21
	v_addc_co_u32_e32 v11, vcc, 0, v22, vcc
	v_mad_u64_u32 v[21:22], s[0:1], v7, s61, 0
	v_xor_b32_e32 v3, s38, v3
	v_add_co_u32_e32 v9, vcc, v9, v21
	v_addc_co_u32_e32 v9, vcc, v11, v22, vcc
	v_addc_co_u32_e32 v11, vcc, 0, v27, vcc
	v_add_co_u32_e32 v9, vcc, v9, v26
	v_addc_co_u32_e32 v11, vcc, 0, v11, vcc
	v_mul_lo_u32 v13, s41, v9
	v_mul_lo_u32 v15, s40, v11
	v_mad_u64_u32 v[21:22], s[0:1], s40, v9, 0
	v_add3_u32 v13, v22, v15, v13
	v_sub_u32_e32 v15, v7, v13
	v_sub_co_u32_e32 v5, vcc, v5, v21
	v_subb_co_u32_e64 v15, s[0:1], v15, v17, vcc
	v_subrev_co_u32_e64 v17, s[0:1], s40, v5
	v_subbrev_co_u32_e64 v15, s[0:1], 0, v15, s[0:1]
	v_cmp_le_u32_e64 s[0:1], s41, v15
	v_cndmask_b32_e64 v19, 0, -1, s[0:1]
	v_cmp_le_u32_e64 s[0:1], s40, v17
	v_cndmask_b32_e64 v17, 0, -1, s[0:1]
	v_cmp_eq_u32_e64 s[0:1], s41, v15
	v_cndmask_b32_e64 v15, v19, v17, s[0:1]
	v_add_co_u32_e64 v17, s[0:1], 2, v9
	v_subb_co_u32_e32 v7, vcc, v7, v13, vcc
	v_addc_co_u32_e64 v19, s[0:1], 0, v11, s[0:1]
	v_cmp_le_u32_e32 vcc, s41, v7
	v_add_co_u32_e64 v21, s[0:1], 1, v9
	v_cndmask_b32_e64 v13, 0, -1, vcc
	v_cmp_le_u32_e32 vcc, s40, v5
	v_addc_co_u32_e64 v22, s[0:1], 0, v11, s[0:1]
	v_cndmask_b32_e64 v5, 0, -1, vcc
	v_cmp_eq_u32_e32 vcc, s41, v7
	v_cmp_ne_u32_e64 s[0:1], 0, v15
	v_cndmask_b32_e32 v5, v13, v5, vcc
	v_cmp_ne_u32_e32 vcc, 0, v5
	v_cndmask_b32_e64 v7, v21, v17, s[0:1]
	v_cndmask_b32_e64 v15, v22, v19, s[0:1]
	v_cndmask_b32_e32 v7, v9, v7, vcc
	v_cndmask_b32_e32 v5, v11, v15, vcc
	v_xor_b32_e32 v7, v7, v3
	v_xor_b32_e32 v5, v5, v3
	v_sub_co_u32_e32 v22, vcc, v7, v3
	v_subb_co_u32_e32 v23, vcc, v5, v3, vcc
.LBB72_53:                              ;   in Loop: Header=BB72_23 Depth=2
	s_andn2_saveexec_b64 s[0:1], s[36:37]
	s_cbranch_execz .LBB72_55
; %bb.54:                               ;   in Loop: Header=BB72_23 Depth=2
	v_cvt_f32_u32_e32 v3, s60
	s_sub_i32 s36, 0, s60
	v_mov_b32_e32 v23, v2
	v_rcp_iflag_f32_e32 v3, v3
	v_mul_f32_e32 v3, 0x4f7ffffe, v3
	v_cvt_u32_f32_e32 v3, v3
	v_mul_lo_u32 v5, s36, v3
	v_mul_hi_u32 v5, v3, v5
	v_add_u32_e32 v3, v3, v5
	v_mul_hi_u32 v3, v20, v3
	v_mul_lo_u32 v5, v3, s60
	v_add_u32_e32 v7, 1, v3
	v_sub_u32_e32 v5, v20, v5
	v_subrev_u32_e32 v9, s60, v5
	v_cmp_le_u32_e32 vcc, s60, v5
	v_cndmask_b32_e32 v5, v5, v9, vcc
	v_cndmask_b32_e32 v3, v3, v7, vcc
	v_add_u32_e32 v7, 1, v3
	v_cmp_le_u32_e32 vcc, s60, v5
	v_cndmask_b32_e32 v22, v3, v7, vcc
.LBB72_55:                              ;   in Loop: Header=BB72_23 Depth=2
	s_or_b64 exec, exec, s[0:1]
	v_mul_lo_u32 v3, v8, s25
	v_mul_lo_u32 v5, v10, s50
	;; [unrolled: 1-line block ×3, first 2 shown]
	s_add_u32 s0, s4, s34
	v_sub_u32_e32 v3, v6, v3
	v_mul_lo_u32 v6, v14, s54
	v_sub_u32_e32 v5, v8, v5
	v_mul_lo_u32 v3, s28, v3
	v_mul_lo_u32 v5, s51, v5
	v_sub_u32_e32 v7, v10, v7
	v_sub_u32_e32 v6, v12, v6
	v_mul_lo_u32 v7, s53, v7
	v_mul_lo_u32 v6, s56, v6
	;; [unrolled: 1-line block ×3, first 2 shown]
	v_add3_u32 v3, v3, v4, v5
	v_mul_lo_u32 v4, v18, s58
	s_addc_u32 s1, s5, s35
	v_add3_u32 v3, v7, v3, v6
	v_mul_lo_u32 v6, v20, s59
	v_mul_lo_u32 v7, v22, s60
	s_load_dword s0, s[0:1], 0x6c
	v_sub_u32_e32 v5, v14, v8
	v_sub_u32_e32 v4, v16, v4
	v_mul_lo_u32 v5, s57, v5
	v_mul_lo_u32 v4, s16, v4
	v_sub_u32_e32 v6, v18, v6
	v_sub_u32_e32 v7, v20, v7
	v_mul_lo_u32 v6, s31, v6
	s_waitcnt lgkmcnt(0)
	v_mul_lo_u32 v7, s0, v7
	v_add3_u32 v3, v5, v3, v4
	s_add_i32 s30, s30, -8
	s_cmp_eq_u32 s30, -8
	v_add3_u32 v4, v6, v3, v7
	s_cbranch_scc1 .LBB72_57
; %bb.56:                               ;   in Loop: Header=BB72_23 Depth=2
	v_mov_b32_e32 v6, v22
	v_mov_b32_e32 v7, v23
	s_branch .LBB72_23
.LBB72_57:                              ;   in Loop: Header=BB72_3 Depth=1
	s_load_dword s0, s[2:3], 0x4
	s_waitcnt lgkmcnt(0)
	v_cmp_gt_i32_e32 vcc, s0, v25
	s_and_b64 exec, exec, vcc
	s_cbranch_execz .LBB72_2
; %bb.58:                               ;   in Loop: Header=BB72_3 Depth=1
	v_ashrrev_i32_e32 v5, 31, v4
	v_lshlrev_b64 v[5:6], 3, v[4:5]
	v_mov_b32_e32 v3, s13
	v_add_co_u32_e32 v5, vcc, s12, v5
	v_addc_co_u32_e32 v6, vcc, v3, v6, vcc
	v_mov_b32_e32 v3, v2
	global_store_dwordx2 v[5:6], v[2:3], off
	v_add_u32_e32 v3, 1, v25
	v_cmp_gt_i32_e32 vcc, s0, v3
	s_and_b64 exec, exec, vcc
	s_cbranch_execz .LBB72_2
; %bb.59:                               ;   in Loop: Header=BB72_3 Depth=1
	v_sub_u32_e32 v5, v3, v24
	v_ashrrev_i32_e32 v6, 31, v5
	v_cmp_gt_i64_e32 vcc, s[8:9], v[5:6]
	s_and_b64 exec, exec, vcc
	s_cbranch_execz .LBB72_2
; %bb.60:                               ;   in Loop: Header=BB72_3 Depth=1
	v_add_u32_e32 v3, s29, v4
	v_ashrrev_i32_e32 v4, 31, v3
	v_lshlrev_b64 v[3:4], 3, v[3:4]
	v_mov_b32_e32 v6, s13
	v_add_co_u32_e32 v5, vcc, s12, v3
	v_addc_co_u32_e32 v6, vcc, v6, v4, vcc
	v_mov_b32_e32 v3, v2
	global_store_dwordx2 v[5:6], v[2:3], off
	s_branch .LBB72_2
.LBB72_61:
	s_endpgm
	.section	.rodata,"a",@progbits
	.p2align	6, 0x0
	.amdhsa_kernel _ZN2at6native16triu_tril_kernelIdiLb1ELi2ELb1EEEvNS_4cuda6detail10TensorInfoIT_T0_EENS4_IKS5_S6_EEllS6_
		.amdhsa_group_segment_fixed_size 0
		.amdhsa_private_segment_fixed_size 0
		.amdhsa_kernarg_size 712
		.amdhsa_user_sgpr_count 6
		.amdhsa_user_sgpr_private_segment_buffer 1
		.amdhsa_user_sgpr_dispatch_ptr 0
		.amdhsa_user_sgpr_queue_ptr 0
		.amdhsa_user_sgpr_kernarg_segment_ptr 1
		.amdhsa_user_sgpr_dispatch_id 0
		.amdhsa_user_sgpr_flat_scratch_init 0
		.amdhsa_user_sgpr_private_segment_size 0
		.amdhsa_uses_dynamic_stack 0
		.amdhsa_system_sgpr_private_segment_wavefront_offset 0
		.amdhsa_system_sgpr_workgroup_id_x 1
		.amdhsa_system_sgpr_workgroup_id_y 0
		.amdhsa_system_sgpr_workgroup_id_z 0
		.amdhsa_system_sgpr_workgroup_info 0
		.amdhsa_system_vgpr_workitem_id 0
		.amdhsa_next_free_vgpr 28
		.amdhsa_next_free_sgpr 68
		.amdhsa_reserve_vcc 1
		.amdhsa_reserve_flat_scratch 0
		.amdhsa_float_round_mode_32 0
		.amdhsa_float_round_mode_16_64 0
		.amdhsa_float_denorm_mode_32 3
		.amdhsa_float_denorm_mode_16_64 3
		.amdhsa_dx10_clamp 1
		.amdhsa_ieee_mode 1
		.amdhsa_fp16_overflow 0
		.amdhsa_exception_fp_ieee_invalid_op 0
		.amdhsa_exception_fp_denorm_src 0
		.amdhsa_exception_fp_ieee_div_zero 0
		.amdhsa_exception_fp_ieee_overflow 0
		.amdhsa_exception_fp_ieee_underflow 0
		.amdhsa_exception_fp_ieee_inexact 0
		.amdhsa_exception_int_div_zero 0
	.end_amdhsa_kernel
	.section	.text._ZN2at6native16triu_tril_kernelIdiLb1ELi2ELb1EEEvNS_4cuda6detail10TensorInfoIT_T0_EENS4_IKS5_S6_EEllS6_,"axG",@progbits,_ZN2at6native16triu_tril_kernelIdiLb1ELi2ELb1EEEvNS_4cuda6detail10TensorInfoIT_T0_EENS4_IKS5_S6_EEllS6_,comdat
.Lfunc_end72:
	.size	_ZN2at6native16triu_tril_kernelIdiLb1ELi2ELb1EEEvNS_4cuda6detail10TensorInfoIT_T0_EENS4_IKS5_S6_EEllS6_, .Lfunc_end72-_ZN2at6native16triu_tril_kernelIdiLb1ELi2ELb1EEEvNS_4cuda6detail10TensorInfoIT_T0_EENS4_IKS5_S6_EEllS6_
                                        ; -- End function
	.set _ZN2at6native16triu_tril_kernelIdiLb1ELi2ELb1EEEvNS_4cuda6detail10TensorInfoIT_T0_EENS4_IKS5_S6_EEllS6_.num_vgpr, 28
	.set _ZN2at6native16triu_tril_kernelIdiLb1ELi2ELb1EEEvNS_4cuda6detail10TensorInfoIT_T0_EENS4_IKS5_S6_EEllS6_.num_agpr, 0
	.set _ZN2at6native16triu_tril_kernelIdiLb1ELi2ELb1EEEvNS_4cuda6detail10TensorInfoIT_T0_EENS4_IKS5_S6_EEllS6_.numbered_sgpr, 68
	.set _ZN2at6native16triu_tril_kernelIdiLb1ELi2ELb1EEEvNS_4cuda6detail10TensorInfoIT_T0_EENS4_IKS5_S6_EEllS6_.num_named_barrier, 0
	.set _ZN2at6native16triu_tril_kernelIdiLb1ELi2ELb1EEEvNS_4cuda6detail10TensorInfoIT_T0_EENS4_IKS5_S6_EEllS6_.private_seg_size, 0
	.set _ZN2at6native16triu_tril_kernelIdiLb1ELi2ELb1EEEvNS_4cuda6detail10TensorInfoIT_T0_EENS4_IKS5_S6_EEllS6_.uses_vcc, 1
	.set _ZN2at6native16triu_tril_kernelIdiLb1ELi2ELb1EEEvNS_4cuda6detail10TensorInfoIT_T0_EENS4_IKS5_S6_EEllS6_.uses_flat_scratch, 0
	.set _ZN2at6native16triu_tril_kernelIdiLb1ELi2ELb1EEEvNS_4cuda6detail10TensorInfoIT_T0_EENS4_IKS5_S6_EEllS6_.has_dyn_sized_stack, 0
	.set _ZN2at6native16triu_tril_kernelIdiLb1ELi2ELb1EEEvNS_4cuda6detail10TensorInfoIT_T0_EENS4_IKS5_S6_EEllS6_.has_recursion, 0
	.set _ZN2at6native16triu_tril_kernelIdiLb1ELi2ELb1EEEvNS_4cuda6detail10TensorInfoIT_T0_EENS4_IKS5_S6_EEllS6_.has_indirect_call, 0
	.section	.AMDGPU.csdata,"",@progbits
; Kernel info:
; codeLenInByte = 9324
; TotalNumSgprs: 72
; NumVgprs: 28
; ScratchSize: 0
; MemoryBound: 0
; FloatMode: 240
; IeeeMode: 1
; LDSByteSize: 0 bytes/workgroup (compile time only)
; SGPRBlocks: 8
; VGPRBlocks: 6
; NumSGPRsForWavesPerEU: 72
; NumVGPRsForWavesPerEU: 28
; Occupancy: 9
; WaveLimiterHint : 0
; COMPUTE_PGM_RSRC2:SCRATCH_EN: 0
; COMPUTE_PGM_RSRC2:USER_SGPR: 6
; COMPUTE_PGM_RSRC2:TRAP_HANDLER: 0
; COMPUTE_PGM_RSRC2:TGID_X_EN: 1
; COMPUTE_PGM_RSRC2:TGID_Y_EN: 0
; COMPUTE_PGM_RSRC2:TGID_Z_EN: 0
; COMPUTE_PGM_RSRC2:TIDIG_COMP_CNT: 0
	.section	.text._ZN2at6native16triu_tril_kernelIdiLb1ELi2ELb0EEEvNS_4cuda6detail10TensorInfoIT_T0_EENS4_IKS5_S6_EEllS6_,"axG",@progbits,_ZN2at6native16triu_tril_kernelIdiLb1ELi2ELb0EEEvNS_4cuda6detail10TensorInfoIT_T0_EENS4_IKS5_S6_EEllS6_,comdat
	.protected	_ZN2at6native16triu_tril_kernelIdiLb1ELi2ELb0EEEvNS_4cuda6detail10TensorInfoIT_T0_EENS4_IKS5_S6_EEllS6_ ; -- Begin function _ZN2at6native16triu_tril_kernelIdiLb1ELi2ELb0EEEvNS_4cuda6detail10TensorInfoIT_T0_EENS4_IKS5_S6_EEllS6_
	.globl	_ZN2at6native16triu_tril_kernelIdiLb1ELi2ELb0EEEvNS_4cuda6detail10TensorInfoIT_T0_EENS4_IKS5_S6_EEllS6_
	.p2align	8
	.type	_ZN2at6native16triu_tril_kernelIdiLb1ELi2ELb0EEEvNS_4cuda6detail10TensorInfoIT_T0_EENS4_IKS5_S6_EEllS6_,@function
_ZN2at6native16triu_tril_kernelIdiLb1ELi2ELb0EEEvNS_4cuda6detail10TensorInfoIT_T0_EENS4_IKS5_S6_EEllS6_: ; @_ZN2at6native16triu_tril_kernelIdiLb1ELi2ELb0EEEvNS_4cuda6detail10TensorInfoIT_T0_EENS4_IKS5_S6_EEllS6_
; %bb.0:
	s_load_dword s2, s[4:5], 0x1d4
	s_load_dwordx4 s[8:11], s[4:5], 0x1b0
	s_add_u32 s0, s4, 0x1c8
	v_mov_b32_e32 v2, 0
	s_addc_u32 s1, s5, 0
	s_waitcnt lgkmcnt(0)
	s_and_b32 s12, s2, 0xffff
	v_mov_b32_e32 v1, v2
	v_mov_b32_e32 v3, s6
	v_mad_u64_u32 v[0:1], s[2:3], s12, v3, v[0:1]
	v_lshlrev_b64 v[0:1], 1, v[0:1]
	v_cmp_gt_i64_e32 vcc, s[10:11], v[0:1]
	s_and_saveexec_b64 s[2:3], vcc
	s_cbranch_execz .LBB73_48
; %bb.1:
	s_load_dword s33, s[4:5], 0x1c0
	s_load_dwordx2 s[2:3], s[4:5], 0xd8
	s_load_dwordx2 s[18:19], s[4:5], 0x0
	s_load_dword s20, s[4:5], 0x1a8
	s_load_dword s13, s[0:1], 0x0
	s_add_u32 s46, s4, 0xd8
	s_addc_u32 s47, s5, 0
	s_waitcnt lgkmcnt(0)
	s_ashr_i32 s48, s33, 31
	s_ashr_i32 s21, s20, 31
	s_lshl_b64 s[0:1], s[20:21], 2
	s_add_u32 s16, s46, s0
	s_addc_u32 s17, s47, s1
	s_load_dwordx2 s[6:7], s[16:17], 0x0
	s_load_dwordx2 s[14:15], s[16:17], 0x64
	s_mul_i32 s22, s13, s12
	v_cmp_gt_i64_e64 s[12:13], s[20:21], 2
	s_mov_b32 s21, 0
	s_waitcnt lgkmcnt(0)
	s_ashr_i32 s49, s6, 31
	s_add_u32 s0, s4, s0
	s_addc_u32 s1, s5, s1
	s_load_dwordx2 s[16:17], s[0:1], 0x64
	s_add_i32 s50, s20, -3
	s_lshl_b32 s51, s22, 1
	s_and_b32 s52, s20, 3
	s_cmp_lg_u32 s52, 2
	s_cselect_b64 s[22:23], -1, 0
	s_cmp_gt_u32 s50, 2
	s_cselect_b64 s[24:25], -1, 0
	s_ashr_i32 s27, s15, 31
	s_mov_b32 s26, s15
	s_waitcnt lgkmcnt(0)
	s_ashr_i32 s29, s17, 31
	s_mov_b32 s28, s17
	s_mov_b64 s[30:31], 0
	s_ashr_i32 s34, s48, 31
	s_branch .LBB73_3
.LBB73_2:                               ;   in Loop: Header=BB73_3 Depth=1
	s_or_b64 exec, exec, s[0:1]
	v_add_co_u32_e32 v0, vcc, s51, v0
	v_addc_co_u32_e32 v1, vcc, 0, v1, vcc
	v_cmp_le_i64_e32 vcc, s[10:11], v[0:1]
	s_or_b64 s[30:31], vcc, s[30:31]
	s_andn2_b64 exec, exec, s[30:31]
	s_cbranch_execz .LBB73_48
.LBB73_3:                               ; =>This Loop Header: Depth=1
                                        ;     Child Loop BB73_13 Depth 2
                                        ;     Child Loop BB73_21 Depth 2
	v_or_b32_e32 v3, s48, v1
	v_cmp_ne_u64_e32 vcc, 0, v[2:3]
                                        ; implicit-def: $vgpr4_vgpr5
	s_and_saveexec_b64 s[0:1], vcc
	s_xor_b64 s[36:37], exec, s[0:1]
	s_cbranch_execz .LBB73_5
; %bb.4:                                ;   in Loop: Header=BB73_3 Depth=1
	s_add_u32 s0, s33, s34
	s_mov_b32 s35, s34
	s_addc_u32 s1, s48, s34
	s_xor_b64 s[38:39], s[0:1], s[34:35]
	v_cvt_f32_u32_e32 v3, s38
	v_cvt_f32_u32_e32 v4, s39
	s_sub_u32 s15, 0, s38
	s_subb_u32 s17, 0, s39
	v_ashrrev_i32_e32 v7, 31, v1
	v_mac_f32_e32 v3, 0x4f800000, v4
	v_rcp_f32_e32 v3, v3
	v_mul_f32_e32 v3, 0x5f7ffffc, v3
	v_mul_f32_e32 v4, 0x2f800000, v3
	v_trunc_f32_e32 v4, v4
	v_mac_f32_e32 v3, 0xcf800000, v4
	v_cvt_u32_f32_e32 v4, v4
	v_cvt_u32_f32_e32 v3, v3
	v_readfirstlane_b32 s20, v4
	v_readfirstlane_b32 s0, v3
	s_mul_i32 s1, s15, s20
	s_mul_hi_u32 s40, s15, s0
	s_mul_i32 s35, s17, s0
	s_add_i32 s1, s40, s1
	s_add_i32 s1, s1, s35
	s_mul_i32 s41, s15, s0
	s_mul_i32 s40, s0, s1
	s_mul_hi_u32 s42, s0, s41
	s_mul_hi_u32 s35, s0, s1
	s_add_u32 s40, s42, s40
	s_addc_u32 s35, 0, s35
	s_mul_hi_u32 s43, s20, s41
	s_mul_i32 s41, s20, s41
	s_add_u32 s40, s40, s41
	s_mul_hi_u32 s42, s20, s1
	s_addc_u32 s35, s35, s43
	s_addc_u32 s40, s42, 0
	s_mul_i32 s1, s20, s1
	s_add_u32 s1, s35, s1
	s_addc_u32 s35, 0, s40
	s_add_u32 s40, s0, s1
	s_cselect_b64 s[0:1], -1, 0
	s_cmp_lg_u64 s[0:1], 0
	s_addc_u32 s20, s20, s35
	s_mul_i32 s0, s15, s20
	s_mul_hi_u32 s1, s15, s40
	s_add_i32 s0, s1, s0
	s_mul_i32 s17, s17, s40
	s_add_i32 s0, s0, s17
	s_mul_i32 s15, s15, s40
	s_mul_hi_u32 s17, s20, s15
	s_mul_i32 s35, s20, s15
	s_mul_i32 s42, s40, s0
	s_mul_hi_u32 s15, s40, s15
	s_mul_hi_u32 s41, s40, s0
	s_add_u32 s15, s15, s42
	s_addc_u32 s41, 0, s41
	s_add_u32 s15, s15, s35
	s_mul_hi_u32 s1, s20, s0
	s_addc_u32 s15, s41, s17
	s_addc_u32 s1, s1, 0
	s_mul_i32 s0, s20, s0
	s_add_u32 s0, s15, s0
	s_addc_u32 s15, 0, s1
	s_add_u32 s17, s40, s0
	s_cselect_b64 s[0:1], -1, 0
	s_cmp_lg_u64 s[0:1], 0
	v_add_co_u32_e32 v3, vcc, v0, v7
	s_addc_u32 s15, s20, s15
	v_xor_b32_e32 v8, v3, v7
	v_mad_u64_u32 v[3:4], s[0:1], v8, s15, 0
	v_mul_hi_u32 v6, v8, s17
	v_addc_co_u32_e32 v5, vcc, v1, v7, vcc
	v_xor_b32_e32 v9, v5, v7
	v_add_co_u32_e32 v10, vcc, v6, v3
	v_addc_co_u32_e32 v11, vcc, 0, v4, vcc
	v_mad_u64_u32 v[3:4], s[0:1], v9, s17, 0
	v_mad_u64_u32 v[5:6], s[0:1], v9, s15, 0
	v_add_co_u32_e32 v3, vcc, v10, v3
	v_addc_co_u32_e32 v3, vcc, v11, v4, vcc
	v_addc_co_u32_e32 v4, vcc, 0, v6, vcc
	v_add_co_u32_e32 v5, vcc, v3, v5
	v_addc_co_u32_e32 v6, vcc, 0, v4, vcc
	v_mul_lo_u32 v10, s39, v5
	v_mul_lo_u32 v11, s38, v6
	v_mad_u64_u32 v[3:4], s[0:1], s38, v5, 0
	v_add3_u32 v4, v4, v11, v10
	v_sub_u32_e32 v10, v9, v4
	v_mov_b32_e32 v11, s39
	v_sub_co_u32_e32 v3, vcc, v8, v3
	v_subb_co_u32_e64 v8, s[0:1], v10, v11, vcc
	v_subrev_co_u32_e64 v10, s[0:1], s38, v3
	v_subbrev_co_u32_e64 v8, s[0:1], 0, v8, s[0:1]
	v_cmp_le_u32_e64 s[0:1], s39, v8
	v_cndmask_b32_e64 v11, 0, -1, s[0:1]
	v_cmp_le_u32_e64 s[0:1], s38, v10
	v_cndmask_b32_e64 v10, 0, -1, s[0:1]
	v_cmp_eq_u32_e64 s[0:1], s39, v8
	v_cndmask_b32_e64 v8, v11, v10, s[0:1]
	v_add_co_u32_e64 v10, s[0:1], 2, v5
	v_subb_co_u32_e32 v4, vcc, v9, v4, vcc
	v_addc_co_u32_e64 v11, s[0:1], 0, v6, s[0:1]
	v_cmp_le_u32_e32 vcc, s39, v4
	v_add_co_u32_e64 v12, s[0:1], 1, v5
	v_cndmask_b32_e64 v9, 0, -1, vcc
	v_cmp_le_u32_e32 vcc, s38, v3
	v_addc_co_u32_e64 v13, s[0:1], 0, v6, s[0:1]
	v_cndmask_b32_e64 v3, 0, -1, vcc
	v_cmp_eq_u32_e32 vcc, s39, v4
	v_cmp_ne_u32_e64 s[0:1], 0, v8
	v_cndmask_b32_e32 v3, v9, v3, vcc
	v_cmp_ne_u32_e32 vcc, 0, v3
	v_cndmask_b32_e64 v4, v12, v10, s[0:1]
	v_cndmask_b32_e64 v8, v13, v11, s[0:1]
	v_cndmask_b32_e32 v4, v5, v4, vcc
	v_xor_b32_e32 v5, s34, v7
	v_cndmask_b32_e32 v3, v6, v8, vcc
	v_xor_b32_e32 v4, v4, v5
	v_xor_b32_e32 v3, v3, v5
	v_sub_co_u32_e32 v4, vcc, v4, v5
	v_subb_co_u32_e32 v5, vcc, v3, v5, vcc
.LBB73_5:                               ;   in Loop: Header=BB73_3 Depth=1
	s_andn2_saveexec_b64 s[0:1], s[36:37]
	s_cbranch_execz .LBB73_7
; %bb.6:                                ;   in Loop: Header=BB73_3 Depth=1
	v_cvt_f32_u32_e32 v3, s33
	s_sub_i32 s15, 0, s33
	v_rcp_iflag_f32_e32 v3, v3
	v_mul_f32_e32 v3, 0x4f7ffffe, v3
	v_cvt_u32_f32_e32 v3, v3
	v_mul_lo_u32 v4, s15, v3
	v_mul_hi_u32 v4, v3, v4
	v_add_u32_e32 v3, v3, v4
	v_mul_hi_u32 v3, v0, v3
	v_mul_lo_u32 v4, v3, s33
	v_add_u32_e32 v5, 1, v3
	v_sub_u32_e32 v4, v0, v4
	v_subrev_u32_e32 v6, s33, v4
	v_cmp_le_u32_e32 vcc, s33, v4
	v_cndmask_b32_e32 v4, v4, v6, vcc
	v_cndmask_b32_e32 v3, v3, v5, vcc
	v_add_u32_e32 v5, 1, v3
	v_cmp_le_u32_e32 vcc, s33, v4
	v_cndmask_b32_e32 v4, v3, v5, vcc
	v_mov_b32_e32 v5, v2
.LBB73_7:                               ;   in Loop: Header=BB73_3 Depth=1
	s_or_b64 exec, exec, s[0:1]
	v_or_b32_e32 v3, s49, v5
	v_cmp_ne_u64_e32 vcc, 0, v[2:3]
                                        ; implicit-def: $vgpr8_vgpr9
	s_and_saveexec_b64 s[0:1], vcc
	s_xor_b64 s[36:37], exec, s[0:1]
	s_cbranch_execz .LBB73_9
; %bb.8:                                ;   in Loop: Header=BB73_3 Depth=1
	s_ashr_i32 s38, s49, 31
	s_add_u32 s0, s6, s38
	s_mov_b32 s39, s38
	s_addc_u32 s1, s49, s38
	s_xor_b64 s[40:41], s[0:1], s[38:39]
	v_cvt_f32_u32_e32 v3, s40
	v_cvt_f32_u32_e32 v6, s41
	s_sub_u32 s15, 0, s40
	s_subb_u32 s17, 0, s41
	v_mac_f32_e32 v3, 0x4f800000, v6
	v_rcp_f32_e32 v3, v3
	v_mul_f32_e32 v3, 0x5f7ffffc, v3
	v_mul_f32_e32 v6, 0x2f800000, v3
	v_trunc_f32_e32 v6, v6
	v_mac_f32_e32 v3, 0xcf800000, v6
	v_cvt_u32_f32_e32 v6, v6
	v_cvt_u32_f32_e32 v3, v3
	v_readfirstlane_b32 s20, v6
	v_readfirstlane_b32 s0, v3
	s_mul_i32 s1, s15, s20
	s_mul_hi_u32 s39, s15, s0
	s_mul_i32 s35, s17, s0
	s_add_i32 s1, s39, s1
	s_add_i32 s1, s1, s35
	s_mul_i32 s42, s15, s0
	s_mul_i32 s39, s0, s1
	s_mul_hi_u32 s43, s0, s42
	s_mul_hi_u32 s35, s0, s1
	s_add_u32 s39, s43, s39
	s_addc_u32 s35, 0, s35
	s_mul_hi_u32 s44, s20, s42
	s_mul_i32 s42, s20, s42
	s_add_u32 s39, s39, s42
	s_mul_hi_u32 s43, s20, s1
	s_addc_u32 s35, s35, s44
	s_addc_u32 s39, s43, 0
	s_mul_i32 s1, s20, s1
	s_add_u32 s1, s35, s1
	s_addc_u32 s35, 0, s39
	s_add_u32 s39, s0, s1
	s_cselect_b64 s[0:1], -1, 0
	s_cmp_lg_u64 s[0:1], 0
	s_addc_u32 s20, s20, s35
	s_mul_i32 s0, s15, s20
	s_mul_hi_u32 s1, s15, s39
	s_add_i32 s0, s1, s0
	s_mul_i32 s17, s17, s39
	s_add_i32 s0, s0, s17
	s_mul_i32 s15, s15, s39
	s_mul_hi_u32 s17, s20, s15
	s_mul_i32 s35, s20, s15
	s_mul_i32 s43, s39, s0
	s_mul_hi_u32 s15, s39, s15
	s_mul_hi_u32 s42, s39, s0
	s_add_u32 s15, s15, s43
	s_addc_u32 s42, 0, s42
	s_add_u32 s15, s15, s35
	s_mul_hi_u32 s1, s20, s0
	s_addc_u32 s15, s42, s17
	s_addc_u32 s1, s1, 0
	s_mul_i32 s0, s20, s0
	s_add_u32 s0, s15, s0
	s_addc_u32 s15, 0, s1
	s_add_u32 s17, s39, s0
	s_cselect_b64 s[0:1], -1, 0
	v_ashrrev_i32_e32 v3, 31, v5
	s_cmp_lg_u64 s[0:1], 0
	v_add_co_u32_e32 v6, vcc, v4, v3
	s_addc_u32 s15, s20, s15
	v_xor_b32_e32 v9, v6, v3
	v_addc_co_u32_e32 v7, vcc, v5, v3, vcc
	v_mad_u64_u32 v[5:6], s[0:1], v9, s15, 0
	v_mul_hi_u32 v8, v9, s17
	v_xor_b32_e32 v10, v7, v3
	v_xor_b32_e32 v3, s38, v3
	v_add_co_u32_e32 v11, vcc, v8, v5
	v_addc_co_u32_e32 v12, vcc, 0, v6, vcc
	v_mad_u64_u32 v[5:6], s[0:1], v10, s17, 0
	v_mad_u64_u32 v[7:8], s[0:1], v10, s15, 0
	v_add_co_u32_e32 v5, vcc, v11, v5
	v_addc_co_u32_e32 v5, vcc, v12, v6, vcc
	v_addc_co_u32_e32 v6, vcc, 0, v8, vcc
	v_add_co_u32_e32 v7, vcc, v5, v7
	v_addc_co_u32_e32 v8, vcc, 0, v6, vcc
	v_mul_lo_u32 v11, s41, v7
	v_mul_lo_u32 v12, s40, v8
	v_mad_u64_u32 v[5:6], s[0:1], s40, v7, 0
	v_add3_u32 v6, v6, v12, v11
	v_sub_u32_e32 v11, v10, v6
	v_mov_b32_e32 v12, s41
	v_sub_co_u32_e32 v5, vcc, v9, v5
	v_subb_co_u32_e64 v9, s[0:1], v11, v12, vcc
	v_subrev_co_u32_e64 v11, s[0:1], s40, v5
	v_subbrev_co_u32_e64 v9, s[0:1], 0, v9, s[0:1]
	v_cmp_le_u32_e64 s[0:1], s41, v9
	v_cndmask_b32_e64 v12, 0, -1, s[0:1]
	v_cmp_le_u32_e64 s[0:1], s40, v11
	v_cndmask_b32_e64 v11, 0, -1, s[0:1]
	v_cmp_eq_u32_e64 s[0:1], s41, v9
	v_cndmask_b32_e64 v9, v12, v11, s[0:1]
	v_add_co_u32_e64 v11, s[0:1], 2, v7
	v_subb_co_u32_e32 v6, vcc, v10, v6, vcc
	v_addc_co_u32_e64 v12, s[0:1], 0, v8, s[0:1]
	v_cmp_le_u32_e32 vcc, s41, v6
	v_add_co_u32_e64 v13, s[0:1], 1, v7
	v_cndmask_b32_e64 v10, 0, -1, vcc
	v_cmp_le_u32_e32 vcc, s40, v5
	v_addc_co_u32_e64 v14, s[0:1], 0, v8, s[0:1]
	v_cndmask_b32_e64 v5, 0, -1, vcc
	v_cmp_eq_u32_e32 vcc, s41, v6
	v_cmp_ne_u32_e64 s[0:1], 0, v9
	v_cndmask_b32_e32 v5, v10, v5, vcc
	v_cmp_ne_u32_e32 vcc, 0, v5
	v_cndmask_b32_e64 v6, v13, v11, s[0:1]
	v_cndmask_b32_e64 v9, v14, v12, s[0:1]
	v_cndmask_b32_e32 v6, v7, v6, vcc
	v_cndmask_b32_e32 v5, v8, v9, vcc
	v_xor_b32_e32 v6, v6, v3
	v_xor_b32_e32 v5, v5, v3
	v_sub_co_u32_e32 v8, vcc, v6, v3
	v_subb_co_u32_e32 v9, vcc, v5, v3, vcc
.LBB73_9:                               ;   in Loop: Header=BB73_3 Depth=1
	s_andn2_saveexec_b64 s[0:1], s[36:37]
	s_cbranch_execz .LBB73_11
; %bb.10:                               ;   in Loop: Header=BB73_3 Depth=1
	v_cvt_f32_u32_e32 v3, s6
	s_sub_i32 s15, 0, s6
	v_mov_b32_e32 v9, v2
	v_rcp_iflag_f32_e32 v3, v3
	v_mul_f32_e32 v3, 0x4f7ffffe, v3
	v_cvt_u32_f32_e32 v3, v3
	v_mul_lo_u32 v5, s15, v3
	v_mul_hi_u32 v5, v3, v5
	v_add_u32_e32 v3, v3, v5
	v_mul_hi_u32 v3, v4, v3
	v_mul_lo_u32 v5, v3, s6
	v_add_u32_e32 v6, 1, v3
	v_sub_u32_e32 v5, v4, v5
	v_subrev_u32_e32 v7, s6, v5
	v_cmp_le_u32_e32 vcc, s6, v5
	v_cndmask_b32_e32 v5, v5, v7, vcc
	v_cndmask_b32_e32 v3, v3, v6, vcc
	v_add_u32_e32 v6, 1, v3
	v_cmp_le_u32_e32 vcc, s6, v5
	v_cndmask_b32_e32 v8, v3, v6, vcc
.LBB73_11:                              ;   in Loop: Header=BB73_3 Depth=1
	s_or_b64 exec, exec, s[0:1]
	v_mad_u64_u32 v[5:6], s[0:1], v4, s33, 0
	v_mad_u64_u32 v[6:7], s[0:1], v8, s6, 0
	v_sub_co_u32_e32 v18, vcc, v0, v5
	v_mul_lo_u32 v3, s26, v18
	v_sub_co_u32_e32 v19, vcc, v4, v6
	v_mul_lo_u32 v4, s28, v18
	s_andn2_b64 vcc, exec, s[12:13]
	v_mad_u64_u32 v[6:7], s[0:1], s14, v19, v[3:4]
	v_mad_u64_u32 v[4:5], s[0:1], s16, v19, v[4:5]
	s_cbranch_vccnz .LBB73_39
; %bb.12:                               ;   in Loop: Header=BB73_3 Depth=1
	s_mov_b32 s15, 1
	s_andn2_b64 vcc, exec, s[22:23]
	s_mov_b32 s20, s50
	s_mov_b32 s0, s50
	s_cbranch_vccnz .LBB73_20
.LBB73_13:                              ;   Parent Loop BB73_3 Depth=1
                                        ; =>  This Inner Loop Header: Depth=2
	s_lshl_b64 s[36:37], s[20:21], 2
	s_add_u32 s38, s46, s36
	s_addc_u32 s39, s47, s37
	s_load_dword s17, s[38:39], 0x8
                                        ; implicit-def: $vgpr10_vgpr11
	s_waitcnt lgkmcnt(0)
	s_ashr_i32 s0, s17, 31
	v_or_b32_e32 v3, s0, v9
	v_cmp_ne_u64_e32 vcc, 0, v[2:3]
	s_and_saveexec_b64 s[40:41], vcc
	s_xor_b64 s[40:41], exec, s[40:41]
	s_cbranch_execz .LBB73_15
; %bb.14:                               ;   in Loop: Header=BB73_13 Depth=2
	s_ashr_i32 s42, s0, 31
	s_add_u32 s44, s17, s42
	s_mov_b32 s43, s42
	s_addc_u32 s45, s0, s42
	s_xor_b64 s[44:45], s[44:45], s[42:43]
	v_cvt_f32_u32_e32 v3, s44
	v_cvt_f32_u32_e32 v5, s45
	s_sub_u32 s35, 0, s44
	s_subb_u32 s43, 0, s45
	v_mac_f32_e32 v3, 0x4f800000, v5
	v_rcp_f32_e32 v3, v3
	v_mul_f32_e32 v3, 0x5f7ffffc, v3
	v_mul_f32_e32 v5, 0x2f800000, v3
	v_trunc_f32_e32 v5, v5
	v_mac_f32_e32 v3, 0xcf800000, v5
	v_cvt_u32_f32_e32 v5, v5
	v_cvt_u32_f32_e32 v3, v3
	v_readfirstlane_b32 s53, v5
	v_readfirstlane_b32 s0, v3
	s_mul_i32 s1, s35, s53
	s_mul_hi_u32 s55, s35, s0
	s_mul_i32 s54, s43, s0
	s_add_i32 s1, s55, s1
	s_add_i32 s1, s1, s54
	s_mul_i32 s56, s35, s0
	s_mul_i32 s55, s0, s1
	s_mul_hi_u32 s57, s0, s56
	s_mul_hi_u32 s54, s0, s1
	s_add_u32 s55, s57, s55
	s_addc_u32 s54, 0, s54
	s_mul_hi_u32 s58, s53, s56
	s_mul_i32 s56, s53, s56
	s_add_u32 s55, s55, s56
	s_mul_hi_u32 s57, s53, s1
	s_addc_u32 s54, s54, s58
	s_addc_u32 s55, s57, 0
	s_mul_i32 s1, s53, s1
	s_add_u32 s1, s54, s1
	s_addc_u32 s54, 0, s55
	s_add_u32 s55, s0, s1
	s_cselect_b64 s[0:1], -1, 0
	s_cmp_lg_u64 s[0:1], 0
	s_addc_u32 s53, s53, s54
	s_mul_i32 s0, s35, s53
	s_mul_hi_u32 s1, s35, s55
	s_add_i32 s0, s1, s0
	s_mul_i32 s43, s43, s55
	s_add_i32 s0, s0, s43
	s_mul_i32 s35, s35, s55
	s_mul_hi_u32 s43, s53, s35
	s_mul_i32 s54, s53, s35
	s_mul_i32 s57, s55, s0
	s_mul_hi_u32 s35, s55, s35
	s_mul_hi_u32 s56, s55, s0
	s_add_u32 s35, s35, s57
	s_addc_u32 s56, 0, s56
	s_add_u32 s35, s35, s54
	s_mul_hi_u32 s1, s53, s0
	s_addc_u32 s35, s56, s43
	s_addc_u32 s1, s1, 0
	s_mul_i32 s0, s53, s0
	s_add_u32 s0, s35, s0
	s_addc_u32 s35, 0, s1
	s_add_u32 s43, s55, s0
	s_cselect_b64 s[0:1], -1, 0
	v_ashrrev_i32_e32 v3, 31, v9
	s_cmp_lg_u64 s[0:1], 0
	v_add_co_u32_e32 v5, vcc, v8, v3
	s_addc_u32 s35, s53, s35
	v_xor_b32_e32 v5, v5, v3
	v_addc_co_u32_e32 v7, vcc, v9, v3, vcc
	v_mad_u64_u32 v[9:10], s[0:1], v5, s35, 0
	v_mul_hi_u32 v11, v5, s43
	v_xor_b32_e32 v7, v7, v3
	v_xor_b32_e32 v3, s42, v3
	v_add_co_u32_e32 v13, vcc, v11, v9
	v_addc_co_u32_e32 v14, vcc, 0, v10, vcc
	v_mad_u64_u32 v[9:10], s[0:1], v7, s43, 0
	v_mad_u64_u32 v[11:12], s[0:1], v7, s35, 0
	v_add_co_u32_e32 v9, vcc, v13, v9
	v_addc_co_u32_e32 v9, vcc, v14, v10, vcc
	v_addc_co_u32_e32 v10, vcc, 0, v12, vcc
	v_add_co_u32_e32 v11, vcc, v9, v11
	v_addc_co_u32_e32 v12, vcc, 0, v10, vcc
	v_mul_lo_u32 v13, s45, v11
	v_mul_lo_u32 v14, s44, v12
	v_mad_u64_u32 v[9:10], s[0:1], s44, v11, 0
	v_add3_u32 v10, v10, v14, v13
	v_sub_u32_e32 v13, v7, v10
	v_mov_b32_e32 v14, s45
	v_sub_co_u32_e32 v5, vcc, v5, v9
	v_subb_co_u32_e64 v9, s[0:1], v13, v14, vcc
	v_subrev_co_u32_e64 v13, s[0:1], s44, v5
	v_subbrev_co_u32_e64 v9, s[0:1], 0, v9, s[0:1]
	v_cmp_le_u32_e64 s[0:1], s45, v9
	v_cndmask_b32_e64 v14, 0, -1, s[0:1]
	v_cmp_le_u32_e64 s[0:1], s44, v13
	v_cndmask_b32_e64 v13, 0, -1, s[0:1]
	v_cmp_eq_u32_e64 s[0:1], s45, v9
	v_cndmask_b32_e64 v9, v14, v13, s[0:1]
	v_add_co_u32_e64 v13, s[0:1], 2, v11
	v_subb_co_u32_e32 v7, vcc, v7, v10, vcc
	v_addc_co_u32_e64 v14, s[0:1], 0, v12, s[0:1]
	v_cmp_le_u32_e32 vcc, s45, v7
	v_add_co_u32_e64 v15, s[0:1], 1, v11
	v_cndmask_b32_e64 v10, 0, -1, vcc
	v_cmp_le_u32_e32 vcc, s44, v5
	v_addc_co_u32_e64 v16, s[0:1], 0, v12, s[0:1]
	v_cndmask_b32_e64 v5, 0, -1, vcc
	v_cmp_eq_u32_e32 vcc, s45, v7
	v_cmp_ne_u32_e64 s[0:1], 0, v9
	v_cndmask_b32_e32 v5, v10, v5, vcc
	v_cmp_ne_u32_e32 vcc, 0, v5
	v_cndmask_b32_e64 v7, v15, v13, s[0:1]
	v_cndmask_b32_e64 v9, v16, v14, s[0:1]
	v_cndmask_b32_e32 v7, v11, v7, vcc
	v_cndmask_b32_e32 v5, v12, v9, vcc
	v_xor_b32_e32 v7, v7, v3
	v_xor_b32_e32 v5, v5, v3
	v_sub_co_u32_e32 v10, vcc, v7, v3
	v_subb_co_u32_e32 v11, vcc, v5, v3, vcc
.LBB73_15:                              ;   in Loop: Header=BB73_13 Depth=2
	s_andn2_saveexec_b64 s[0:1], s[40:41]
	s_cbranch_execz .LBB73_17
; %bb.16:                               ;   in Loop: Header=BB73_13 Depth=2
	v_cvt_f32_u32_e32 v3, s17
	s_sub_i32 s35, 0, s17
	v_mov_b32_e32 v11, v2
	v_rcp_iflag_f32_e32 v3, v3
	v_mul_f32_e32 v3, 0x4f7ffffe, v3
	v_cvt_u32_f32_e32 v3, v3
	v_mul_lo_u32 v5, s35, v3
	v_mul_hi_u32 v5, v3, v5
	v_add_u32_e32 v3, v3, v5
	v_mul_hi_u32 v3, v8, v3
	v_mul_lo_u32 v5, v3, s17
	v_add_u32_e32 v7, 1, v3
	v_sub_u32_e32 v5, v8, v5
	v_subrev_u32_e32 v9, s17, v5
	v_cmp_le_u32_e32 vcc, s17, v5
	v_cndmask_b32_e32 v5, v5, v9, vcc
	v_cndmask_b32_e32 v3, v3, v7, vcc
	v_add_u32_e32 v7, 1, v3
	v_cmp_le_u32_e32 vcc, s17, v5
	v_cndmask_b32_e32 v10, v3, v7, vcc
.LBB73_17:                              ;   in Loop: Header=BB73_13 Depth=2
	s_or_b64 exec, exec, s[0:1]
	s_add_u32 s0, s4, s36
	s_addc_u32 s1, s5, s37
	v_mul_lo_u32 v3, v10, s17
	s_load_dword s17, s[38:39], 0x6c
	s_load_dword s35, s[0:1], 0x6c
	s_add_i32 s20, s20, -1
	v_sub_u32_e32 v3, v8, v3
	s_waitcnt lgkmcnt(0)
	v_mad_u64_u32 v[6:7], s[0:1], s17, v3, v[6:7]
	v_mad_u64_u32 v[4:5], s[0:1], s35, v3, v[4:5]
	s_xor_b32 s0, s52, s15
	s_add_i32 s15, s15, 1
	s_cmp_lg_u32 s0, 2
	s_cbranch_scc0 .LBB73_19
; %bb.18:                               ;   in Loop: Header=BB73_13 Depth=2
	v_mov_b32_e32 v8, v10
	v_mov_b32_e32 v9, v11
	s_branch .LBB73_13
.LBB73_19:                              ;   in Loop: Header=BB73_3 Depth=1
	v_mov_b32_e32 v8, v10
	s_mov_b32 s0, s20
	v_mov_b32_e32 v9, v11
.LBB73_20:                              ;   in Loop: Header=BB73_3 Depth=1
	s_and_b64 vcc, exec, s[24:25]
	s_mov_b32 s20, s0
	s_cbranch_vccz .LBB73_39
.LBB73_21:                              ;   Parent Loop BB73_3 Depth=1
                                        ; =>  This Inner Loop Header: Depth=2
	s_lshl_b64 s[36:37], s[20:21], 2
	s_add_u32 s38, s46, s36
	s_addc_u32 s39, s47, s37
	s_load_dword s15, s[38:39], 0x8
                                        ; implicit-def: $vgpr10_vgpr11
	s_waitcnt lgkmcnt(0)
	s_ashr_i32 s0, s15, 31
	v_or_b32_e32 v3, s0, v9
	v_cmp_ne_u64_e32 vcc, 0, v[2:3]
	s_and_saveexec_b64 s[40:41], vcc
	s_xor_b64 s[40:41], exec, s[40:41]
	s_cbranch_execz .LBB73_23
; %bb.22:                               ;   in Loop: Header=BB73_21 Depth=2
	s_ashr_i32 s42, s0, 31
	s_add_u32 s44, s15, s42
	s_mov_b32 s43, s42
	s_addc_u32 s45, s0, s42
	s_xor_b64 s[44:45], s[44:45], s[42:43]
	v_cvt_f32_u32_e32 v3, s44
	v_cvt_f32_u32_e32 v5, s45
	s_sub_u32 s17, 0, s44
	s_subb_u32 s35, 0, s45
	v_mac_f32_e32 v3, 0x4f800000, v5
	v_rcp_f32_e32 v3, v3
	v_mul_f32_e32 v3, 0x5f7ffffc, v3
	v_mul_f32_e32 v5, 0x2f800000, v3
	v_trunc_f32_e32 v5, v5
	v_mac_f32_e32 v3, 0xcf800000, v5
	v_cvt_u32_f32_e32 v5, v5
	v_cvt_u32_f32_e32 v3, v3
	v_readfirstlane_b32 s43, v5
	v_readfirstlane_b32 s0, v3
	s_mul_i32 s1, s17, s43
	s_mul_hi_u32 s54, s17, s0
	s_mul_i32 s53, s35, s0
	s_add_i32 s1, s54, s1
	s_add_i32 s1, s1, s53
	s_mul_i32 s55, s17, s0
	s_mul_i32 s54, s0, s1
	s_mul_hi_u32 s56, s0, s55
	s_mul_hi_u32 s53, s0, s1
	s_add_u32 s54, s56, s54
	s_addc_u32 s53, 0, s53
	s_mul_hi_u32 s57, s43, s55
	s_mul_i32 s55, s43, s55
	s_add_u32 s54, s54, s55
	s_mul_hi_u32 s56, s43, s1
	s_addc_u32 s53, s53, s57
	s_addc_u32 s54, s56, 0
	s_mul_i32 s1, s43, s1
	s_add_u32 s1, s53, s1
	s_addc_u32 s53, 0, s54
	s_add_u32 s54, s0, s1
	s_cselect_b64 s[0:1], -1, 0
	s_cmp_lg_u64 s[0:1], 0
	s_addc_u32 s43, s43, s53
	s_mul_i32 s0, s17, s43
	s_mul_hi_u32 s1, s17, s54
	s_add_i32 s0, s1, s0
	s_mul_i32 s35, s35, s54
	s_add_i32 s0, s0, s35
	s_mul_i32 s17, s17, s54
	s_mul_hi_u32 s35, s43, s17
	s_mul_i32 s53, s43, s17
	s_mul_i32 s56, s54, s0
	s_mul_hi_u32 s17, s54, s17
	s_mul_hi_u32 s55, s54, s0
	s_add_u32 s17, s17, s56
	s_addc_u32 s55, 0, s55
	s_add_u32 s17, s17, s53
	s_mul_hi_u32 s1, s43, s0
	s_addc_u32 s17, s55, s35
	s_addc_u32 s1, s1, 0
	s_mul_i32 s0, s43, s0
	s_add_u32 s0, s17, s0
	s_addc_u32 s17, 0, s1
	s_add_u32 s35, s54, s0
	s_cselect_b64 s[0:1], -1, 0
	v_ashrrev_i32_e32 v3, 31, v9
	s_cmp_lg_u64 s[0:1], 0
	v_add_co_u32_e32 v5, vcc, v8, v3
	s_addc_u32 s17, s43, s17
	v_xor_b32_e32 v5, v5, v3
	v_addc_co_u32_e32 v7, vcc, v9, v3, vcc
	v_mad_u64_u32 v[9:10], s[0:1], v5, s17, 0
	v_mul_hi_u32 v11, v5, s35
	v_xor_b32_e32 v7, v7, v3
	v_xor_b32_e32 v3, s42, v3
	v_add_co_u32_e32 v13, vcc, v11, v9
	v_addc_co_u32_e32 v14, vcc, 0, v10, vcc
	v_mad_u64_u32 v[9:10], s[0:1], v7, s35, 0
	v_mad_u64_u32 v[11:12], s[0:1], v7, s17, 0
	v_add_co_u32_e32 v9, vcc, v13, v9
	v_addc_co_u32_e32 v9, vcc, v14, v10, vcc
	v_addc_co_u32_e32 v10, vcc, 0, v12, vcc
	v_add_co_u32_e32 v11, vcc, v9, v11
	v_addc_co_u32_e32 v12, vcc, 0, v10, vcc
	v_mul_lo_u32 v13, s45, v11
	v_mul_lo_u32 v14, s44, v12
	v_mad_u64_u32 v[9:10], s[0:1], s44, v11, 0
	v_add3_u32 v10, v10, v14, v13
	v_sub_u32_e32 v13, v7, v10
	v_mov_b32_e32 v14, s45
	v_sub_co_u32_e32 v5, vcc, v5, v9
	v_subb_co_u32_e64 v9, s[0:1], v13, v14, vcc
	v_subrev_co_u32_e64 v13, s[0:1], s44, v5
	v_subbrev_co_u32_e64 v9, s[0:1], 0, v9, s[0:1]
	v_cmp_le_u32_e64 s[0:1], s45, v9
	v_cndmask_b32_e64 v14, 0, -1, s[0:1]
	v_cmp_le_u32_e64 s[0:1], s44, v13
	v_cndmask_b32_e64 v13, 0, -1, s[0:1]
	v_cmp_eq_u32_e64 s[0:1], s45, v9
	v_cndmask_b32_e64 v9, v14, v13, s[0:1]
	v_add_co_u32_e64 v13, s[0:1], 2, v11
	v_subb_co_u32_e32 v7, vcc, v7, v10, vcc
	v_addc_co_u32_e64 v14, s[0:1], 0, v12, s[0:1]
	v_cmp_le_u32_e32 vcc, s45, v7
	v_add_co_u32_e64 v15, s[0:1], 1, v11
	v_cndmask_b32_e64 v10, 0, -1, vcc
	v_cmp_le_u32_e32 vcc, s44, v5
	v_addc_co_u32_e64 v16, s[0:1], 0, v12, s[0:1]
	v_cndmask_b32_e64 v5, 0, -1, vcc
	v_cmp_eq_u32_e32 vcc, s45, v7
	v_cmp_ne_u32_e64 s[0:1], 0, v9
	v_cndmask_b32_e32 v5, v10, v5, vcc
	v_cmp_ne_u32_e32 vcc, 0, v5
	v_cndmask_b32_e64 v7, v15, v13, s[0:1]
	v_cndmask_b32_e64 v9, v16, v14, s[0:1]
	v_cndmask_b32_e32 v7, v11, v7, vcc
	v_cndmask_b32_e32 v5, v12, v9, vcc
	v_xor_b32_e32 v7, v7, v3
	v_xor_b32_e32 v5, v5, v3
	v_sub_co_u32_e32 v10, vcc, v7, v3
	v_subb_co_u32_e32 v11, vcc, v5, v3, vcc
.LBB73_23:                              ;   in Loop: Header=BB73_21 Depth=2
	s_andn2_saveexec_b64 s[0:1], s[40:41]
	s_cbranch_execz .LBB73_25
; %bb.24:                               ;   in Loop: Header=BB73_21 Depth=2
	v_cvt_f32_u32_e32 v3, s15
	s_sub_i32 s17, 0, s15
	v_mov_b32_e32 v11, v2
	v_rcp_iflag_f32_e32 v3, v3
	v_mul_f32_e32 v3, 0x4f7ffffe, v3
	v_cvt_u32_f32_e32 v3, v3
	v_mul_lo_u32 v5, s17, v3
	v_mul_hi_u32 v5, v3, v5
	v_add_u32_e32 v3, v3, v5
	v_mul_hi_u32 v3, v8, v3
	v_mul_lo_u32 v5, v3, s15
	v_add_u32_e32 v7, 1, v3
	v_sub_u32_e32 v5, v8, v5
	v_subrev_u32_e32 v9, s15, v5
	v_cmp_le_u32_e32 vcc, s15, v5
	v_cndmask_b32_e32 v5, v5, v9, vcc
	v_cndmask_b32_e32 v3, v3, v7, vcc
	v_add_u32_e32 v7, 1, v3
	v_cmp_le_u32_e32 vcc, s15, v5
	v_cndmask_b32_e32 v10, v3, v7, vcc
.LBB73_25:                              ;   in Loop: Header=BB73_21 Depth=2
	s_or_b64 exec, exec, s[0:1]
	s_add_u32 s0, s4, s36
	s_addc_u32 s1, s5, s37
	s_add_i32 s36, s20, -1
	s_mov_b32 s37, s21
	s_lshl_b64 s[40:41], s[36:37], 2
	s_add_u32 s36, s46, s40
	s_addc_u32 s37, s47, s41
	s_load_dword s53, s[36:37], 0x8
	s_load_dword s35, s[38:39], 0x6c
	;; [unrolled: 1-line block ×3, first 2 shown]
                                        ; implicit-def: $vgpr12_vgpr13
	s_waitcnt lgkmcnt(0)
	s_ashr_i32 s0, s53, 31
	v_or_b32_e32 v3, s0, v11
	v_cmp_ne_u64_e32 vcc, 0, v[2:3]
	s_and_saveexec_b64 s[38:39], vcc
	s_xor_b64 s[38:39], exec, s[38:39]
	s_cbranch_execz .LBB73_27
; %bb.26:                               ;   in Loop: Header=BB73_21 Depth=2
	s_ashr_i32 s42, s0, 31
	s_add_u32 s44, s53, s42
	s_mov_b32 s43, s42
	s_addc_u32 s45, s0, s42
	s_xor_b64 s[44:45], s[44:45], s[42:43]
	v_cvt_f32_u32_e32 v3, s44
	v_cvt_f32_u32_e32 v5, s45
	s_sub_u32 s43, 0, s44
	s_subb_u32 s54, 0, s45
	v_mac_f32_e32 v3, 0x4f800000, v5
	v_rcp_f32_e32 v3, v3
	v_mul_f32_e32 v3, 0x5f7ffffc, v3
	v_mul_f32_e32 v5, 0x2f800000, v3
	v_trunc_f32_e32 v5, v5
	v_mac_f32_e32 v3, 0xcf800000, v5
	v_cvt_u32_f32_e32 v5, v5
	v_cvt_u32_f32_e32 v3, v3
	v_readfirstlane_b32 s55, v5
	v_readfirstlane_b32 s0, v3
	s_mul_i32 s1, s43, s55
	s_mul_hi_u32 s57, s43, s0
	s_mul_i32 s56, s54, s0
	s_add_i32 s1, s57, s1
	s_add_i32 s1, s1, s56
	s_mul_i32 s58, s43, s0
	s_mul_i32 s57, s0, s1
	s_mul_hi_u32 s59, s0, s58
	s_mul_hi_u32 s56, s0, s1
	s_add_u32 s57, s59, s57
	s_addc_u32 s56, 0, s56
	s_mul_hi_u32 s60, s55, s58
	s_mul_i32 s58, s55, s58
	s_add_u32 s57, s57, s58
	s_mul_hi_u32 s59, s55, s1
	s_addc_u32 s56, s56, s60
	s_addc_u32 s57, s59, 0
	s_mul_i32 s1, s55, s1
	s_add_u32 s1, s56, s1
	s_addc_u32 s56, 0, s57
	s_add_u32 s57, s0, s1
	s_cselect_b64 s[0:1], -1, 0
	s_cmp_lg_u64 s[0:1], 0
	s_addc_u32 s55, s55, s56
	s_mul_i32 s0, s43, s55
	s_mul_hi_u32 s1, s43, s57
	s_add_i32 s0, s1, s0
	s_mul_i32 s54, s54, s57
	s_add_i32 s0, s0, s54
	s_mul_i32 s43, s43, s57
	s_mul_hi_u32 s54, s55, s43
	s_mul_i32 s56, s55, s43
	s_mul_i32 s59, s57, s0
	s_mul_hi_u32 s43, s57, s43
	s_mul_hi_u32 s58, s57, s0
	s_add_u32 s43, s43, s59
	s_addc_u32 s58, 0, s58
	s_add_u32 s43, s43, s56
	s_mul_hi_u32 s1, s55, s0
	s_addc_u32 s43, s58, s54
	s_addc_u32 s1, s1, 0
	s_mul_i32 s0, s55, s0
	s_add_u32 s0, s43, s0
	s_addc_u32 s43, 0, s1
	s_add_u32 s54, s57, s0
	s_cselect_b64 s[0:1], -1, 0
	v_ashrrev_i32_e32 v3, 31, v11
	s_cmp_lg_u64 s[0:1], 0
	v_add_co_u32_e32 v5, vcc, v10, v3
	s_addc_u32 s43, s55, s43
	v_xor_b32_e32 v5, v5, v3
	v_addc_co_u32_e32 v7, vcc, v11, v3, vcc
	v_mad_u64_u32 v[11:12], s[0:1], v5, s43, 0
	v_mul_hi_u32 v9, v5, s54
	v_xor_b32_e32 v7, v7, v3
	v_mad_u64_u32 v[13:14], s[0:1], v7, s43, 0
	v_add_co_u32_e32 v9, vcc, v9, v11
	v_addc_co_u32_e32 v15, vcc, 0, v12, vcc
	v_mad_u64_u32 v[11:12], s[0:1], v7, s54, 0
	v_xor_b32_e32 v3, s42, v3
	v_add_co_u32_e32 v9, vcc, v9, v11
	v_addc_co_u32_e32 v9, vcc, v15, v12, vcc
	v_addc_co_u32_e32 v11, vcc, 0, v14, vcc
	v_add_co_u32_e32 v9, vcc, v9, v13
	v_addc_co_u32_e32 v13, vcc, 0, v11, vcc
	v_mul_lo_u32 v14, s45, v9
	v_mul_lo_u32 v15, s44, v13
	v_mad_u64_u32 v[11:12], s[0:1], s44, v9, 0
	v_add3_u32 v12, v12, v15, v14
	v_sub_u32_e32 v14, v7, v12
	v_mov_b32_e32 v15, s45
	v_sub_co_u32_e32 v5, vcc, v5, v11
	v_subb_co_u32_e64 v11, s[0:1], v14, v15, vcc
	v_subrev_co_u32_e64 v14, s[0:1], s44, v5
	v_subbrev_co_u32_e64 v11, s[0:1], 0, v11, s[0:1]
	v_cmp_le_u32_e64 s[0:1], s45, v11
	v_cndmask_b32_e64 v15, 0, -1, s[0:1]
	v_cmp_le_u32_e64 s[0:1], s44, v14
	v_cndmask_b32_e64 v14, 0, -1, s[0:1]
	v_cmp_eq_u32_e64 s[0:1], s45, v11
	v_cndmask_b32_e64 v11, v15, v14, s[0:1]
	v_add_co_u32_e64 v14, s[0:1], 2, v9
	v_subb_co_u32_e32 v7, vcc, v7, v12, vcc
	v_addc_co_u32_e64 v15, s[0:1], 0, v13, s[0:1]
	v_cmp_le_u32_e32 vcc, s45, v7
	v_add_co_u32_e64 v16, s[0:1], 1, v9
	v_cndmask_b32_e64 v12, 0, -1, vcc
	v_cmp_le_u32_e32 vcc, s44, v5
	v_addc_co_u32_e64 v17, s[0:1], 0, v13, s[0:1]
	v_cndmask_b32_e64 v5, 0, -1, vcc
	v_cmp_eq_u32_e32 vcc, s45, v7
	v_cmp_ne_u32_e64 s[0:1], 0, v11
	v_cndmask_b32_e32 v5, v12, v5, vcc
	v_cmp_ne_u32_e32 vcc, 0, v5
	v_cndmask_b32_e64 v7, v16, v14, s[0:1]
	v_cndmask_b32_e64 v11, v17, v15, s[0:1]
	v_cndmask_b32_e32 v7, v9, v7, vcc
	v_cndmask_b32_e32 v5, v13, v11, vcc
	v_xor_b32_e32 v7, v7, v3
	v_xor_b32_e32 v5, v5, v3
	v_sub_co_u32_e32 v12, vcc, v7, v3
	v_subb_co_u32_e32 v13, vcc, v5, v3, vcc
.LBB73_27:                              ;   in Loop: Header=BB73_21 Depth=2
	s_andn2_saveexec_b64 s[0:1], s[38:39]
	s_cbranch_execz .LBB73_29
; %bb.28:                               ;   in Loop: Header=BB73_21 Depth=2
	v_cvt_f32_u32_e32 v3, s53
	s_sub_i32 s38, 0, s53
	v_mov_b32_e32 v13, v2
	v_rcp_iflag_f32_e32 v3, v3
	v_mul_f32_e32 v3, 0x4f7ffffe, v3
	v_cvt_u32_f32_e32 v3, v3
	v_mul_lo_u32 v5, s38, v3
	v_mul_hi_u32 v5, v3, v5
	v_add_u32_e32 v3, v3, v5
	v_mul_hi_u32 v3, v10, v3
	v_mul_lo_u32 v5, v3, s53
	v_add_u32_e32 v7, 1, v3
	v_sub_u32_e32 v5, v10, v5
	v_subrev_u32_e32 v9, s53, v5
	v_cmp_le_u32_e32 vcc, s53, v5
	v_cndmask_b32_e32 v5, v5, v9, vcc
	v_cndmask_b32_e32 v3, v3, v7, vcc
	v_add_u32_e32 v7, 1, v3
	v_cmp_le_u32_e32 vcc, s53, v5
	v_cndmask_b32_e32 v12, v3, v7, vcc
.LBB73_29:                              ;   in Loop: Header=BB73_21 Depth=2
	s_or_b64 exec, exec, s[0:1]
	s_add_u32 s0, s4, s40
	s_addc_u32 s1, s5, s41
	s_add_i32 s38, s20, -2
	s_mov_b32 s39, s21
	s_lshl_b64 s[38:39], s[38:39], 2
	s_add_u32 s40, s46, s38
	s_addc_u32 s41, s47, s39
	s_load_dword s55, s[40:41], 0x8
	s_load_dword s56, s[36:37], 0x6c
	;; [unrolled: 1-line block ×3, first 2 shown]
                                        ; implicit-def: $vgpr14_vgpr15
	s_waitcnt lgkmcnt(0)
	s_ashr_i32 s0, s55, 31
	v_or_b32_e32 v3, s0, v13
	v_cmp_ne_u64_e32 vcc, 0, v[2:3]
	s_and_saveexec_b64 s[36:37], vcc
	s_xor_b64 s[36:37], exec, s[36:37]
	s_cbranch_execz .LBB73_31
; %bb.30:                               ;   in Loop: Header=BB73_21 Depth=2
	s_ashr_i32 s42, s0, 31
	s_add_u32 s44, s55, s42
	s_mov_b32 s43, s42
	s_addc_u32 s45, s0, s42
	s_xor_b64 s[44:45], s[44:45], s[42:43]
	v_cvt_f32_u32_e32 v3, s44
	v_cvt_f32_u32_e32 v5, s45
	s_sub_u32 s43, 0, s44
	s_subb_u32 s57, 0, s45
	v_mac_f32_e32 v3, 0x4f800000, v5
	v_rcp_f32_e32 v3, v3
	v_mul_f32_e32 v3, 0x5f7ffffc, v3
	v_mul_f32_e32 v5, 0x2f800000, v3
	v_trunc_f32_e32 v5, v5
	v_mac_f32_e32 v3, 0xcf800000, v5
	v_cvt_u32_f32_e32 v5, v5
	v_cvt_u32_f32_e32 v3, v3
	v_readfirstlane_b32 s58, v5
	v_readfirstlane_b32 s0, v3
	s_mul_i32 s1, s43, s58
	s_mul_hi_u32 s60, s43, s0
	s_mul_i32 s59, s57, s0
	s_add_i32 s1, s60, s1
	s_add_i32 s1, s1, s59
	s_mul_i32 s61, s43, s0
	s_mul_i32 s60, s0, s1
	s_mul_hi_u32 s62, s0, s61
	s_mul_hi_u32 s59, s0, s1
	s_add_u32 s60, s62, s60
	s_addc_u32 s59, 0, s59
	s_mul_hi_u32 s63, s58, s61
	s_mul_i32 s61, s58, s61
	s_add_u32 s60, s60, s61
	s_mul_hi_u32 s62, s58, s1
	s_addc_u32 s59, s59, s63
	s_addc_u32 s60, s62, 0
	s_mul_i32 s1, s58, s1
	s_add_u32 s1, s59, s1
	s_addc_u32 s59, 0, s60
	s_add_u32 s60, s0, s1
	s_cselect_b64 s[0:1], -1, 0
	s_cmp_lg_u64 s[0:1], 0
	s_addc_u32 s58, s58, s59
	s_mul_i32 s0, s43, s58
	s_mul_hi_u32 s1, s43, s60
	s_add_i32 s0, s1, s0
	s_mul_i32 s57, s57, s60
	s_add_i32 s0, s0, s57
	s_mul_i32 s43, s43, s60
	s_mul_hi_u32 s57, s58, s43
	s_mul_i32 s59, s58, s43
	s_mul_i32 s62, s60, s0
	s_mul_hi_u32 s43, s60, s43
	s_mul_hi_u32 s61, s60, s0
	s_add_u32 s43, s43, s62
	s_addc_u32 s61, 0, s61
	s_add_u32 s43, s43, s59
	s_mul_hi_u32 s1, s58, s0
	s_addc_u32 s43, s61, s57
	s_addc_u32 s1, s1, 0
	s_mul_i32 s0, s58, s0
	s_add_u32 s0, s43, s0
	s_addc_u32 s43, 0, s1
	s_add_u32 s57, s60, s0
	s_cselect_b64 s[0:1], -1, 0
	v_ashrrev_i32_e32 v3, 31, v13
	s_cmp_lg_u64 s[0:1], 0
	v_add_co_u32_e32 v5, vcc, v12, v3
	s_addc_u32 s43, s58, s43
	v_xor_b32_e32 v5, v5, v3
	v_addc_co_u32_e32 v7, vcc, v13, v3, vcc
	v_mad_u64_u32 v[13:14], s[0:1], v5, s43, 0
	v_mul_hi_u32 v9, v5, s57
	v_xor_b32_e32 v7, v7, v3
	v_mad_u64_u32 v[15:16], s[0:1], v7, s43, 0
	v_add_co_u32_e32 v9, vcc, v9, v13
	v_addc_co_u32_e32 v11, vcc, 0, v14, vcc
	v_mad_u64_u32 v[13:14], s[0:1], v7, s57, 0
	v_xor_b32_e32 v3, s42, v3
	v_add_co_u32_e32 v9, vcc, v9, v13
	v_addc_co_u32_e32 v9, vcc, v11, v14, vcc
	v_addc_co_u32_e32 v11, vcc, 0, v16, vcc
	v_add_co_u32_e32 v9, vcc, v9, v15
	v_addc_co_u32_e32 v11, vcc, 0, v11, vcc
	v_mul_lo_u32 v15, s45, v9
	v_mul_lo_u32 v16, s44, v11
	v_mad_u64_u32 v[13:14], s[0:1], s44, v9, 0
	v_add3_u32 v14, v14, v16, v15
	v_sub_u32_e32 v15, v7, v14
	v_mov_b32_e32 v16, s45
	v_sub_co_u32_e32 v5, vcc, v5, v13
	v_subb_co_u32_e64 v13, s[0:1], v15, v16, vcc
	v_subrev_co_u32_e64 v15, s[0:1], s44, v5
	v_subbrev_co_u32_e64 v13, s[0:1], 0, v13, s[0:1]
	v_cmp_le_u32_e64 s[0:1], s45, v13
	v_cndmask_b32_e64 v16, 0, -1, s[0:1]
	v_cmp_le_u32_e64 s[0:1], s44, v15
	v_cndmask_b32_e64 v15, 0, -1, s[0:1]
	v_cmp_eq_u32_e64 s[0:1], s45, v13
	v_cndmask_b32_e64 v13, v16, v15, s[0:1]
	v_add_co_u32_e64 v15, s[0:1], 2, v9
	v_subb_co_u32_e32 v7, vcc, v7, v14, vcc
	v_addc_co_u32_e64 v16, s[0:1], 0, v11, s[0:1]
	v_cmp_le_u32_e32 vcc, s45, v7
	v_add_co_u32_e64 v17, s[0:1], 1, v9
	v_cndmask_b32_e64 v14, 0, -1, vcc
	v_cmp_le_u32_e32 vcc, s44, v5
	v_addc_co_u32_e64 v20, s[0:1], 0, v11, s[0:1]
	v_cndmask_b32_e64 v5, 0, -1, vcc
	v_cmp_eq_u32_e32 vcc, s45, v7
	v_cmp_ne_u32_e64 s[0:1], 0, v13
	v_cndmask_b32_e32 v5, v14, v5, vcc
	v_cmp_ne_u32_e32 vcc, 0, v5
	v_cndmask_b32_e64 v7, v17, v15, s[0:1]
	v_cndmask_b32_e64 v13, v20, v16, s[0:1]
	v_cndmask_b32_e32 v7, v9, v7, vcc
	v_cndmask_b32_e32 v5, v11, v13, vcc
	v_xor_b32_e32 v7, v7, v3
	v_xor_b32_e32 v5, v5, v3
	v_sub_co_u32_e32 v14, vcc, v7, v3
	v_subb_co_u32_e32 v15, vcc, v5, v3, vcc
.LBB73_31:                              ;   in Loop: Header=BB73_21 Depth=2
	s_andn2_saveexec_b64 s[0:1], s[36:37]
	s_cbranch_execz .LBB73_33
; %bb.32:                               ;   in Loop: Header=BB73_21 Depth=2
	v_cvt_f32_u32_e32 v3, s55
	s_sub_i32 s36, 0, s55
	v_mov_b32_e32 v15, v2
	v_rcp_iflag_f32_e32 v3, v3
	v_mul_f32_e32 v3, 0x4f7ffffe, v3
	v_cvt_u32_f32_e32 v3, v3
	v_mul_lo_u32 v5, s36, v3
	v_mul_hi_u32 v5, v3, v5
	v_add_u32_e32 v3, v3, v5
	v_mul_hi_u32 v3, v12, v3
	v_mul_lo_u32 v5, v3, s55
	v_add_u32_e32 v7, 1, v3
	v_sub_u32_e32 v5, v12, v5
	v_subrev_u32_e32 v9, s55, v5
	v_cmp_le_u32_e32 vcc, s55, v5
	v_cndmask_b32_e32 v5, v5, v9, vcc
	v_cndmask_b32_e32 v3, v3, v7, vcc
	v_add_u32_e32 v7, 1, v3
	v_cmp_le_u32_e32 vcc, s55, v5
	v_cndmask_b32_e32 v14, v3, v7, vcc
.LBB73_33:                              ;   in Loop: Header=BB73_21 Depth=2
	s_or_b64 exec, exec, s[0:1]
	s_add_u32 s0, s4, s38
	s_addc_u32 s1, s5, s39
	s_add_i32 s36, s20, -3
	s_mov_b32 s37, s21
	s_lshl_b64 s[36:37], s[36:37], 2
	s_add_u32 s38, s46, s36
	s_addc_u32 s39, s47, s37
	s_load_dword s58, s[38:39], 0x8
	s_load_dword s59, s[40:41], 0x6c
	;; [unrolled: 1-line block ×3, first 2 shown]
                                        ; implicit-def: $vgpr16_vgpr17
	s_waitcnt lgkmcnt(0)
	s_ashr_i32 s0, s58, 31
	v_or_b32_e32 v3, s0, v15
	v_cmp_ne_u64_e32 vcc, 0, v[2:3]
	s_and_saveexec_b64 s[40:41], vcc
	s_xor_b64 s[40:41], exec, s[40:41]
	s_cbranch_execz .LBB73_35
; %bb.34:                               ;   in Loop: Header=BB73_21 Depth=2
	s_ashr_i32 s42, s0, 31
	s_add_u32 s44, s58, s42
	s_mov_b32 s43, s42
	s_addc_u32 s45, s0, s42
	s_xor_b64 s[44:45], s[44:45], s[42:43]
	v_cvt_f32_u32_e32 v3, s44
	v_cvt_f32_u32_e32 v5, s45
	s_sub_u32 s43, 0, s44
	s_subb_u32 s60, 0, s45
	v_mac_f32_e32 v3, 0x4f800000, v5
	v_rcp_f32_e32 v3, v3
	v_mul_f32_e32 v3, 0x5f7ffffc, v3
	v_mul_f32_e32 v5, 0x2f800000, v3
	v_trunc_f32_e32 v5, v5
	v_mac_f32_e32 v3, 0xcf800000, v5
	v_cvt_u32_f32_e32 v5, v5
	v_cvt_u32_f32_e32 v3, v3
	v_readfirstlane_b32 s61, v5
	v_readfirstlane_b32 s0, v3
	s_mul_i32 s1, s43, s61
	s_mul_hi_u32 s63, s43, s0
	s_mul_i32 s62, s60, s0
	s_add_i32 s1, s63, s1
	s_add_i32 s1, s1, s62
	s_mul_i32 s64, s43, s0
	s_mul_i32 s63, s0, s1
	s_mul_hi_u32 s65, s0, s64
	s_mul_hi_u32 s62, s0, s1
	s_add_u32 s63, s65, s63
	s_addc_u32 s62, 0, s62
	s_mul_hi_u32 s66, s61, s64
	s_mul_i32 s64, s61, s64
	s_add_u32 s63, s63, s64
	s_mul_hi_u32 s65, s61, s1
	s_addc_u32 s62, s62, s66
	s_addc_u32 s63, s65, 0
	s_mul_i32 s1, s61, s1
	s_add_u32 s1, s62, s1
	s_addc_u32 s62, 0, s63
	s_add_u32 s63, s0, s1
	s_cselect_b64 s[0:1], -1, 0
	s_cmp_lg_u64 s[0:1], 0
	s_addc_u32 s61, s61, s62
	s_mul_i32 s0, s43, s61
	s_mul_hi_u32 s1, s43, s63
	s_add_i32 s0, s1, s0
	s_mul_i32 s60, s60, s63
	s_add_i32 s0, s0, s60
	s_mul_i32 s43, s43, s63
	s_mul_hi_u32 s60, s61, s43
	s_mul_i32 s62, s61, s43
	s_mul_i32 s65, s63, s0
	s_mul_hi_u32 s43, s63, s43
	s_mul_hi_u32 s64, s63, s0
	s_add_u32 s43, s43, s65
	s_addc_u32 s64, 0, s64
	s_add_u32 s43, s43, s62
	s_mul_hi_u32 s1, s61, s0
	s_addc_u32 s43, s64, s60
	s_addc_u32 s1, s1, 0
	s_mul_i32 s0, s61, s0
	s_add_u32 s0, s43, s0
	s_addc_u32 s43, 0, s1
	s_add_u32 s60, s63, s0
	s_cselect_b64 s[0:1], -1, 0
	v_ashrrev_i32_e32 v3, 31, v15
	s_cmp_lg_u64 s[0:1], 0
	v_add_co_u32_e32 v5, vcc, v14, v3
	s_addc_u32 s43, s61, s43
	v_xor_b32_e32 v5, v5, v3
	v_addc_co_u32_e32 v7, vcc, v15, v3, vcc
	v_mad_u64_u32 v[15:16], s[0:1], v5, s43, 0
	v_mul_hi_u32 v9, v5, s60
	v_xor_b32_e32 v7, v7, v3
	v_mad_u64_u32 v[20:21], s[0:1], v7, s43, 0
	v_add_co_u32_e32 v9, vcc, v9, v15
	v_addc_co_u32_e32 v11, vcc, 0, v16, vcc
	v_mad_u64_u32 v[15:16], s[0:1], v7, s60, 0
	v_xor_b32_e32 v3, s42, v3
	v_add_co_u32_e32 v9, vcc, v9, v15
	v_addc_co_u32_e32 v9, vcc, v11, v16, vcc
	v_addc_co_u32_e32 v11, vcc, 0, v21, vcc
	v_add_co_u32_e32 v9, vcc, v9, v20
	v_addc_co_u32_e32 v11, vcc, 0, v11, vcc
	v_mul_lo_u32 v13, s45, v9
	v_mul_lo_u32 v17, s44, v11
	v_mad_u64_u32 v[15:16], s[0:1], s44, v9, 0
	v_add3_u32 v13, v16, v17, v13
	v_sub_u32_e32 v16, v7, v13
	v_mov_b32_e32 v17, s45
	v_sub_co_u32_e32 v5, vcc, v5, v15
	v_subb_co_u32_e64 v15, s[0:1], v16, v17, vcc
	v_subrev_co_u32_e64 v16, s[0:1], s44, v5
	v_subbrev_co_u32_e64 v15, s[0:1], 0, v15, s[0:1]
	v_cmp_le_u32_e64 s[0:1], s45, v15
	v_cndmask_b32_e64 v17, 0, -1, s[0:1]
	v_cmp_le_u32_e64 s[0:1], s44, v16
	v_cndmask_b32_e64 v16, 0, -1, s[0:1]
	v_cmp_eq_u32_e64 s[0:1], s45, v15
	v_cndmask_b32_e64 v15, v17, v16, s[0:1]
	v_add_co_u32_e64 v16, s[0:1], 2, v9
	v_subb_co_u32_e32 v7, vcc, v7, v13, vcc
	v_addc_co_u32_e64 v17, s[0:1], 0, v11, s[0:1]
	v_cmp_le_u32_e32 vcc, s45, v7
	v_add_co_u32_e64 v20, s[0:1], 1, v9
	v_cndmask_b32_e64 v13, 0, -1, vcc
	v_cmp_le_u32_e32 vcc, s44, v5
	v_addc_co_u32_e64 v21, s[0:1], 0, v11, s[0:1]
	v_cndmask_b32_e64 v5, 0, -1, vcc
	v_cmp_eq_u32_e32 vcc, s45, v7
	v_cmp_ne_u32_e64 s[0:1], 0, v15
	v_cndmask_b32_e32 v5, v13, v5, vcc
	v_cmp_ne_u32_e32 vcc, 0, v5
	v_cndmask_b32_e64 v7, v20, v16, s[0:1]
	v_cndmask_b32_e64 v15, v21, v17, s[0:1]
	v_cndmask_b32_e32 v7, v9, v7, vcc
	v_cndmask_b32_e32 v5, v11, v15, vcc
	v_xor_b32_e32 v7, v7, v3
	v_xor_b32_e32 v5, v5, v3
	v_sub_co_u32_e32 v16, vcc, v7, v3
	v_subb_co_u32_e32 v17, vcc, v5, v3, vcc
.LBB73_35:                              ;   in Loop: Header=BB73_21 Depth=2
	s_andn2_saveexec_b64 s[0:1], s[40:41]
	s_cbranch_execz .LBB73_37
; %bb.36:                               ;   in Loop: Header=BB73_21 Depth=2
	v_cvt_f32_u32_e32 v3, s58
	s_sub_i32 s40, 0, s58
	v_mov_b32_e32 v17, v2
	v_rcp_iflag_f32_e32 v3, v3
	v_mul_f32_e32 v3, 0x4f7ffffe, v3
	v_cvt_u32_f32_e32 v3, v3
	v_mul_lo_u32 v5, s40, v3
	v_mul_hi_u32 v5, v3, v5
	v_add_u32_e32 v3, v3, v5
	v_mul_hi_u32 v3, v14, v3
	v_mul_lo_u32 v5, v3, s58
	v_add_u32_e32 v7, 1, v3
	v_sub_u32_e32 v5, v14, v5
	v_subrev_u32_e32 v9, s58, v5
	v_cmp_le_u32_e32 vcc, s58, v5
	v_cndmask_b32_e32 v5, v5, v9, vcc
	v_cndmask_b32_e32 v3, v3, v7, vcc
	v_add_u32_e32 v7, 1, v3
	v_cmp_le_u32_e32 vcc, s58, v5
	v_cndmask_b32_e32 v16, v3, v7, vcc
.LBB73_37:                              ;   in Loop: Header=BB73_21 Depth=2
	s_or_b64 exec, exec, s[0:1]
	v_mul_lo_u32 v3, v10, s15
	v_mul_lo_u32 v5, v12, s53
	;; [unrolled: 1-line block ×3, first 2 shown]
	s_add_u32 s0, s4, s36
	v_sub_u32_e32 v3, v8, v3
	v_sub_u32_e32 v5, v10, v5
	v_mul_lo_u32 v7, s35, v3
	v_mul_lo_u32 v8, s56, v5
	s_addc_u32 s1, s5, s37
	s_load_dword s15, s[38:39], 0x6c
	v_mul_lo_u32 v3, s17, v3
	v_add3_u32 v6, v7, v6, v8
	v_sub_u32_e32 v7, v12, v9
	v_mul_lo_u32 v9, v16, s58
	s_load_dword s0, s[0:1], 0x6c
	v_mul_lo_u32 v5, s54, v5
	v_mul_lo_u32 v8, s59, v7
	v_sub_u32_e32 v9, v14, v9
	s_waitcnt lgkmcnt(0)
	v_mul_lo_u32 v10, s15, v9
	v_add3_u32 v3, v3, v4, v5
	v_mul_lo_u32 v4, s57, v7
	v_mul_lo_u32 v5, s0, v9
	s_add_i32 s20, s20, -4
	v_add3_u32 v6, v8, v6, v10
	s_cmp_eq_u32 s20, -1
	v_add3_u32 v4, v4, v3, v5
	s_cbranch_scc1 .LBB73_39
; %bb.38:                               ;   in Loop: Header=BB73_21 Depth=2
	v_mov_b32_e32 v8, v16
	v_mov_b32_e32 v9, v17
	s_branch .LBB73_21
.LBB73_39:                              ;   in Loop: Header=BB73_3 Depth=1
	v_sub_u32_e32 v5, v18, v19
	v_add_u32_e32 v7, 2, v5
	v_ashrrev_i32_e32 v8, 31, v7
	v_cmp_le_i64_e32 vcc, s[8:9], v[7:8]
	v_mov_b32_e32 v7, 0
	v_mov_b32_e32 v9, 0
	;; [unrolled: 1-line block ×4, first 2 shown]
	s_and_saveexec_b64 s[0:1], vcc
	s_cbranch_execz .LBB73_45
; %bb.40:                               ;   in Loop: Header=BB73_3 Depth=1
	v_mov_b32_e32 v7, 0
	v_mov_b32_e32 v11, 0
	;; [unrolled: 1-line block ×4, first 2 shown]
	v_cmp_gt_i32_e32 vcc, s7, v18
	s_and_saveexec_b64 s[36:37], vcc
	s_cbranch_execz .LBB73_44
; %bb.41:                               ;   in Loop: Header=BB73_3 Depth=1
	v_ashrrev_i32_e32 v7, 31, v6
	v_lshlrev_b64 v[6:7], 3, v[6:7]
	v_mov_b32_e32 v3, s3
	v_add_co_u32_e32 v9, vcc, s2, v6
	v_addc_co_u32_e32 v10, vcc, v3, v7, vcc
	global_load_dwordx2 v[7:8], v[9:10], off
	v_add_u32_e32 v3, 1, v18
	v_mov_b32_e32 v11, 0
	v_mov_b32_e32 v12, 0
	v_cmp_gt_i32_e32 vcc, s7, v3
	s_and_saveexec_b64 s[38:39], vcc
	s_xor_b64 s[38:39], exec, s[38:39]
	s_cbranch_execz .LBB73_43
; %bb.42:                               ;   in Loop: Header=BB73_3 Depth=1
	s_lshl_b64 s[40:41], s[26:27], 3
	v_mov_b32_e32 v3, s41
	v_add_co_u32_e32 v9, vcc, s40, v9
	v_addc_co_u32_e32 v10, vcc, v10, v3, vcc
	global_load_dwordx2 v[11:12], v[9:10], off
.LBB73_43:                              ;   in Loop: Header=BB73_3 Depth=1
	s_or_b64 exec, exec, s[38:39]
.LBB73_44:                              ;   in Loop: Header=BB73_3 Depth=1
	s_or_b64 exec, exec, s[36:37]
	v_ashrrev_i32_e32 v6, 31, v5
	v_cmp_le_i64_e32 vcc, s[8:9], v[5:6]
	v_add_u32_e32 v5, 1, v5
	v_ashrrev_i32_e32 v6, 31, v5
	s_waitcnt vmcnt(0)
	v_cndmask_b32_e32 v10, 0, v8, vcc
	v_cndmask_b32_e32 v9, 0, v7, vcc
	v_cmp_le_i64_e32 vcc, s[8:9], v[5:6]
	v_cndmask_b32_e32 v8, 0, v12, vcc
	v_cndmask_b32_e32 v7, 0, v11, vcc
.LBB73_45:                              ;   in Loop: Header=BB73_3 Depth=1
	s_or_b64 exec, exec, s[0:1]
	v_cmp_gt_i32_e32 vcc, s7, v18
	s_and_saveexec_b64 s[0:1], vcc
	s_cbranch_execz .LBB73_2
; %bb.46:                               ;   in Loop: Header=BB73_3 Depth=1
	v_ashrrev_i32_e32 v5, 31, v4
	v_lshlrev_b64 v[3:4], 3, v[4:5]
	v_mov_b32_e32 v5, s19
	v_add_co_u32_e32 v3, vcc, s18, v3
	v_addc_co_u32_e32 v4, vcc, v5, v4, vcc
	v_add_u32_e32 v5, 1, v18
	v_cmp_gt_i32_e32 vcc, s7, v5
	global_store_dwordx2 v[3:4], v[9:10], off
	s_and_saveexec_b64 s[36:37], vcc
	s_xor_b64 s[36:37], exec, s[36:37]
	s_cbranch_execz .LBB73_2
; %bb.47:                               ;   in Loop: Header=BB73_3 Depth=1
	s_lshl_b64 s[36:37], s[28:29], 3
	v_mov_b32_e32 v5, s37
	v_add_co_u32_e32 v3, vcc, s36, v3
	v_addc_co_u32_e32 v4, vcc, v4, v5, vcc
	global_store_dwordx2 v[3:4], v[7:8], off
	s_branch .LBB73_2
.LBB73_48:
	s_endpgm
	.section	.rodata,"a",@progbits
	.p2align	6, 0x0
	.amdhsa_kernel _ZN2at6native16triu_tril_kernelIdiLb1ELi2ELb0EEEvNS_4cuda6detail10TensorInfoIT_T0_EENS4_IKS5_S6_EEllS6_
		.amdhsa_group_segment_fixed_size 0
		.amdhsa_private_segment_fixed_size 0
		.amdhsa_kernarg_size 712
		.amdhsa_user_sgpr_count 6
		.amdhsa_user_sgpr_private_segment_buffer 1
		.amdhsa_user_sgpr_dispatch_ptr 0
		.amdhsa_user_sgpr_queue_ptr 0
		.amdhsa_user_sgpr_kernarg_segment_ptr 1
		.amdhsa_user_sgpr_dispatch_id 0
		.amdhsa_user_sgpr_flat_scratch_init 0
		.amdhsa_user_sgpr_private_segment_size 0
		.amdhsa_uses_dynamic_stack 0
		.amdhsa_system_sgpr_private_segment_wavefront_offset 0
		.amdhsa_system_sgpr_workgroup_id_x 1
		.amdhsa_system_sgpr_workgroup_id_y 0
		.amdhsa_system_sgpr_workgroup_id_z 0
		.amdhsa_system_sgpr_workgroup_info 0
		.amdhsa_system_vgpr_workitem_id 0
		.amdhsa_next_free_vgpr 22
		.amdhsa_next_free_sgpr 67
		.amdhsa_reserve_vcc 1
		.amdhsa_reserve_flat_scratch 0
		.amdhsa_float_round_mode_32 0
		.amdhsa_float_round_mode_16_64 0
		.amdhsa_float_denorm_mode_32 3
		.amdhsa_float_denorm_mode_16_64 3
		.amdhsa_dx10_clamp 1
		.amdhsa_ieee_mode 1
		.amdhsa_fp16_overflow 0
		.amdhsa_exception_fp_ieee_invalid_op 0
		.amdhsa_exception_fp_denorm_src 0
		.amdhsa_exception_fp_ieee_div_zero 0
		.amdhsa_exception_fp_ieee_overflow 0
		.amdhsa_exception_fp_ieee_underflow 0
		.amdhsa_exception_fp_ieee_inexact 0
		.amdhsa_exception_int_div_zero 0
	.end_amdhsa_kernel
	.section	.text._ZN2at6native16triu_tril_kernelIdiLb1ELi2ELb0EEEvNS_4cuda6detail10TensorInfoIT_T0_EENS4_IKS5_S6_EEllS6_,"axG",@progbits,_ZN2at6native16triu_tril_kernelIdiLb1ELi2ELb0EEEvNS_4cuda6detail10TensorInfoIT_T0_EENS4_IKS5_S6_EEllS6_,comdat
.Lfunc_end73:
	.size	_ZN2at6native16triu_tril_kernelIdiLb1ELi2ELb0EEEvNS_4cuda6detail10TensorInfoIT_T0_EENS4_IKS5_S6_EEllS6_, .Lfunc_end73-_ZN2at6native16triu_tril_kernelIdiLb1ELi2ELb0EEEvNS_4cuda6detail10TensorInfoIT_T0_EENS4_IKS5_S6_EEllS6_
                                        ; -- End function
	.set _ZN2at6native16triu_tril_kernelIdiLb1ELi2ELb0EEEvNS_4cuda6detail10TensorInfoIT_T0_EENS4_IKS5_S6_EEllS6_.num_vgpr, 22
	.set _ZN2at6native16triu_tril_kernelIdiLb1ELi2ELb0EEEvNS_4cuda6detail10TensorInfoIT_T0_EENS4_IKS5_S6_EEllS6_.num_agpr, 0
	.set _ZN2at6native16triu_tril_kernelIdiLb1ELi2ELb0EEEvNS_4cuda6detail10TensorInfoIT_T0_EENS4_IKS5_S6_EEllS6_.numbered_sgpr, 67
	.set _ZN2at6native16triu_tril_kernelIdiLb1ELi2ELb0EEEvNS_4cuda6detail10TensorInfoIT_T0_EENS4_IKS5_S6_EEllS6_.num_named_barrier, 0
	.set _ZN2at6native16triu_tril_kernelIdiLb1ELi2ELb0EEEvNS_4cuda6detail10TensorInfoIT_T0_EENS4_IKS5_S6_EEllS6_.private_seg_size, 0
	.set _ZN2at6native16triu_tril_kernelIdiLb1ELi2ELb0EEEvNS_4cuda6detail10TensorInfoIT_T0_EENS4_IKS5_S6_EEllS6_.uses_vcc, 1
	.set _ZN2at6native16triu_tril_kernelIdiLb1ELi2ELb0EEEvNS_4cuda6detail10TensorInfoIT_T0_EENS4_IKS5_S6_EEllS6_.uses_flat_scratch, 0
	.set _ZN2at6native16triu_tril_kernelIdiLb1ELi2ELb0EEEvNS_4cuda6detail10TensorInfoIT_T0_EENS4_IKS5_S6_EEllS6_.has_dyn_sized_stack, 0
	.set _ZN2at6native16triu_tril_kernelIdiLb1ELi2ELb0EEEvNS_4cuda6detail10TensorInfoIT_T0_EENS4_IKS5_S6_EEllS6_.has_recursion, 0
	.set _ZN2at6native16triu_tril_kernelIdiLb1ELi2ELb0EEEvNS_4cuda6detail10TensorInfoIT_T0_EENS4_IKS5_S6_EEllS6_.has_indirect_call, 0
	.section	.AMDGPU.csdata,"",@progbits
; Kernel info:
; codeLenInByte = 6376
; TotalNumSgprs: 71
; NumVgprs: 22
; ScratchSize: 0
; MemoryBound: 0
; FloatMode: 240
; IeeeMode: 1
; LDSByteSize: 0 bytes/workgroup (compile time only)
; SGPRBlocks: 8
; VGPRBlocks: 5
; NumSGPRsForWavesPerEU: 71
; NumVGPRsForWavesPerEU: 22
; Occupancy: 10
; WaveLimiterHint : 1
; COMPUTE_PGM_RSRC2:SCRATCH_EN: 0
; COMPUTE_PGM_RSRC2:USER_SGPR: 6
; COMPUTE_PGM_RSRC2:TRAP_HANDLER: 0
; COMPUTE_PGM_RSRC2:TGID_X_EN: 1
; COMPUTE_PGM_RSRC2:TGID_Y_EN: 0
; COMPUTE_PGM_RSRC2:TGID_Z_EN: 0
; COMPUTE_PGM_RSRC2:TIDIG_COMP_CNT: 0
	.section	.text._ZN2at6native16triu_tril_kernelIdlLb1ELi2ELb1EEEvNS_4cuda6detail10TensorInfoIT_T0_EENS4_IKS5_S6_EEllS6_,"axG",@progbits,_ZN2at6native16triu_tril_kernelIdlLb1ELi2ELb1EEEvNS_4cuda6detail10TensorInfoIT_T0_EENS4_IKS5_S6_EEllS6_,comdat
	.protected	_ZN2at6native16triu_tril_kernelIdlLb1ELi2ELb1EEEvNS_4cuda6detail10TensorInfoIT_T0_EENS4_IKS5_S6_EEllS6_ ; -- Begin function _ZN2at6native16triu_tril_kernelIdlLb1ELi2ELb1EEEvNS_4cuda6detail10TensorInfoIT_T0_EENS4_IKS5_S6_EEllS6_
	.globl	_ZN2at6native16triu_tril_kernelIdlLb1ELi2ELb1EEEvNS_4cuda6detail10TensorInfoIT_T0_EENS4_IKS5_S6_EEllS6_
	.p2align	8
	.type	_ZN2at6native16triu_tril_kernelIdlLb1ELi2ELb1EEEvNS_4cuda6detail10TensorInfoIT_T0_EENS4_IKS5_S6_EEllS6_,@function
_ZN2at6native16triu_tril_kernelIdlLb1ELi2ELb1EEEvNS_4cuda6detail10TensorInfoIT_T0_EENS4_IKS5_S6_EEllS6_: ; @_ZN2at6native16triu_tril_kernelIdlLb1ELi2ELb1EEEvNS_4cuda6detail10TensorInfoIT_T0_EENS4_IKS5_S6_EEllS6_
; %bb.0:
	s_load_dword s2, s[4:5], 0x364
	s_load_dwordx4 s[8:11], s[4:5], 0x340
	s_add_u32 s0, s4, 0x358
	v_mov_b32_e32 v2, 0
	s_addc_u32 s1, s5, 0
	s_waitcnt lgkmcnt(0)
	s_and_b32 s2, s2, 0xffff
	v_mov_b32_e32 v1, v2
	v_mov_b32_e32 v3, s6
	v_mad_u64_u32 v[0:1], s[6:7], s2, v3, v[0:1]
	v_lshlrev_b64 v[0:1], 1, v[0:1]
	v_cmp_gt_i64_e32 vcc, s[10:11], v[0:1]
	s_and_saveexec_b64 s[6:7], vcc
	s_cbranch_execz .LBB74_41
; %bb.1:
	s_load_dword s1, s[0:1], 0x0
	s_add_u32 s34, s4, 0x1a0
	s_load_dword s0, s[4:5], 0x338
	s_addc_u32 s35, s5, 0
	s_load_dwordx2 s[6:7], s[4:5], 0x350
	s_load_dwordx2 s[12:13], s[4:5], 0x0
	s_waitcnt lgkmcnt(0)
	s_mul_i32 s24, s1, s2
	s_mov_b32 s25, 0
	s_add_i32 s2, s0, -2
	s_ashr_i32 s3, s2, 31
	s_ashr_i32 s1, s0, 31
	s_lshl_b64 s[16:17], s[2:3], 3
	s_add_u32 s16, s34, s16
	s_addc_u32 s17, s35, s17
	s_lshl_b64 s[22:23], s[0:1], 3
	s_add_u32 s18, s4, s22
	s_addc_u32 s19, s5, s23
	s_add_i32 s20, s0, -3
	s_ashr_i32 s21, s20, 31
	s_add_u32 s22, s34, s22
	v_cmp_gt_i64_e64 s[14:15], s[0:1], 2
	s_addc_u32 s23, s35, s23
	s_lshl_b32 s33, s24, 1
	s_and_b32 s24, s2, 3
	s_and_b32 s0, s20, 3
	s_cmp_lg_u32 s0, 3
	s_cselect_b64 s[26:27], -1, 0
	s_cmp_gt_u32 s20, 2
	s_cselect_b64 s[28:29], -1, 0
	s_lshl_b64 s[0:1], s[20:21], 3
	s_add_u32 s2, s4, s0
	s_addc_u32 s3, s5, s1
	s_add_u32 s30, s2, 0xd0
	s_addc_u32 s31, s3, 0
	;; [unrolled: 2-line block ×3, first 2 shown]
	s_add_u32 s34, s0, 8
	s_load_dwordx2 s[16:17], s[16:17], 0x8
	s_addc_u32 s35, s1, 0
	s_add_u32 s64, s4, 0xb8
	s_addc_u32 s65, s5, 0
	s_add_u32 s66, s4, 0x190
	s_addc_u32 s67, s5, 0
	s_mov_b64 s[4:5], 0
	s_branch .LBB74_3
.LBB74_2:                               ;   in Loop: Header=BB74_3 Depth=1
	s_or_b64 exec, exec, s[36:37]
	v_add_co_u32_e32 v0, vcc, s33, v0
	v_addc_co_u32_e32 v1, vcc, 0, v1, vcc
	v_cmp_le_i64_e32 vcc, s[10:11], v[0:1]
	s_or_b64 s[4:5], vcc, s[4:5]
	s_andn2_b64 exec, exec, s[4:5]
	s_cbranch_execz .LBB74_41
.LBB74_3:                               ; =>This Loop Header: Depth=1
                                        ;     Child Loop BB74_17 Depth 2
                                        ;     Child Loop BB74_22 Depth 2
	v_or_b32_e32 v3, s7, v1
	v_cmp_ne_u64_e32 vcc, 0, v[2:3]
                                        ; implicit-def: $vgpr6_vgpr7
	s_and_saveexec_b64 s[0:1], vcc
	s_xor_b64 s[2:3], exec, s[0:1]
	s_cbranch_execz .LBB74_5
; %bb.4:                                ;   in Loop: Header=BB74_3 Depth=1
	s_ashr_i32 s36, s7, 31
	s_add_u32 s0, s6, s36
	s_mov_b32 s37, s36
	s_addc_u32 s1, s7, s36
	s_xor_b64 s[38:39], s[0:1], s[36:37]
	v_cvt_f32_u32_e32 v3, s38
	v_cvt_f32_u32_e32 v4, s39
	s_sub_u32 s37, 0, s38
	s_subb_u32 s40, 0, s39
	v_ashrrev_i32_e32 v7, 31, v1
	v_mac_f32_e32 v3, 0x4f800000, v4
	v_rcp_f32_e32 v3, v3
	v_mul_f32_e32 v3, 0x5f7ffffc, v3
	v_mul_f32_e32 v4, 0x2f800000, v3
	v_trunc_f32_e32 v4, v4
	v_mac_f32_e32 v3, 0xcf800000, v4
	v_cvt_u32_f32_e32 v4, v4
	v_cvt_u32_f32_e32 v3, v3
	v_readfirstlane_b32 s41, v4
	v_readfirstlane_b32 s0, v3
	s_mul_i32 s1, s37, s41
	s_mul_hi_u32 s43, s37, s0
	s_mul_i32 s42, s40, s0
	s_add_i32 s1, s43, s1
	s_add_i32 s1, s1, s42
	s_mul_i32 s44, s37, s0
	s_mul_i32 s43, s0, s1
	s_mul_hi_u32 s45, s0, s44
	s_mul_hi_u32 s42, s0, s1
	s_add_u32 s43, s45, s43
	s_addc_u32 s42, 0, s42
	s_mul_hi_u32 s46, s41, s44
	s_mul_i32 s44, s41, s44
	s_add_u32 s43, s43, s44
	s_mul_hi_u32 s45, s41, s1
	s_addc_u32 s42, s42, s46
	s_addc_u32 s43, s45, 0
	s_mul_i32 s1, s41, s1
	s_add_u32 s1, s42, s1
	s_addc_u32 s42, 0, s43
	s_add_u32 s43, s0, s1
	s_cselect_b64 s[0:1], -1, 0
	s_cmp_lg_u64 s[0:1], 0
	s_addc_u32 s41, s41, s42
	s_mul_i32 s0, s37, s41
	s_mul_hi_u32 s1, s37, s43
	s_add_i32 s0, s1, s0
	s_mul_i32 s40, s40, s43
	s_add_i32 s0, s0, s40
	s_mul_i32 s37, s37, s43
	s_mul_hi_u32 s40, s41, s37
	s_mul_i32 s42, s41, s37
	s_mul_i32 s45, s43, s0
	s_mul_hi_u32 s37, s43, s37
	s_mul_hi_u32 s44, s43, s0
	s_add_u32 s37, s37, s45
	s_addc_u32 s44, 0, s44
	s_add_u32 s37, s37, s42
	s_mul_hi_u32 s1, s41, s0
	s_addc_u32 s37, s44, s40
	s_addc_u32 s1, s1, 0
	s_mul_i32 s0, s41, s0
	s_add_u32 s0, s37, s0
	s_addc_u32 s37, 0, s1
	s_add_u32 s40, s43, s0
	s_cselect_b64 s[0:1], -1, 0
	s_cmp_lg_u64 s[0:1], 0
	v_add_co_u32_e32 v3, vcc, v0, v7
	s_addc_u32 s37, s41, s37
	v_xor_b32_e32 v8, v3, v7
	v_mad_u64_u32 v[3:4], s[0:1], v8, s37, 0
	v_mul_hi_u32 v6, v8, s40
	v_addc_co_u32_e32 v5, vcc, v1, v7, vcc
	v_xor_b32_e32 v9, v5, v7
	v_add_co_u32_e32 v10, vcc, v6, v3
	v_addc_co_u32_e32 v11, vcc, 0, v4, vcc
	v_mad_u64_u32 v[3:4], s[0:1], v9, s40, 0
	v_mad_u64_u32 v[5:6], s[0:1], v9, s37, 0
	v_add_co_u32_e32 v3, vcc, v10, v3
	v_addc_co_u32_e32 v3, vcc, v11, v4, vcc
	v_addc_co_u32_e32 v4, vcc, 0, v6, vcc
	v_add_co_u32_e32 v5, vcc, v3, v5
	v_addc_co_u32_e32 v6, vcc, 0, v4, vcc
	v_mul_lo_u32 v10, s39, v5
	v_mul_lo_u32 v11, s38, v6
	v_mad_u64_u32 v[3:4], s[0:1], s38, v5, 0
	v_add3_u32 v4, v4, v11, v10
	v_sub_u32_e32 v10, v9, v4
	v_mov_b32_e32 v11, s39
	v_sub_co_u32_e32 v3, vcc, v8, v3
	v_subb_co_u32_e64 v8, s[0:1], v10, v11, vcc
	v_subrev_co_u32_e64 v10, s[0:1], s38, v3
	v_subbrev_co_u32_e64 v8, s[0:1], 0, v8, s[0:1]
	v_cmp_le_u32_e64 s[0:1], s39, v8
	v_cndmask_b32_e64 v11, 0, -1, s[0:1]
	v_cmp_le_u32_e64 s[0:1], s38, v10
	v_cndmask_b32_e64 v10, 0, -1, s[0:1]
	v_cmp_eq_u32_e64 s[0:1], s39, v8
	v_cndmask_b32_e64 v8, v11, v10, s[0:1]
	v_add_co_u32_e64 v10, s[0:1], 2, v5
	v_subb_co_u32_e32 v4, vcc, v9, v4, vcc
	v_addc_co_u32_e64 v11, s[0:1], 0, v6, s[0:1]
	v_cmp_le_u32_e32 vcc, s39, v4
	v_add_co_u32_e64 v12, s[0:1], 1, v5
	v_cndmask_b32_e64 v9, 0, -1, vcc
	v_cmp_le_u32_e32 vcc, s38, v3
	v_addc_co_u32_e64 v13, s[0:1], 0, v6, s[0:1]
	v_cndmask_b32_e64 v3, 0, -1, vcc
	v_cmp_eq_u32_e32 vcc, s39, v4
	v_cmp_ne_u32_e64 s[0:1], 0, v8
	v_cndmask_b32_e32 v3, v9, v3, vcc
	v_cmp_ne_u32_e32 vcc, 0, v3
	v_cndmask_b32_e64 v4, v12, v10, s[0:1]
	v_cndmask_b32_e64 v8, v13, v11, s[0:1]
	v_cndmask_b32_e32 v4, v5, v4, vcc
	v_xor_b32_e32 v5, s36, v7
	v_cndmask_b32_e32 v3, v6, v8, vcc
	v_xor_b32_e32 v4, v4, v5
	v_xor_b32_e32 v3, v3, v5
	v_sub_co_u32_e32 v6, vcc, v4, v5
	v_subb_co_u32_e32 v7, vcc, v3, v5, vcc
.LBB74_5:                               ;   in Loop: Header=BB74_3 Depth=1
	s_andn2_saveexec_b64 s[0:1], s[2:3]
	s_cbranch_execz .LBB74_7
; %bb.6:                                ;   in Loop: Header=BB74_3 Depth=1
	v_cvt_f32_u32_e32 v3, s6
	s_sub_i32 s2, 0, s6
	v_mov_b32_e32 v7, v2
	v_rcp_iflag_f32_e32 v3, v3
	v_mul_f32_e32 v3, 0x4f7ffffe, v3
	v_cvt_u32_f32_e32 v3, v3
	v_mul_lo_u32 v4, s2, v3
	v_mul_hi_u32 v4, v3, v4
	v_add_u32_e32 v3, v3, v4
	v_mul_hi_u32 v3, v0, v3
	v_mul_lo_u32 v4, v3, s6
	v_add_u32_e32 v5, 1, v3
	v_sub_u32_e32 v4, v0, v4
	v_subrev_u32_e32 v6, s6, v4
	v_cmp_le_u32_e32 vcc, s6, v4
	v_cndmask_b32_e32 v4, v4, v6, vcc
	v_cndmask_b32_e32 v3, v3, v5, vcc
	v_add_u32_e32 v5, 1, v3
	v_cmp_le_u32_e32 vcc, s6, v4
	v_cndmask_b32_e32 v6, v3, v5, vcc
.LBB74_7:                               ;   in Loop: Header=BB74_3 Depth=1
	s_or_b64 exec, exec, s[0:1]
	s_waitcnt lgkmcnt(0)
	v_or_b32_e32 v3, s17, v7
	v_cmp_ne_u64_e32 vcc, 0, v[2:3]
                                        ; implicit-def: $vgpr8_vgpr9
	s_and_saveexec_b64 s[0:1], vcc
	s_xor_b64 s[2:3], exec, s[0:1]
	s_cbranch_execz .LBB74_9
; %bb.8:                                ;   in Loop: Header=BB74_3 Depth=1
	s_ashr_i32 s36, s17, 31
	s_add_u32 s0, s16, s36
	s_mov_b32 s37, s36
	s_addc_u32 s1, s17, s36
	s_xor_b64 s[38:39], s[0:1], s[36:37]
	v_cvt_f32_u32_e32 v3, s38
	v_cvt_f32_u32_e32 v4, s39
	s_sub_u32 s37, 0, s38
	s_subb_u32 s40, 0, s39
	v_ashrrev_i32_e32 v5, 31, v7
	v_mac_f32_e32 v3, 0x4f800000, v4
	v_rcp_f32_e32 v3, v3
	v_mul_f32_e32 v3, 0x5f7ffffc, v3
	v_mul_f32_e32 v4, 0x2f800000, v3
	v_trunc_f32_e32 v4, v4
	v_mac_f32_e32 v3, 0xcf800000, v4
	v_cvt_u32_f32_e32 v4, v4
	v_cvt_u32_f32_e32 v3, v3
	v_readfirstlane_b32 s41, v4
	v_readfirstlane_b32 s0, v3
	s_mul_i32 s1, s37, s41
	s_mul_hi_u32 s43, s37, s0
	s_mul_i32 s42, s40, s0
	s_add_i32 s1, s43, s1
	s_add_i32 s1, s1, s42
	s_mul_i32 s44, s37, s0
	s_mul_i32 s43, s0, s1
	s_mul_hi_u32 s45, s0, s44
	s_mul_hi_u32 s42, s0, s1
	s_add_u32 s43, s45, s43
	s_addc_u32 s42, 0, s42
	s_mul_hi_u32 s46, s41, s44
	s_mul_i32 s44, s41, s44
	s_add_u32 s43, s43, s44
	s_mul_hi_u32 s45, s41, s1
	s_addc_u32 s42, s42, s46
	s_addc_u32 s43, s45, 0
	s_mul_i32 s1, s41, s1
	s_add_u32 s1, s42, s1
	s_addc_u32 s42, 0, s43
	s_add_u32 s43, s0, s1
	s_cselect_b64 s[0:1], -1, 0
	s_cmp_lg_u64 s[0:1], 0
	s_addc_u32 s41, s41, s42
	s_mul_i32 s0, s37, s41
	s_mul_hi_u32 s1, s37, s43
	s_add_i32 s0, s1, s0
	s_mul_i32 s40, s40, s43
	s_add_i32 s0, s0, s40
	s_mul_i32 s37, s37, s43
	s_mul_hi_u32 s40, s41, s37
	s_mul_i32 s42, s41, s37
	s_mul_i32 s45, s43, s0
	s_mul_hi_u32 s37, s43, s37
	s_mul_hi_u32 s44, s43, s0
	s_add_u32 s37, s37, s45
	s_addc_u32 s44, 0, s44
	s_add_u32 s37, s37, s42
	s_mul_hi_u32 s1, s41, s0
	s_addc_u32 s37, s44, s40
	s_addc_u32 s1, s1, 0
	s_mul_i32 s0, s41, s0
	s_add_u32 s0, s37, s0
	s_addc_u32 s37, 0, s1
	s_add_u32 s40, s43, s0
	s_cselect_b64 s[0:1], -1, 0
	s_cmp_lg_u64 s[0:1], 0
	v_add_co_u32_e32 v3, vcc, v6, v5
	s_addc_u32 s37, s41, s37
	v_xor_b32_e32 v10, v3, v5
	v_mad_u64_u32 v[3:4], s[0:1], v10, s37, 0
	v_mul_hi_u32 v9, v10, s40
	v_addc_co_u32_e32 v8, vcc, v7, v5, vcc
	v_xor_b32_e32 v11, v8, v5
	v_add_co_u32_e32 v12, vcc, v9, v3
	v_addc_co_u32_e32 v13, vcc, 0, v4, vcc
	v_mad_u64_u32 v[3:4], s[0:1], v11, s40, 0
	v_mad_u64_u32 v[8:9], s[0:1], v11, s37, 0
	v_add_co_u32_e32 v3, vcc, v12, v3
	v_addc_co_u32_e32 v3, vcc, v13, v4, vcc
	v_addc_co_u32_e32 v4, vcc, 0, v9, vcc
	v_add_co_u32_e32 v8, vcc, v3, v8
	v_addc_co_u32_e32 v9, vcc, 0, v4, vcc
	v_mul_lo_u32 v12, s39, v8
	v_mul_lo_u32 v13, s38, v9
	v_mad_u64_u32 v[3:4], s[0:1], s38, v8, 0
	v_xor_b32_e32 v5, s36, v5
	v_add3_u32 v4, v4, v13, v12
	v_sub_u32_e32 v12, v11, v4
	v_mov_b32_e32 v13, s39
	v_sub_co_u32_e32 v3, vcc, v10, v3
	v_subb_co_u32_e64 v10, s[0:1], v12, v13, vcc
	v_subrev_co_u32_e64 v12, s[0:1], s38, v3
	v_subbrev_co_u32_e64 v10, s[0:1], 0, v10, s[0:1]
	v_cmp_le_u32_e64 s[0:1], s39, v10
	v_cndmask_b32_e64 v13, 0, -1, s[0:1]
	v_cmp_le_u32_e64 s[0:1], s38, v12
	v_cndmask_b32_e64 v12, 0, -1, s[0:1]
	v_cmp_eq_u32_e64 s[0:1], s39, v10
	v_cndmask_b32_e64 v10, v13, v12, s[0:1]
	v_add_co_u32_e64 v12, s[0:1], 2, v8
	v_subb_co_u32_e32 v4, vcc, v11, v4, vcc
	v_addc_co_u32_e64 v13, s[0:1], 0, v9, s[0:1]
	v_cmp_le_u32_e32 vcc, s39, v4
	v_add_co_u32_e64 v14, s[0:1], 1, v8
	v_cndmask_b32_e64 v11, 0, -1, vcc
	v_cmp_le_u32_e32 vcc, s38, v3
	v_addc_co_u32_e64 v15, s[0:1], 0, v9, s[0:1]
	v_cndmask_b32_e64 v3, 0, -1, vcc
	v_cmp_eq_u32_e32 vcc, s39, v4
	v_cmp_ne_u32_e64 s[0:1], 0, v10
	v_cndmask_b32_e32 v3, v11, v3, vcc
	v_cmp_ne_u32_e32 vcc, 0, v3
	v_cndmask_b32_e64 v4, v14, v12, s[0:1]
	v_cndmask_b32_e64 v10, v15, v13, s[0:1]
	v_cndmask_b32_e32 v4, v8, v4, vcc
	v_cndmask_b32_e32 v3, v9, v10, vcc
	v_xor_b32_e32 v4, v4, v5
	v_xor_b32_e32 v3, v3, v5
	v_sub_co_u32_e32 v8, vcc, v4, v5
	v_subb_co_u32_e32 v9, vcc, v3, v5, vcc
.LBB74_9:                               ;   in Loop: Header=BB74_3 Depth=1
	s_andn2_saveexec_b64 s[0:1], s[2:3]
	s_cbranch_execz .LBB74_11
; %bb.10:                               ;   in Loop: Header=BB74_3 Depth=1
	v_cvt_f32_u32_e32 v3, s16
	s_sub_i32 s2, 0, s16
	v_mov_b32_e32 v9, v2
	v_rcp_iflag_f32_e32 v3, v3
	v_mul_f32_e32 v3, 0x4f7ffffe, v3
	v_cvt_u32_f32_e32 v3, v3
	v_mul_lo_u32 v4, s2, v3
	v_mul_hi_u32 v4, v3, v4
	v_add_u32_e32 v3, v3, v4
	v_mul_hi_u32 v3, v6, v3
	v_mul_lo_u32 v4, v3, s16
	v_add_u32_e32 v5, 1, v3
	v_sub_u32_e32 v4, v6, v4
	v_subrev_u32_e32 v8, s16, v4
	v_cmp_le_u32_e32 vcc, s16, v4
	v_cndmask_b32_e32 v4, v4, v8, vcc
	v_cndmask_b32_e32 v3, v3, v5, vcc
	v_add_u32_e32 v5, 1, v3
	v_cmp_le_u32_e32 vcc, s16, v4
	v_cndmask_b32_e32 v8, v3, v5, vcc
.LBB74_11:                              ;   in Loop: Header=BB74_3 Depth=1
	s_or_b64 exec, exec, s[0:1]
	v_mul_lo_u32 v5, v7, s6
	v_mul_lo_u32 v10, v6, s7
	v_mad_u64_u32 v[3:4], s[0:1], v6, s6, 0
	v_mul_lo_u32 v12, v9, s16
	v_mul_lo_u32 v13, v8, s17
	v_add3_u32 v5, v4, v10, v5
	v_mad_u64_u32 v[10:11], s[0:1], v8, s16, 0
	v_sub_co_u32_e32 v4, vcc, v0, v3
	v_subb_co_u32_e32 v5, vcc, v1, v5, vcc
	v_add3_u32 v3, v11, v13, v12
	v_sub_co_u32_e32 v18, vcc, v6, v10
	v_subb_co_u32_e32 v19, vcc, v7, v3, vcc
	v_sub_co_u32_e32 v6, vcc, v4, v18
	v_subb_co_u32_e32 v7, vcc, v5, v19, vcc
	v_cmp_gt_i64_e32 vcc, s[8:9], v[6:7]
	s_and_saveexec_b64 s[36:37], vcc
	s_cbranch_execz .LBB74_2
; %bb.12:                               ;   in Loop: Header=BB74_3 Depth=1
	s_load_dwordx4 s[0:3], s[18:19], 0xc0
	s_andn2_b64 vcc, exec, s[14:15]
	s_waitcnt lgkmcnt(0)
	v_mul_lo_u32 v3, s3, v4
	v_mul_lo_u32 v10, s2, v5
	v_mad_u64_u32 v[6:7], s[38:39], s2, v4, 0
	v_mul_lo_u32 v11, s0, v19
	v_add3_u32 v7, v7, v10, v3
	v_mad_u64_u32 v[6:7], s[38:39], s0, v18, v[6:7]
	v_mul_lo_u32 v3, s1, v18
	v_add3_u32 v7, v3, v7, v11
	s_cbranch_vccnz .LBB74_38
; %bb.13:                               ;   in Loop: Header=BB74_3 Depth=1
	s_andn2_b64 vcc, exec, s[26:27]
	s_mov_b64 s[38:39], s[24:25]
	s_mov_b64 s[40:41], s[34:35]
	;; [unrolled: 1-line block ×4, first 2 shown]
	s_cbranch_vccz .LBB74_17
.LBB74_14:                              ;   in Loop: Header=BB74_3 Depth=1
	s_andn2_b64 vcc, exec, s[28:29]
	s_cbranch_vccnz .LBB74_38
; %bb.15:                               ;   in Loop: Header=BB74_3 Depth=1
	s_lshl_b64 s[0:1], s[42:43], 3
	s_add_u32 s38, s64, s0
	s_addc_u32 s39, s65, s1
	s_add_u32 s40, s66, s0
	s_addc_u32 s41, s67, s1
	;; [unrolled: 2-line block ×3, first 2 shown]
	s_branch .LBB74_22
.LBB74_16:                              ;   in Loop: Header=BB74_17 Depth=2
	s_or_b64 exec, exec, s[0:1]
	v_mul_lo_u32 v3, v11, s46
	v_mul_lo_u32 v14, v10, s47
	v_mad_u64_u32 v[12:13], s[0:1], v10, s46, 0
	s_load_dwordx2 s[0:1], s[44:45], 0x0
	s_add_u32 s42, s42, -1
	v_add3_u32 v3, v13, v14, v3
	v_sub_co_u32_e32 v8, vcc, v8, v12
	s_addc_u32 s43, s43, -1
	v_subb_co_u32_e32 v3, vcc, v9, v3, vcc
	s_add_u32 s44, s44, -8
	s_waitcnt lgkmcnt(0)
	v_mul_lo_u32 v3, s0, v3
	v_mul_lo_u32 v9, s1, v8
	v_mad_u64_u32 v[6:7], s[0:1], s0, v8, v[6:7]
	s_addc_u32 s45, s45, -1
	s_add_u32 s40, s40, -8
	s_addc_u32 s41, s41, -1
	s_add_u32 s38, s38, -1
	s_addc_u32 s39, s39, -1
	v_add3_u32 v7, v9, v7, v3
	v_mov_b32_e32 v8, v10
	s_cmp_lg_u64 s[38:39], 0
	v_mov_b32_e32 v9, v11
	s_cbranch_scc0 .LBB74_14
.LBB74_17:                              ;   Parent Loop BB74_3 Depth=1
                                        ; =>  This Inner Loop Header: Depth=2
	s_load_dwordx2 s[46:47], s[40:41], 0x0
                                        ; implicit-def: $vgpr10_vgpr11
	s_waitcnt lgkmcnt(0)
	v_or_b32_e32 v3, s47, v9
	v_cmp_ne_u64_e32 vcc, 0, v[2:3]
	s_and_saveexec_b64 s[0:1], vcc
	s_xor_b64 s[48:49], exec, s[0:1]
	s_cbranch_execz .LBB74_19
; %bb.18:                               ;   in Loop: Header=BB74_17 Depth=2
	s_ashr_i32 s50, s47, 31
	s_add_u32 s0, s46, s50
	s_mov_b32 s51, s50
	s_addc_u32 s1, s47, s50
	s_xor_b64 s[52:53], s[0:1], s[50:51]
	v_cvt_f32_u32_e32 v3, s52
	v_cvt_f32_u32_e32 v10, s53
	s_sub_u32 s51, 0, s52
	s_subb_u32 s54, 0, s53
	v_mac_f32_e32 v3, 0x4f800000, v10
	v_rcp_f32_e32 v3, v3
	v_mul_f32_e32 v3, 0x5f7ffffc, v3
	v_mul_f32_e32 v10, 0x2f800000, v3
	v_trunc_f32_e32 v10, v10
	v_mac_f32_e32 v3, 0xcf800000, v10
	v_cvt_u32_f32_e32 v10, v10
	v_cvt_u32_f32_e32 v3, v3
	v_readfirstlane_b32 s55, v10
	v_readfirstlane_b32 s0, v3
	s_mul_i32 s1, s51, s55
	s_mul_hi_u32 s57, s51, s0
	s_mul_i32 s56, s54, s0
	s_add_i32 s1, s57, s1
	s_add_i32 s1, s1, s56
	s_mul_i32 s58, s51, s0
	s_mul_i32 s57, s0, s1
	s_mul_hi_u32 s59, s0, s58
	s_mul_hi_u32 s56, s0, s1
	s_add_u32 s57, s59, s57
	s_addc_u32 s56, 0, s56
	s_mul_hi_u32 s60, s55, s58
	s_mul_i32 s58, s55, s58
	s_add_u32 s57, s57, s58
	s_mul_hi_u32 s59, s55, s1
	s_addc_u32 s56, s56, s60
	s_addc_u32 s57, s59, 0
	s_mul_i32 s1, s55, s1
	s_add_u32 s1, s56, s1
	s_addc_u32 s56, 0, s57
	s_add_u32 s57, s0, s1
	s_cselect_b64 s[0:1], -1, 0
	s_cmp_lg_u64 s[0:1], 0
	s_addc_u32 s55, s55, s56
	s_mul_i32 s0, s51, s55
	s_mul_hi_u32 s1, s51, s57
	s_add_i32 s0, s1, s0
	s_mul_i32 s54, s54, s57
	s_add_i32 s0, s0, s54
	s_mul_i32 s51, s51, s57
	s_mul_hi_u32 s54, s55, s51
	s_mul_i32 s56, s55, s51
	s_mul_i32 s59, s57, s0
	s_mul_hi_u32 s51, s57, s51
	s_mul_hi_u32 s58, s57, s0
	s_add_u32 s51, s51, s59
	s_addc_u32 s58, 0, s58
	s_add_u32 s51, s51, s56
	s_mul_hi_u32 s1, s55, s0
	s_addc_u32 s51, s58, s54
	s_addc_u32 s1, s1, 0
	s_mul_i32 s0, s55, s0
	s_add_u32 s0, s51, s0
	s_addc_u32 s51, 0, s1
	s_add_u32 s54, s57, s0
	s_cselect_b64 s[0:1], -1, 0
	v_ashrrev_i32_e32 v3, 31, v9
	s_cmp_lg_u64 s[0:1], 0
	v_add_co_u32_e32 v10, vcc, v8, v3
	s_addc_u32 s51, s55, s51
	v_xor_b32_e32 v14, v10, v3
	v_mad_u64_u32 v[10:11], s[0:1], v14, s51, 0
	v_mul_hi_u32 v13, v14, s54
	v_addc_co_u32_e32 v12, vcc, v9, v3, vcc
	v_xor_b32_e32 v15, v12, v3
	v_add_co_u32_e32 v16, vcc, v13, v10
	v_addc_co_u32_e32 v17, vcc, 0, v11, vcc
	v_mad_u64_u32 v[10:11], s[0:1], v15, s54, 0
	v_mad_u64_u32 v[12:13], s[0:1], v15, s51, 0
	v_add_co_u32_e32 v10, vcc, v16, v10
	v_addc_co_u32_e32 v10, vcc, v17, v11, vcc
	v_addc_co_u32_e32 v11, vcc, 0, v13, vcc
	v_add_co_u32_e32 v12, vcc, v10, v12
	v_addc_co_u32_e32 v13, vcc, 0, v11, vcc
	v_mul_lo_u32 v16, s53, v12
	v_mul_lo_u32 v17, s52, v13
	v_mad_u64_u32 v[10:11], s[0:1], s52, v12, 0
	v_xor_b32_e32 v3, s50, v3
	v_add3_u32 v11, v11, v17, v16
	v_sub_u32_e32 v16, v15, v11
	v_mov_b32_e32 v17, s53
	v_sub_co_u32_e32 v10, vcc, v14, v10
	v_subb_co_u32_e64 v14, s[0:1], v16, v17, vcc
	v_subrev_co_u32_e64 v16, s[0:1], s52, v10
	v_subbrev_co_u32_e64 v14, s[0:1], 0, v14, s[0:1]
	v_cmp_le_u32_e64 s[0:1], s53, v14
	v_cndmask_b32_e64 v17, 0, -1, s[0:1]
	v_cmp_le_u32_e64 s[0:1], s52, v16
	v_cndmask_b32_e64 v16, 0, -1, s[0:1]
	v_cmp_eq_u32_e64 s[0:1], s53, v14
	v_cndmask_b32_e64 v14, v17, v16, s[0:1]
	v_add_co_u32_e64 v16, s[0:1], 2, v12
	v_subb_co_u32_e32 v11, vcc, v15, v11, vcc
	v_addc_co_u32_e64 v17, s[0:1], 0, v13, s[0:1]
	v_cmp_le_u32_e32 vcc, s53, v11
	v_add_co_u32_e64 v20, s[0:1], 1, v12
	v_cndmask_b32_e64 v15, 0, -1, vcc
	v_cmp_le_u32_e32 vcc, s52, v10
	v_addc_co_u32_e64 v21, s[0:1], 0, v13, s[0:1]
	v_cndmask_b32_e64 v10, 0, -1, vcc
	v_cmp_eq_u32_e32 vcc, s53, v11
	v_cmp_ne_u32_e64 s[0:1], 0, v14
	v_cndmask_b32_e32 v10, v15, v10, vcc
	v_cndmask_b32_e64 v14, v21, v17, s[0:1]
	v_cmp_ne_u32_e32 vcc, 0, v10
	v_cndmask_b32_e64 v11, v20, v16, s[0:1]
	v_cndmask_b32_e32 v10, v13, v14, vcc
	v_cndmask_b32_e32 v11, v12, v11, vcc
	v_xor_b32_e32 v12, v10, v3
	v_xor_b32_e32 v10, v11, v3
	v_sub_co_u32_e32 v10, vcc, v10, v3
	v_subb_co_u32_e32 v11, vcc, v12, v3, vcc
.LBB74_19:                              ;   in Loop: Header=BB74_17 Depth=2
	s_andn2_saveexec_b64 s[0:1], s[48:49]
	s_cbranch_execz .LBB74_16
; %bb.20:                               ;   in Loop: Header=BB74_17 Depth=2
	v_cvt_f32_u32_e32 v3, s46
	s_sub_i32 s48, 0, s46
	v_rcp_iflag_f32_e32 v3, v3
	v_mul_f32_e32 v3, 0x4f7ffffe, v3
	v_cvt_u32_f32_e32 v3, v3
	v_mul_lo_u32 v10, s48, v3
	v_mul_hi_u32 v10, v3, v10
	v_add_u32_e32 v3, v3, v10
	v_mul_hi_u32 v3, v8, v3
	v_mul_lo_u32 v10, v3, s46
	v_add_u32_e32 v11, 1, v3
	v_sub_u32_e32 v10, v8, v10
	v_subrev_u32_e32 v12, s46, v10
	v_cmp_le_u32_e32 vcc, s46, v10
	v_cndmask_b32_e32 v10, v10, v12, vcc
	v_cndmask_b32_e32 v3, v3, v11, vcc
	v_add_u32_e32 v11, 1, v3
	v_cmp_le_u32_e32 vcc, s46, v10
	v_cndmask_b32_e32 v10, v3, v11, vcc
	v_mov_b32_e32 v11, v2
	s_branch .LBB74_16
.LBB74_21:                              ;   in Loop: Header=BB74_22 Depth=2
	s_or_b64 exec, exec, s[0:1]
	v_mul_lo_u32 v3, v11, s44
	v_mul_lo_u32 v22, v10, s45
	v_mad_u64_u32 v[20:21], s[0:1], v10, s44, 0
	v_add3_u32 v3, v21, v22, v3
	v_sub_co_u32_e32 v8, vcc, v8, v20
	v_subb_co_u32_e32 v3, vcc, v9, v3, vcc
	v_mul_lo_u32 v3, s48, v3
	v_mul_lo_u32 v20, s49, v8
	v_mad_u64_u32 v[6:7], s[0:1], s48, v8, v[6:7]
	v_mul_lo_u32 v21, v13, s46
	v_mul_lo_u32 v22, v12, s47
	v_mad_u64_u32 v[8:9], s[0:1], v12, s46, 0
	v_add3_u32 v7, v20, v7, v3
	v_mul_lo_u32 v20, v14, s51
	v_add3_u32 v3, v9, v22, v21
	v_sub_co_u32_e32 v8, vcc, v10, v8
	v_subb_co_u32_e32 v3, vcc, v11, v3, vcc
	v_mad_u64_u32 v[6:7], s[0:1], s52, v8, v[6:7]
	v_mul_lo_u32 v3, s52, v3
	v_mul_lo_u32 v10, s53, v8
	;; [unrolled: 1-line block ×3, first 2 shown]
	v_mad_u64_u32 v[8:9], s[0:1], v14, s50, 0
	v_add3_u32 v7, v10, v7, v3
	v_add3_u32 v3, v9, v20, v11
	v_sub_co_u32_e32 v8, vcc, v12, v8
	v_subb_co_u32_e32 v3, vcc, v13, v3, vcc
	v_mad_u64_u32 v[6:7], s[0:1], s56, v8, v[6:7]
	v_mul_lo_u32 v3, s56, v3
	v_mul_lo_u32 v10, s57, v8
	;; [unrolled: 1-line block ×4, first 2 shown]
	v_mad_u64_u32 v[8:9], s[0:1], v16, s54, 0
	s_load_dwordx2 s[0:1], s[38:39], 0x0
	v_add3_u32 v7, v10, v7, v3
	v_add3_u32 v3, v9, v12, v11
	v_sub_co_u32_e32 v8, vcc, v14, v8
	v_subb_co_u32_e32 v3, vcc, v15, v3, vcc
	s_add_u32 s38, s38, 0xffffffe0
	s_waitcnt lgkmcnt(0)
	v_mad_u64_u32 v[6:7], s[44:45], s0, v8, v[6:7]
	v_mul_lo_u32 v3, s0, v3
	v_mul_lo_u32 v8, s1, v8
	s_addc_u32 s39, s39, -1
	s_add_u32 s40, s40, 0xffffffe0
	s_addc_u32 s41, s41, -1
	s_add_u32 s42, s42, -4
	v_add3_u32 v7, v8, v7, v3
	s_addc_u32 s43, s43, -1
	v_mov_b32_e32 v8, v16
	s_cmp_eq_u64 s[42:43], 0
	v_mov_b32_e32 v9, v17
	s_cbranch_scc1 .LBB74_38
.LBB74_22:                              ;   Parent Loop BB74_3 Depth=1
                                        ; =>  This Inner Loop Header: Depth=2
	s_load_dwordx2 s[44:45], s[40:41], 0x18
                                        ; implicit-def: $vgpr10_vgpr11
	s_waitcnt lgkmcnt(0)
	v_or_b32_e32 v3, s45, v9
	v_cmp_ne_u64_e32 vcc, 0, v[2:3]
	s_and_saveexec_b64 s[0:1], vcc
	s_xor_b64 s[46:47], exec, s[0:1]
	s_cbranch_execz .LBB74_24
; %bb.23:                               ;   in Loop: Header=BB74_22 Depth=2
	s_ashr_i32 s48, s45, 31
	s_add_u32 s0, s44, s48
	s_mov_b32 s49, s48
	s_addc_u32 s1, s45, s48
	s_xor_b64 s[50:51], s[0:1], s[48:49]
	v_cvt_f32_u32_e32 v3, s50
	v_cvt_f32_u32_e32 v10, s51
	s_sub_u32 s49, 0, s50
	s_subb_u32 s52, 0, s51
	v_mac_f32_e32 v3, 0x4f800000, v10
	v_rcp_f32_e32 v3, v3
	v_mul_f32_e32 v3, 0x5f7ffffc, v3
	v_mul_f32_e32 v10, 0x2f800000, v3
	v_trunc_f32_e32 v10, v10
	v_mac_f32_e32 v3, 0xcf800000, v10
	v_cvt_u32_f32_e32 v10, v10
	v_cvt_u32_f32_e32 v3, v3
	v_readfirstlane_b32 s53, v10
	v_readfirstlane_b32 s0, v3
	s_mul_i32 s1, s49, s53
	s_mul_hi_u32 s55, s49, s0
	s_mul_i32 s54, s52, s0
	s_add_i32 s1, s55, s1
	s_add_i32 s1, s1, s54
	s_mul_i32 s56, s49, s0
	s_mul_i32 s55, s0, s1
	s_mul_hi_u32 s57, s0, s56
	s_mul_hi_u32 s54, s0, s1
	s_add_u32 s55, s57, s55
	s_addc_u32 s54, 0, s54
	s_mul_hi_u32 s58, s53, s56
	s_mul_i32 s56, s53, s56
	s_add_u32 s55, s55, s56
	s_mul_hi_u32 s57, s53, s1
	s_addc_u32 s54, s54, s58
	s_addc_u32 s55, s57, 0
	s_mul_i32 s1, s53, s1
	s_add_u32 s1, s54, s1
	s_addc_u32 s54, 0, s55
	s_add_u32 s55, s0, s1
	s_cselect_b64 s[0:1], -1, 0
	s_cmp_lg_u64 s[0:1], 0
	s_addc_u32 s53, s53, s54
	s_mul_i32 s0, s49, s53
	s_mul_hi_u32 s1, s49, s55
	s_add_i32 s0, s1, s0
	s_mul_i32 s52, s52, s55
	s_add_i32 s0, s0, s52
	s_mul_i32 s49, s49, s55
	s_mul_hi_u32 s52, s53, s49
	s_mul_i32 s54, s53, s49
	s_mul_i32 s57, s55, s0
	s_mul_hi_u32 s49, s55, s49
	s_mul_hi_u32 s56, s55, s0
	s_add_u32 s49, s49, s57
	s_addc_u32 s56, 0, s56
	s_add_u32 s49, s49, s54
	s_mul_hi_u32 s1, s53, s0
	s_addc_u32 s49, s56, s52
	s_addc_u32 s1, s1, 0
	s_mul_i32 s0, s53, s0
	s_add_u32 s0, s49, s0
	s_addc_u32 s49, 0, s1
	s_add_u32 s52, s55, s0
	s_cselect_b64 s[0:1], -1, 0
	v_ashrrev_i32_e32 v3, 31, v9
	s_cmp_lg_u64 s[0:1], 0
	v_add_co_u32_e32 v10, vcc, v8, v3
	s_addc_u32 s49, s53, s49
	v_xor_b32_e32 v14, v10, v3
	v_mad_u64_u32 v[10:11], s[0:1], v14, s49, 0
	v_mul_hi_u32 v13, v14, s52
	v_addc_co_u32_e32 v12, vcc, v9, v3, vcc
	v_xor_b32_e32 v15, v12, v3
	v_add_co_u32_e32 v16, vcc, v13, v10
	v_addc_co_u32_e32 v17, vcc, 0, v11, vcc
	v_mad_u64_u32 v[10:11], s[0:1], v15, s52, 0
	v_mad_u64_u32 v[12:13], s[0:1], v15, s49, 0
	v_add_co_u32_e32 v10, vcc, v16, v10
	v_addc_co_u32_e32 v10, vcc, v17, v11, vcc
	v_addc_co_u32_e32 v11, vcc, 0, v13, vcc
	v_add_co_u32_e32 v12, vcc, v10, v12
	v_addc_co_u32_e32 v13, vcc, 0, v11, vcc
	v_mul_lo_u32 v16, s51, v12
	v_mul_lo_u32 v17, s50, v13
	v_mad_u64_u32 v[10:11], s[0:1], s50, v12, 0
	v_xor_b32_e32 v3, s48, v3
	v_add3_u32 v11, v11, v17, v16
	v_sub_u32_e32 v16, v15, v11
	v_mov_b32_e32 v17, s51
	v_sub_co_u32_e32 v10, vcc, v14, v10
	v_subb_co_u32_e64 v14, s[0:1], v16, v17, vcc
	v_subrev_co_u32_e64 v16, s[0:1], s50, v10
	v_subbrev_co_u32_e64 v14, s[0:1], 0, v14, s[0:1]
	v_cmp_le_u32_e64 s[0:1], s51, v14
	v_cndmask_b32_e64 v17, 0, -1, s[0:1]
	v_cmp_le_u32_e64 s[0:1], s50, v16
	v_cndmask_b32_e64 v16, 0, -1, s[0:1]
	v_cmp_eq_u32_e64 s[0:1], s51, v14
	v_cndmask_b32_e64 v14, v17, v16, s[0:1]
	v_add_co_u32_e64 v16, s[0:1], 2, v12
	v_subb_co_u32_e32 v11, vcc, v15, v11, vcc
	v_addc_co_u32_e64 v17, s[0:1], 0, v13, s[0:1]
	v_cmp_le_u32_e32 vcc, s51, v11
	v_add_co_u32_e64 v20, s[0:1], 1, v12
	v_cndmask_b32_e64 v15, 0, -1, vcc
	v_cmp_le_u32_e32 vcc, s50, v10
	v_addc_co_u32_e64 v21, s[0:1], 0, v13, s[0:1]
	v_cndmask_b32_e64 v10, 0, -1, vcc
	v_cmp_eq_u32_e32 vcc, s51, v11
	v_cmp_ne_u32_e64 s[0:1], 0, v14
	v_cndmask_b32_e32 v10, v15, v10, vcc
	v_cndmask_b32_e64 v14, v21, v17, s[0:1]
	v_cmp_ne_u32_e32 vcc, 0, v10
	v_cndmask_b32_e64 v11, v20, v16, s[0:1]
	v_cndmask_b32_e32 v10, v13, v14, vcc
	v_cndmask_b32_e32 v11, v12, v11, vcc
	v_xor_b32_e32 v12, v10, v3
	v_xor_b32_e32 v10, v11, v3
	v_sub_co_u32_e32 v10, vcc, v10, v3
	v_subb_co_u32_e32 v11, vcc, v12, v3, vcc
.LBB74_24:                              ;   in Loop: Header=BB74_22 Depth=2
	s_andn2_saveexec_b64 s[0:1], s[46:47]
	s_cbranch_execz .LBB74_26
; %bb.25:                               ;   in Loop: Header=BB74_22 Depth=2
	v_cvt_f32_u32_e32 v3, s44
	s_sub_i32 s46, 0, s44
	v_rcp_iflag_f32_e32 v3, v3
	v_mul_f32_e32 v3, 0x4f7ffffe, v3
	v_cvt_u32_f32_e32 v3, v3
	v_mul_lo_u32 v10, s46, v3
	v_mul_hi_u32 v10, v3, v10
	v_add_u32_e32 v3, v3, v10
	v_mul_hi_u32 v3, v8, v3
	v_mul_lo_u32 v10, v3, s44
	v_add_u32_e32 v11, 1, v3
	v_sub_u32_e32 v10, v8, v10
	v_subrev_u32_e32 v12, s44, v10
	v_cmp_le_u32_e32 vcc, s44, v10
	v_cndmask_b32_e32 v10, v10, v12, vcc
	v_cndmask_b32_e32 v3, v3, v11, vcc
	v_add_u32_e32 v11, 1, v3
	v_cmp_le_u32_e32 vcc, s44, v10
	v_cndmask_b32_e32 v10, v3, v11, vcc
	v_mov_b32_e32 v11, v2
.LBB74_26:                              ;   in Loop: Header=BB74_22 Depth=2
	s_or_b64 exec, exec, s[0:1]
	s_load_dwordx2 s[46:47], s[40:41], 0x10
	s_load_dwordx2 s[48:49], s[38:39], 0x18
                                        ; implicit-def: $vgpr12_vgpr13
	s_waitcnt lgkmcnt(0)
	v_or_b32_e32 v3, s47, v11
	v_cmp_ne_u64_e32 vcc, 0, v[2:3]
	s_and_saveexec_b64 s[0:1], vcc
	s_xor_b64 s[50:51], exec, s[0:1]
	s_cbranch_execz .LBB74_28
; %bb.27:                               ;   in Loop: Header=BB74_22 Depth=2
	s_ashr_i32 s52, s47, 31
	s_add_u32 s0, s46, s52
	s_mov_b32 s53, s52
	s_addc_u32 s1, s47, s52
	s_xor_b64 s[54:55], s[0:1], s[52:53]
	v_cvt_f32_u32_e32 v3, s54
	v_cvt_f32_u32_e32 v12, s55
	s_sub_u32 s53, 0, s54
	s_subb_u32 s56, 0, s55
	v_mac_f32_e32 v3, 0x4f800000, v12
	v_rcp_f32_e32 v3, v3
	v_mul_f32_e32 v3, 0x5f7ffffc, v3
	v_mul_f32_e32 v12, 0x2f800000, v3
	v_trunc_f32_e32 v12, v12
	v_mac_f32_e32 v3, 0xcf800000, v12
	v_cvt_u32_f32_e32 v12, v12
	v_cvt_u32_f32_e32 v3, v3
	v_readfirstlane_b32 s57, v12
	v_readfirstlane_b32 s0, v3
	s_mul_i32 s1, s53, s57
	s_mul_hi_u32 s59, s53, s0
	s_mul_i32 s58, s56, s0
	s_add_i32 s1, s59, s1
	s_add_i32 s1, s1, s58
	s_mul_i32 s60, s53, s0
	s_mul_i32 s59, s0, s1
	s_mul_hi_u32 s61, s0, s60
	s_mul_hi_u32 s58, s0, s1
	s_add_u32 s59, s61, s59
	s_addc_u32 s58, 0, s58
	s_mul_hi_u32 s62, s57, s60
	s_mul_i32 s60, s57, s60
	s_add_u32 s59, s59, s60
	s_mul_hi_u32 s61, s57, s1
	s_addc_u32 s58, s58, s62
	s_addc_u32 s59, s61, 0
	s_mul_i32 s1, s57, s1
	s_add_u32 s1, s58, s1
	s_addc_u32 s58, 0, s59
	s_add_u32 s59, s0, s1
	s_cselect_b64 s[0:1], -1, 0
	s_cmp_lg_u64 s[0:1], 0
	s_addc_u32 s57, s57, s58
	s_mul_i32 s0, s53, s57
	s_mul_hi_u32 s1, s53, s59
	s_add_i32 s0, s1, s0
	s_mul_i32 s56, s56, s59
	s_add_i32 s0, s0, s56
	s_mul_i32 s53, s53, s59
	s_mul_hi_u32 s56, s57, s53
	s_mul_i32 s58, s57, s53
	s_mul_i32 s61, s59, s0
	s_mul_hi_u32 s53, s59, s53
	s_mul_hi_u32 s60, s59, s0
	s_add_u32 s53, s53, s61
	s_addc_u32 s60, 0, s60
	s_add_u32 s53, s53, s58
	s_mul_hi_u32 s1, s57, s0
	s_addc_u32 s53, s60, s56
	s_addc_u32 s1, s1, 0
	s_mul_i32 s0, s57, s0
	s_add_u32 s0, s53, s0
	s_addc_u32 s53, 0, s1
	s_add_u32 s56, s59, s0
	s_cselect_b64 s[0:1], -1, 0
	v_ashrrev_i32_e32 v3, 31, v11
	s_cmp_lg_u64 s[0:1], 0
	v_add_co_u32_e32 v12, vcc, v10, v3
	s_addc_u32 s53, s57, s53
	v_xor_b32_e32 v16, v12, v3
	v_mad_u64_u32 v[12:13], s[0:1], v16, s53, 0
	v_mul_hi_u32 v15, v16, s56
	v_addc_co_u32_e32 v14, vcc, v11, v3, vcc
	v_xor_b32_e32 v17, v14, v3
	v_add_co_u32_e32 v20, vcc, v15, v12
	v_addc_co_u32_e32 v21, vcc, 0, v13, vcc
	v_mad_u64_u32 v[12:13], s[0:1], v17, s56, 0
	v_mad_u64_u32 v[14:15], s[0:1], v17, s53, 0
	v_add_co_u32_e32 v12, vcc, v20, v12
	v_addc_co_u32_e32 v12, vcc, v21, v13, vcc
	v_addc_co_u32_e32 v13, vcc, 0, v15, vcc
	v_add_co_u32_e32 v14, vcc, v12, v14
	v_addc_co_u32_e32 v15, vcc, 0, v13, vcc
	v_mul_lo_u32 v20, s55, v14
	v_mul_lo_u32 v21, s54, v15
	v_mad_u64_u32 v[12:13], s[0:1], s54, v14, 0
	v_xor_b32_e32 v3, s52, v3
	v_add3_u32 v13, v13, v21, v20
	v_sub_u32_e32 v20, v17, v13
	v_mov_b32_e32 v21, s55
	v_sub_co_u32_e32 v12, vcc, v16, v12
	v_subb_co_u32_e64 v16, s[0:1], v20, v21, vcc
	v_subrev_co_u32_e64 v20, s[0:1], s54, v12
	v_subbrev_co_u32_e64 v16, s[0:1], 0, v16, s[0:1]
	v_cmp_le_u32_e64 s[0:1], s55, v16
	v_cndmask_b32_e64 v21, 0, -1, s[0:1]
	v_cmp_le_u32_e64 s[0:1], s54, v20
	v_cndmask_b32_e64 v20, 0, -1, s[0:1]
	v_cmp_eq_u32_e64 s[0:1], s55, v16
	v_cndmask_b32_e64 v16, v21, v20, s[0:1]
	v_add_co_u32_e64 v20, s[0:1], 2, v14
	v_subb_co_u32_e32 v13, vcc, v17, v13, vcc
	v_addc_co_u32_e64 v21, s[0:1], 0, v15, s[0:1]
	v_cmp_le_u32_e32 vcc, s55, v13
	v_add_co_u32_e64 v22, s[0:1], 1, v14
	v_cndmask_b32_e64 v17, 0, -1, vcc
	v_cmp_le_u32_e32 vcc, s54, v12
	v_addc_co_u32_e64 v23, s[0:1], 0, v15, s[0:1]
	v_cndmask_b32_e64 v12, 0, -1, vcc
	v_cmp_eq_u32_e32 vcc, s55, v13
	v_cmp_ne_u32_e64 s[0:1], 0, v16
	v_cndmask_b32_e32 v12, v17, v12, vcc
	v_cndmask_b32_e64 v16, v23, v21, s[0:1]
	v_cmp_ne_u32_e32 vcc, 0, v12
	v_cndmask_b32_e64 v13, v22, v20, s[0:1]
	v_cndmask_b32_e32 v12, v15, v16, vcc
	v_cndmask_b32_e32 v13, v14, v13, vcc
	v_xor_b32_e32 v14, v12, v3
	v_xor_b32_e32 v12, v13, v3
	v_sub_co_u32_e32 v12, vcc, v12, v3
	v_subb_co_u32_e32 v13, vcc, v14, v3, vcc
.LBB74_28:                              ;   in Loop: Header=BB74_22 Depth=2
	s_andn2_saveexec_b64 s[0:1], s[50:51]
	s_cbranch_execz .LBB74_30
; %bb.29:                               ;   in Loop: Header=BB74_22 Depth=2
	v_cvt_f32_u32_e32 v3, s46
	s_sub_i32 s50, 0, s46
	v_rcp_iflag_f32_e32 v3, v3
	v_mul_f32_e32 v3, 0x4f7ffffe, v3
	v_cvt_u32_f32_e32 v3, v3
	v_mul_lo_u32 v12, s50, v3
	v_mul_hi_u32 v12, v3, v12
	v_add_u32_e32 v3, v3, v12
	v_mul_hi_u32 v3, v10, v3
	v_mul_lo_u32 v12, v3, s46
	v_add_u32_e32 v13, 1, v3
	v_sub_u32_e32 v12, v10, v12
	v_subrev_u32_e32 v14, s46, v12
	v_cmp_le_u32_e32 vcc, s46, v12
	v_cndmask_b32_e32 v12, v12, v14, vcc
	v_cndmask_b32_e32 v3, v3, v13, vcc
	v_add_u32_e32 v13, 1, v3
	v_cmp_le_u32_e32 vcc, s46, v12
	v_cndmask_b32_e32 v12, v3, v13, vcc
	v_mov_b32_e32 v13, v2
.LBB74_30:                              ;   in Loop: Header=BB74_22 Depth=2
	s_or_b64 exec, exec, s[0:1]
	s_load_dwordx2 s[50:51], s[40:41], 0x8
	s_load_dwordx2 s[52:53], s[38:39], 0x10
                                        ; implicit-def: $vgpr14_vgpr15
	s_waitcnt lgkmcnt(0)
	v_or_b32_e32 v3, s51, v13
	v_cmp_ne_u64_e32 vcc, 0, v[2:3]
	s_and_saveexec_b64 s[0:1], vcc
	s_xor_b64 s[54:55], exec, s[0:1]
	s_cbranch_execz .LBB74_32
; %bb.31:                               ;   in Loop: Header=BB74_22 Depth=2
	s_ashr_i32 s56, s51, 31
	s_add_u32 s0, s50, s56
	s_mov_b32 s57, s56
	s_addc_u32 s1, s51, s56
	s_xor_b64 s[58:59], s[0:1], s[56:57]
	v_cvt_f32_u32_e32 v3, s58
	v_cvt_f32_u32_e32 v14, s59
	s_sub_u32 s57, 0, s58
	s_subb_u32 s60, 0, s59
	v_mac_f32_e32 v3, 0x4f800000, v14
	v_rcp_f32_e32 v3, v3
	v_mul_f32_e32 v3, 0x5f7ffffc, v3
	v_mul_f32_e32 v14, 0x2f800000, v3
	v_trunc_f32_e32 v14, v14
	v_mac_f32_e32 v3, 0xcf800000, v14
	v_cvt_u32_f32_e32 v14, v14
	v_cvt_u32_f32_e32 v3, v3
	v_readfirstlane_b32 s61, v14
	v_readfirstlane_b32 s0, v3
	s_mul_i32 s1, s57, s61
	s_mul_hi_u32 s63, s57, s0
	s_mul_i32 s62, s60, s0
	s_add_i32 s1, s63, s1
	s_add_i32 s1, s1, s62
	s_mul_i32 s68, s57, s0
	s_mul_i32 s63, s0, s1
	s_mul_hi_u32 s69, s0, s68
	s_mul_hi_u32 s62, s0, s1
	s_add_u32 s63, s69, s63
	s_addc_u32 s62, 0, s62
	s_mul_hi_u32 s70, s61, s68
	s_mul_i32 s68, s61, s68
	s_add_u32 s63, s63, s68
	s_mul_hi_u32 s69, s61, s1
	s_addc_u32 s62, s62, s70
	s_addc_u32 s63, s69, 0
	s_mul_i32 s1, s61, s1
	s_add_u32 s1, s62, s1
	s_addc_u32 s62, 0, s63
	s_add_u32 s63, s0, s1
	s_cselect_b64 s[0:1], -1, 0
	s_cmp_lg_u64 s[0:1], 0
	s_addc_u32 s61, s61, s62
	s_mul_i32 s0, s57, s61
	s_mul_hi_u32 s1, s57, s63
	s_add_i32 s0, s1, s0
	s_mul_i32 s60, s60, s63
	s_add_i32 s0, s0, s60
	s_mul_i32 s57, s57, s63
	s_mul_hi_u32 s60, s61, s57
	s_mul_i32 s62, s61, s57
	s_mul_i32 s69, s63, s0
	s_mul_hi_u32 s57, s63, s57
	s_mul_hi_u32 s68, s63, s0
	s_add_u32 s57, s57, s69
	s_addc_u32 s68, 0, s68
	s_add_u32 s57, s57, s62
	s_mul_hi_u32 s1, s61, s0
	s_addc_u32 s57, s68, s60
	s_addc_u32 s1, s1, 0
	s_mul_i32 s0, s61, s0
	s_add_u32 s0, s57, s0
	s_addc_u32 s57, 0, s1
	s_add_u32 s60, s63, s0
	s_cselect_b64 s[0:1], -1, 0
	v_ashrrev_i32_e32 v3, 31, v13
	s_cmp_lg_u64 s[0:1], 0
	v_add_co_u32_e32 v14, vcc, v12, v3
	s_addc_u32 s57, s61, s57
	v_xor_b32_e32 v20, v14, v3
	v_mad_u64_u32 v[14:15], s[0:1], v20, s57, 0
	v_mul_hi_u32 v17, v20, s60
	v_addc_co_u32_e32 v16, vcc, v13, v3, vcc
	v_xor_b32_e32 v21, v16, v3
	v_add_co_u32_e32 v22, vcc, v17, v14
	v_addc_co_u32_e32 v23, vcc, 0, v15, vcc
	v_mad_u64_u32 v[14:15], s[0:1], v21, s60, 0
	v_mad_u64_u32 v[16:17], s[0:1], v21, s57, 0
	v_add_co_u32_e32 v14, vcc, v22, v14
	v_addc_co_u32_e32 v14, vcc, v23, v15, vcc
	v_addc_co_u32_e32 v15, vcc, 0, v17, vcc
	v_add_co_u32_e32 v16, vcc, v14, v16
	v_addc_co_u32_e32 v17, vcc, 0, v15, vcc
	v_mul_lo_u32 v22, s59, v16
	v_mul_lo_u32 v23, s58, v17
	v_mad_u64_u32 v[14:15], s[0:1], s58, v16, 0
	v_xor_b32_e32 v3, s56, v3
	v_add3_u32 v15, v15, v23, v22
	v_sub_u32_e32 v22, v21, v15
	v_mov_b32_e32 v23, s59
	v_sub_co_u32_e32 v14, vcc, v20, v14
	v_subb_co_u32_e64 v20, s[0:1], v22, v23, vcc
	v_subrev_co_u32_e64 v22, s[0:1], s58, v14
	v_subbrev_co_u32_e64 v20, s[0:1], 0, v20, s[0:1]
	v_cmp_le_u32_e64 s[0:1], s59, v20
	v_cndmask_b32_e64 v23, 0, -1, s[0:1]
	v_cmp_le_u32_e64 s[0:1], s58, v22
	v_cndmask_b32_e64 v22, 0, -1, s[0:1]
	v_cmp_eq_u32_e64 s[0:1], s59, v20
	v_cndmask_b32_e64 v20, v23, v22, s[0:1]
	v_add_co_u32_e64 v22, s[0:1], 2, v16
	v_subb_co_u32_e32 v15, vcc, v21, v15, vcc
	v_addc_co_u32_e64 v23, s[0:1], 0, v17, s[0:1]
	v_cmp_le_u32_e32 vcc, s59, v15
	v_add_co_u32_e64 v24, s[0:1], 1, v16
	v_cndmask_b32_e64 v21, 0, -1, vcc
	v_cmp_le_u32_e32 vcc, s58, v14
	v_addc_co_u32_e64 v25, s[0:1], 0, v17, s[0:1]
	v_cndmask_b32_e64 v14, 0, -1, vcc
	v_cmp_eq_u32_e32 vcc, s59, v15
	v_cmp_ne_u32_e64 s[0:1], 0, v20
	v_cndmask_b32_e32 v14, v21, v14, vcc
	v_cndmask_b32_e64 v20, v25, v23, s[0:1]
	v_cmp_ne_u32_e32 vcc, 0, v14
	v_cndmask_b32_e64 v15, v24, v22, s[0:1]
	v_cndmask_b32_e32 v14, v17, v20, vcc
	v_cndmask_b32_e32 v15, v16, v15, vcc
	v_xor_b32_e32 v16, v14, v3
	v_xor_b32_e32 v14, v15, v3
	v_sub_co_u32_e32 v14, vcc, v14, v3
	v_subb_co_u32_e32 v15, vcc, v16, v3, vcc
.LBB74_32:                              ;   in Loop: Header=BB74_22 Depth=2
	s_andn2_saveexec_b64 s[0:1], s[54:55]
	s_cbranch_execz .LBB74_34
; %bb.33:                               ;   in Loop: Header=BB74_22 Depth=2
	v_cvt_f32_u32_e32 v3, s50
	s_sub_i32 s54, 0, s50
	v_rcp_iflag_f32_e32 v3, v3
	v_mul_f32_e32 v3, 0x4f7ffffe, v3
	v_cvt_u32_f32_e32 v3, v3
	v_mul_lo_u32 v14, s54, v3
	v_mul_hi_u32 v14, v3, v14
	v_add_u32_e32 v3, v3, v14
	v_mul_hi_u32 v3, v12, v3
	v_mul_lo_u32 v14, v3, s50
	v_add_u32_e32 v15, 1, v3
	v_sub_u32_e32 v14, v12, v14
	v_subrev_u32_e32 v16, s50, v14
	v_cmp_le_u32_e32 vcc, s50, v14
	v_cndmask_b32_e32 v14, v14, v16, vcc
	v_cndmask_b32_e32 v3, v3, v15, vcc
	v_add_u32_e32 v15, 1, v3
	v_cmp_le_u32_e32 vcc, s50, v14
	v_cndmask_b32_e32 v14, v3, v15, vcc
	v_mov_b32_e32 v15, v2
.LBB74_34:                              ;   in Loop: Header=BB74_22 Depth=2
	s_or_b64 exec, exec, s[0:1]
	s_load_dwordx2 s[54:55], s[40:41], 0x0
	s_load_dwordx2 s[56:57], s[38:39], 0x8
                                        ; implicit-def: $vgpr16_vgpr17
	s_waitcnt lgkmcnt(0)
	v_or_b32_e32 v3, s55, v15
	v_cmp_ne_u64_e32 vcc, 0, v[2:3]
	s_and_saveexec_b64 s[0:1], vcc
	s_xor_b64 s[58:59], exec, s[0:1]
	s_cbranch_execz .LBB74_36
; %bb.35:                               ;   in Loop: Header=BB74_22 Depth=2
	s_ashr_i32 s60, s55, 31
	s_add_u32 s0, s54, s60
	s_mov_b32 s61, s60
	s_addc_u32 s1, s55, s60
	s_xor_b64 s[62:63], s[0:1], s[60:61]
	v_cvt_f32_u32_e32 v3, s62
	v_cvt_f32_u32_e32 v16, s63
	s_sub_u32 s61, 0, s62
	s_subb_u32 s68, 0, s63
	v_mac_f32_e32 v3, 0x4f800000, v16
	v_rcp_f32_e32 v3, v3
	v_mul_f32_e32 v3, 0x5f7ffffc, v3
	v_mul_f32_e32 v16, 0x2f800000, v3
	v_trunc_f32_e32 v16, v16
	v_mac_f32_e32 v3, 0xcf800000, v16
	v_cvt_u32_f32_e32 v16, v16
	v_cvt_u32_f32_e32 v3, v3
	v_readfirstlane_b32 s69, v16
	v_readfirstlane_b32 s0, v3
	s_mul_i32 s1, s61, s69
	s_mul_hi_u32 s71, s61, s0
	s_mul_i32 s70, s68, s0
	s_add_i32 s1, s71, s1
	s_add_i32 s1, s1, s70
	s_mul_i32 s72, s61, s0
	s_mul_i32 s71, s0, s1
	s_mul_hi_u32 s73, s0, s72
	s_mul_hi_u32 s70, s0, s1
	s_add_u32 s71, s73, s71
	s_addc_u32 s70, 0, s70
	s_mul_hi_u32 s74, s69, s72
	s_mul_i32 s72, s69, s72
	s_add_u32 s71, s71, s72
	s_mul_hi_u32 s73, s69, s1
	s_addc_u32 s70, s70, s74
	s_addc_u32 s71, s73, 0
	s_mul_i32 s1, s69, s1
	s_add_u32 s1, s70, s1
	s_addc_u32 s70, 0, s71
	s_add_u32 s71, s0, s1
	s_cselect_b64 s[0:1], -1, 0
	s_cmp_lg_u64 s[0:1], 0
	s_addc_u32 s69, s69, s70
	s_mul_i32 s0, s61, s69
	s_mul_hi_u32 s1, s61, s71
	s_add_i32 s0, s1, s0
	s_mul_i32 s68, s68, s71
	s_add_i32 s0, s0, s68
	s_mul_i32 s61, s61, s71
	s_mul_hi_u32 s68, s69, s61
	s_mul_i32 s70, s69, s61
	s_mul_i32 s73, s71, s0
	s_mul_hi_u32 s61, s71, s61
	s_mul_hi_u32 s72, s71, s0
	s_add_u32 s61, s61, s73
	s_addc_u32 s72, 0, s72
	s_add_u32 s61, s61, s70
	s_mul_hi_u32 s1, s69, s0
	s_addc_u32 s61, s72, s68
	s_addc_u32 s1, s1, 0
	s_mul_i32 s0, s69, s0
	s_add_u32 s0, s61, s0
	s_addc_u32 s61, 0, s1
	s_add_u32 s68, s71, s0
	s_cselect_b64 s[0:1], -1, 0
	v_ashrrev_i32_e32 v3, 31, v15
	s_cmp_lg_u64 s[0:1], 0
	v_add_co_u32_e32 v16, vcc, v14, v3
	s_addc_u32 s61, s69, s61
	v_xor_b32_e32 v22, v16, v3
	v_mad_u64_u32 v[16:17], s[0:1], v22, s61, 0
	v_mul_hi_u32 v21, v22, s68
	v_addc_co_u32_e32 v20, vcc, v15, v3, vcc
	v_xor_b32_e32 v23, v20, v3
	v_add_co_u32_e32 v24, vcc, v21, v16
	v_addc_co_u32_e32 v25, vcc, 0, v17, vcc
	v_mad_u64_u32 v[16:17], s[0:1], v23, s68, 0
	v_mad_u64_u32 v[20:21], s[0:1], v23, s61, 0
	v_add_co_u32_e32 v16, vcc, v24, v16
	v_addc_co_u32_e32 v16, vcc, v25, v17, vcc
	v_addc_co_u32_e32 v17, vcc, 0, v21, vcc
	v_add_co_u32_e32 v20, vcc, v16, v20
	v_addc_co_u32_e32 v21, vcc, 0, v17, vcc
	v_mul_lo_u32 v24, s63, v20
	v_mul_lo_u32 v25, s62, v21
	v_mad_u64_u32 v[16:17], s[0:1], s62, v20, 0
	v_xor_b32_e32 v3, s60, v3
	v_add3_u32 v17, v17, v25, v24
	v_sub_u32_e32 v24, v23, v17
	v_mov_b32_e32 v25, s63
	v_sub_co_u32_e32 v16, vcc, v22, v16
	v_subb_co_u32_e64 v22, s[0:1], v24, v25, vcc
	v_subrev_co_u32_e64 v24, s[0:1], s62, v16
	v_subbrev_co_u32_e64 v22, s[0:1], 0, v22, s[0:1]
	v_cmp_le_u32_e64 s[0:1], s63, v22
	v_cndmask_b32_e64 v25, 0, -1, s[0:1]
	v_cmp_le_u32_e64 s[0:1], s62, v24
	v_cndmask_b32_e64 v24, 0, -1, s[0:1]
	v_cmp_eq_u32_e64 s[0:1], s63, v22
	v_cndmask_b32_e64 v22, v25, v24, s[0:1]
	v_add_co_u32_e64 v24, s[0:1], 2, v20
	v_subb_co_u32_e32 v17, vcc, v23, v17, vcc
	v_addc_co_u32_e64 v25, s[0:1], 0, v21, s[0:1]
	v_cmp_le_u32_e32 vcc, s63, v17
	v_add_co_u32_e64 v26, s[0:1], 1, v20
	v_cndmask_b32_e64 v23, 0, -1, vcc
	v_cmp_le_u32_e32 vcc, s62, v16
	v_addc_co_u32_e64 v27, s[0:1], 0, v21, s[0:1]
	v_cndmask_b32_e64 v16, 0, -1, vcc
	v_cmp_eq_u32_e32 vcc, s63, v17
	v_cmp_ne_u32_e64 s[0:1], 0, v22
	v_cndmask_b32_e32 v16, v23, v16, vcc
	v_cndmask_b32_e64 v22, v27, v25, s[0:1]
	v_cmp_ne_u32_e32 vcc, 0, v16
	v_cndmask_b32_e64 v17, v26, v24, s[0:1]
	v_cndmask_b32_e32 v16, v21, v22, vcc
	v_cndmask_b32_e32 v17, v20, v17, vcc
	v_xor_b32_e32 v20, v16, v3
	v_xor_b32_e32 v16, v17, v3
	v_sub_co_u32_e32 v16, vcc, v16, v3
	v_subb_co_u32_e32 v17, vcc, v20, v3, vcc
.LBB74_36:                              ;   in Loop: Header=BB74_22 Depth=2
	s_andn2_saveexec_b64 s[0:1], s[58:59]
	s_cbranch_execz .LBB74_21
; %bb.37:                               ;   in Loop: Header=BB74_22 Depth=2
	v_cvt_f32_u32_e32 v3, s54
	s_sub_i32 s58, 0, s54
	v_rcp_iflag_f32_e32 v3, v3
	v_mul_f32_e32 v3, 0x4f7ffffe, v3
	v_cvt_u32_f32_e32 v3, v3
	v_mul_lo_u32 v16, s58, v3
	v_mul_hi_u32 v16, v3, v16
	v_add_u32_e32 v3, v3, v16
	v_mul_hi_u32 v3, v14, v3
	v_mul_lo_u32 v16, v3, s54
	v_add_u32_e32 v17, 1, v3
	v_sub_u32_e32 v16, v14, v16
	v_subrev_u32_e32 v20, s54, v16
	v_cmp_le_u32_e32 vcc, s54, v16
	v_cndmask_b32_e32 v16, v16, v20, vcc
	v_cndmask_b32_e32 v3, v3, v17, vcc
	v_add_u32_e32 v17, 1, v3
	v_cmp_le_u32_e32 vcc, s54, v16
	v_cndmask_b32_e32 v16, v3, v17, vcc
	v_mov_b32_e32 v17, v2
	s_branch .LBB74_21
.LBB74_38:                              ;   in Loop: Header=BB74_3 Depth=1
	s_load_dwordx2 s[0:1], s[22:23], 0x0
	s_waitcnt lgkmcnt(0)
	v_cmp_gt_i64_e32 vcc, s[0:1], v[4:5]
	s_and_b64 exec, exec, vcc
	s_cbranch_execz .LBB74_2
; %bb.39:                               ;   in Loop: Header=BB74_3 Depth=1
	v_lshlrev_b64 v[6:7], 3, v[6:7]
	v_mov_b32_e32 v3, s13
	v_add_co_u32_e32 v6, vcc, s12, v6
	v_addc_co_u32_e32 v7, vcc, v3, v7, vcc
	v_add_co_u32_e32 v4, vcc, 1, v4
	v_addc_co_u32_e32 v5, vcc, 0, v5, vcc
	v_cmp_gt_i64_e32 vcc, s[0:1], v[4:5]
	v_sub_co_u32_e64 v4, s[0:1], v4, v18
	v_subb_co_u32_e64 v5, s[0:1], v5, v19, s[0:1]
	v_cmp_gt_i64_e64 s[0:1], s[8:9], v[4:5]
	v_mov_b32_e32 v3, v2
	s_and_b64 s[0:1], vcc, s[0:1]
	global_store_dwordx2 v[6:7], v[2:3], off
	s_and_b64 exec, exec, s[0:1]
	s_cbranch_execz .LBB74_2
; %bb.40:                               ;   in Loop: Header=BB74_3 Depth=1
	s_lshl_b64 s[0:1], s[2:3], 3
	v_mov_b32_e32 v5, s1
	v_add_co_u32_e32 v4, vcc, s0, v6
	v_addc_co_u32_e32 v5, vcc, v7, v5, vcc
	global_store_dwordx2 v[4:5], v[2:3], off
	s_branch .LBB74_2
.LBB74_41:
	s_endpgm
	.section	.rodata,"a",@progbits
	.p2align	6, 0x0
	.amdhsa_kernel _ZN2at6native16triu_tril_kernelIdlLb1ELi2ELb1EEEvNS_4cuda6detail10TensorInfoIT_T0_EENS4_IKS5_S6_EEllS6_
		.amdhsa_group_segment_fixed_size 0
		.amdhsa_private_segment_fixed_size 0
		.amdhsa_kernarg_size 1112
		.amdhsa_user_sgpr_count 6
		.amdhsa_user_sgpr_private_segment_buffer 1
		.amdhsa_user_sgpr_dispatch_ptr 0
		.amdhsa_user_sgpr_queue_ptr 0
		.amdhsa_user_sgpr_kernarg_segment_ptr 1
		.amdhsa_user_sgpr_dispatch_id 0
		.amdhsa_user_sgpr_flat_scratch_init 0
		.amdhsa_user_sgpr_private_segment_size 0
		.amdhsa_uses_dynamic_stack 0
		.amdhsa_system_sgpr_private_segment_wavefront_offset 0
		.amdhsa_system_sgpr_workgroup_id_x 1
		.amdhsa_system_sgpr_workgroup_id_y 0
		.amdhsa_system_sgpr_workgroup_id_z 0
		.amdhsa_system_sgpr_workgroup_info 0
		.amdhsa_system_vgpr_workitem_id 0
		.amdhsa_next_free_vgpr 28
		.amdhsa_next_free_sgpr 75
		.amdhsa_reserve_vcc 1
		.amdhsa_reserve_flat_scratch 0
		.amdhsa_float_round_mode_32 0
		.amdhsa_float_round_mode_16_64 0
		.amdhsa_float_denorm_mode_32 3
		.amdhsa_float_denorm_mode_16_64 3
		.amdhsa_dx10_clamp 1
		.amdhsa_ieee_mode 1
		.amdhsa_fp16_overflow 0
		.amdhsa_exception_fp_ieee_invalid_op 0
		.amdhsa_exception_fp_denorm_src 0
		.amdhsa_exception_fp_ieee_div_zero 0
		.amdhsa_exception_fp_ieee_overflow 0
		.amdhsa_exception_fp_ieee_underflow 0
		.amdhsa_exception_fp_ieee_inexact 0
		.amdhsa_exception_int_div_zero 0
	.end_amdhsa_kernel
	.section	.text._ZN2at6native16triu_tril_kernelIdlLb1ELi2ELb1EEEvNS_4cuda6detail10TensorInfoIT_T0_EENS4_IKS5_S6_EEllS6_,"axG",@progbits,_ZN2at6native16triu_tril_kernelIdlLb1ELi2ELb1EEEvNS_4cuda6detail10TensorInfoIT_T0_EENS4_IKS5_S6_EEllS6_,comdat
.Lfunc_end74:
	.size	_ZN2at6native16triu_tril_kernelIdlLb1ELi2ELb1EEEvNS_4cuda6detail10TensorInfoIT_T0_EENS4_IKS5_S6_EEllS6_, .Lfunc_end74-_ZN2at6native16triu_tril_kernelIdlLb1ELi2ELb1EEEvNS_4cuda6detail10TensorInfoIT_T0_EENS4_IKS5_S6_EEllS6_
                                        ; -- End function
	.set _ZN2at6native16triu_tril_kernelIdlLb1ELi2ELb1EEEvNS_4cuda6detail10TensorInfoIT_T0_EENS4_IKS5_S6_EEllS6_.num_vgpr, 28
	.set _ZN2at6native16triu_tril_kernelIdlLb1ELi2ELb1EEEvNS_4cuda6detail10TensorInfoIT_T0_EENS4_IKS5_S6_EEllS6_.num_agpr, 0
	.set _ZN2at6native16triu_tril_kernelIdlLb1ELi2ELb1EEEvNS_4cuda6detail10TensorInfoIT_T0_EENS4_IKS5_S6_EEllS6_.numbered_sgpr, 75
	.set _ZN2at6native16triu_tril_kernelIdlLb1ELi2ELb1EEEvNS_4cuda6detail10TensorInfoIT_T0_EENS4_IKS5_S6_EEllS6_.num_named_barrier, 0
	.set _ZN2at6native16triu_tril_kernelIdlLb1ELi2ELb1EEEvNS_4cuda6detail10TensorInfoIT_T0_EENS4_IKS5_S6_EEllS6_.private_seg_size, 0
	.set _ZN2at6native16triu_tril_kernelIdlLb1ELi2ELb1EEEvNS_4cuda6detail10TensorInfoIT_T0_EENS4_IKS5_S6_EEllS6_.uses_vcc, 1
	.set _ZN2at6native16triu_tril_kernelIdlLb1ELi2ELb1EEEvNS_4cuda6detail10TensorInfoIT_T0_EENS4_IKS5_S6_EEllS6_.uses_flat_scratch, 0
	.set _ZN2at6native16triu_tril_kernelIdlLb1ELi2ELb1EEEvNS_4cuda6detail10TensorInfoIT_T0_EENS4_IKS5_S6_EEllS6_.has_dyn_sized_stack, 0
	.set _ZN2at6native16triu_tril_kernelIdlLb1ELi2ELb1EEEvNS_4cuda6detail10TensorInfoIT_T0_EENS4_IKS5_S6_EEllS6_.has_recursion, 0
	.set _ZN2at6native16triu_tril_kernelIdlLb1ELi2ELb1EEEvNS_4cuda6detail10TensorInfoIT_T0_EENS4_IKS5_S6_EEllS6_.has_indirect_call, 0
	.section	.AMDGPU.csdata,"",@progbits
; Kernel info:
; codeLenInByte = 6444
; TotalNumSgprs: 79
; NumVgprs: 28
; ScratchSize: 0
; MemoryBound: 0
; FloatMode: 240
; IeeeMode: 1
; LDSByteSize: 0 bytes/workgroup (compile time only)
; SGPRBlocks: 9
; VGPRBlocks: 6
; NumSGPRsForWavesPerEU: 79
; NumVGPRsForWavesPerEU: 28
; Occupancy: 9
; WaveLimiterHint : 0
; COMPUTE_PGM_RSRC2:SCRATCH_EN: 0
; COMPUTE_PGM_RSRC2:USER_SGPR: 6
; COMPUTE_PGM_RSRC2:TRAP_HANDLER: 0
; COMPUTE_PGM_RSRC2:TGID_X_EN: 1
; COMPUTE_PGM_RSRC2:TGID_Y_EN: 0
; COMPUTE_PGM_RSRC2:TGID_Z_EN: 0
; COMPUTE_PGM_RSRC2:TIDIG_COMP_CNT: 0
	.section	.text._ZN2at6native16triu_tril_kernelIdlLb1ELi2ELb0EEEvNS_4cuda6detail10TensorInfoIT_T0_EENS4_IKS5_S6_EEllS6_,"axG",@progbits,_ZN2at6native16triu_tril_kernelIdlLb1ELi2ELb0EEEvNS_4cuda6detail10TensorInfoIT_T0_EENS4_IKS5_S6_EEllS6_,comdat
	.protected	_ZN2at6native16triu_tril_kernelIdlLb1ELi2ELb0EEEvNS_4cuda6detail10TensorInfoIT_T0_EENS4_IKS5_S6_EEllS6_ ; -- Begin function _ZN2at6native16triu_tril_kernelIdlLb1ELi2ELb0EEEvNS_4cuda6detail10TensorInfoIT_T0_EENS4_IKS5_S6_EEllS6_
	.globl	_ZN2at6native16triu_tril_kernelIdlLb1ELi2ELb0EEEvNS_4cuda6detail10TensorInfoIT_T0_EENS4_IKS5_S6_EEllS6_
	.p2align	8
	.type	_ZN2at6native16triu_tril_kernelIdlLb1ELi2ELb0EEEvNS_4cuda6detail10TensorInfoIT_T0_EENS4_IKS5_S6_EEllS6_,@function
_ZN2at6native16triu_tril_kernelIdlLb1ELi2ELb0EEEvNS_4cuda6detail10TensorInfoIT_T0_EENS4_IKS5_S6_EEllS6_: ; @_ZN2at6native16triu_tril_kernelIdlLb1ELi2ELb0EEEvNS_4cuda6detail10TensorInfoIT_T0_EENS4_IKS5_S6_EEllS6_
; %bb.0:
	s_load_dword s2, s[4:5], 0x364
	s_load_dwordx4 s[8:11], s[4:5], 0x340
	s_add_u32 s0, s4, 0x358
	v_mov_b32_e32 v2, 0
	s_addc_u32 s1, s5, 0
	s_waitcnt lgkmcnt(0)
	s_and_b32 s7, s2, 0xffff
	v_mov_b32_e32 v1, v2
	v_mov_b32_e32 v3, s6
	v_mad_u64_u32 v[0:1], s[2:3], s7, v3, v[0:1]
	v_lshlrev_b64 v[0:1], 1, v[0:1]
	v_cmp_gt_i64_e32 vcc, s[10:11], v[0:1]
	s_and_saveexec_b64 s[2:3], vcc
	s_cbranch_execz .LBB75_38
; %bb.1:
	s_load_dword s6, s[0:1], 0x0
	s_load_dword s24, s[4:5], 0x338
	s_add_u32 s33, s4, 0x1a0
	s_addc_u32 s62, s5, 0
	s_load_dwordx2 s[2:3], s[4:5], 0x1a0
	s_waitcnt lgkmcnt(0)
	s_mul_i32 s30, s6, s7
	s_ashr_i32 s25, s24, 31
	s_lshl_b64 s[0:1], s[24:25], 3
	s_add_u32 s20, s33, s0
	s_addc_u32 s21, s62, s1
	s_add_u32 s22, s20, -8
	s_addc_u32 s23, s21, -1
	s_add_u32 s0, s4, s0
	v_cmp_gt_i64_e64 s[6:7], s[24:25], 2
	s_addc_u32 s1, s5, s1
	s_add_i32 s24, s24, -3
	s_ashr_i32 s25, s24, 31
	s_lshl_b32 s63, s30, 1
	s_bitcmp0_b32 s24, 0
	s_load_dwordx4 s[12:15], s[22:23], 0x0
	s_load_dwordx4 s[16:19], s[20:21], 0xc0
	s_cselect_b64 s[30:31], -1, 0
	s_load_dwordx4 s[20:23], s[0:1], 0xc0
	s_lshl_b64 s[0:1], s[24:25], 3
	s_add_u32 s34, s33, s0
	s_addc_u32 s35, s62, s1
	s_add_u32 s36, s4, s0
	s_addc_u32 s37, s5, s1
	s_load_dwordx2 s[26:27], s[4:5], 0x350
	s_load_dwordx2 s[28:29], s[4:5], 0x0
	s_add_u32 s38, s24, -1
	s_addc_u32 s39, s25, -1
	s_cmp_lg_u32 s24, 0
	s_cselect_b64 s[40:41], -1, 0
	s_add_u32 s64, s4, 0xc8
	s_addc_u32 s65, s5, 0
	s_mov_b64 s[4:5], 0
	s_branch .LBB75_3
.LBB75_2:                               ;   in Loop: Header=BB75_3 Depth=1
	s_or_b64 exec, exec, s[0:1]
	v_add_co_u32_e32 v0, vcc, s63, v0
	v_addc_co_u32_e32 v1, vcc, 0, v1, vcc
	v_cmp_le_i64_e32 vcc, s[10:11], v[0:1]
	s_or_b64 s[4:5], vcc, s[4:5]
	s_andn2_b64 exec, exec, s[4:5]
	s_cbranch_execz .LBB75_38
.LBB75_3:                               ; =>This Loop Header: Depth=1
                                        ;     Child Loop BB75_21 Depth 2
	s_waitcnt lgkmcnt(0)
	v_or_b32_e32 v3, s27, v1
	v_cmp_ne_u64_e32 vcc, 0, v[2:3]
                                        ; implicit-def: $vgpr6_vgpr7
	s_and_saveexec_b64 s[0:1], vcc
	s_xor_b64 s[42:43], exec, s[0:1]
	s_cbranch_execz .LBB75_5
; %bb.4:                                ;   in Loop: Header=BB75_3 Depth=1
	s_ashr_i32 s44, s27, 31
	s_add_u32 s0, s26, s44
	s_mov_b32 s45, s44
	s_addc_u32 s1, s27, s44
	s_xor_b64 s[46:47], s[0:1], s[44:45]
	v_cvt_f32_u32_e32 v3, s46
	v_cvt_f32_u32_e32 v4, s47
	s_sub_u32 s45, 0, s46
	s_subb_u32 s48, 0, s47
	v_ashrrev_i32_e32 v7, 31, v1
	v_mac_f32_e32 v3, 0x4f800000, v4
	v_rcp_f32_e32 v3, v3
	v_mul_f32_e32 v3, 0x5f7ffffc, v3
	v_mul_f32_e32 v4, 0x2f800000, v3
	v_trunc_f32_e32 v4, v4
	v_mac_f32_e32 v3, 0xcf800000, v4
	v_cvt_u32_f32_e32 v4, v4
	v_cvt_u32_f32_e32 v3, v3
	v_readfirstlane_b32 s49, v4
	v_readfirstlane_b32 s0, v3
	s_mul_i32 s1, s45, s49
	s_mul_hi_u32 s51, s45, s0
	s_mul_i32 s50, s48, s0
	s_add_i32 s1, s51, s1
	s_add_i32 s1, s1, s50
	s_mul_i32 s52, s45, s0
	s_mul_i32 s51, s0, s1
	s_mul_hi_u32 s53, s0, s52
	s_mul_hi_u32 s50, s0, s1
	s_add_u32 s51, s53, s51
	s_addc_u32 s50, 0, s50
	s_mul_hi_u32 s54, s49, s52
	s_mul_i32 s52, s49, s52
	s_add_u32 s51, s51, s52
	s_mul_hi_u32 s53, s49, s1
	s_addc_u32 s50, s50, s54
	s_addc_u32 s51, s53, 0
	s_mul_i32 s1, s49, s1
	s_add_u32 s1, s50, s1
	s_addc_u32 s50, 0, s51
	s_add_u32 s51, s0, s1
	s_cselect_b64 s[0:1], -1, 0
	s_cmp_lg_u64 s[0:1], 0
	s_addc_u32 s49, s49, s50
	s_mul_i32 s0, s45, s49
	s_mul_hi_u32 s1, s45, s51
	s_add_i32 s0, s1, s0
	s_mul_i32 s48, s48, s51
	s_add_i32 s0, s0, s48
	s_mul_i32 s45, s45, s51
	s_mul_hi_u32 s48, s49, s45
	s_mul_i32 s50, s49, s45
	s_mul_i32 s53, s51, s0
	s_mul_hi_u32 s45, s51, s45
	s_mul_hi_u32 s52, s51, s0
	s_add_u32 s45, s45, s53
	s_addc_u32 s52, 0, s52
	s_add_u32 s45, s45, s50
	s_mul_hi_u32 s1, s49, s0
	s_addc_u32 s45, s52, s48
	s_addc_u32 s1, s1, 0
	s_mul_i32 s0, s49, s0
	s_add_u32 s0, s45, s0
	s_addc_u32 s45, 0, s1
	s_add_u32 s48, s51, s0
	s_cselect_b64 s[0:1], -1, 0
	s_cmp_lg_u64 s[0:1], 0
	v_add_co_u32_e32 v3, vcc, v0, v7
	s_addc_u32 s45, s49, s45
	v_xor_b32_e32 v8, v3, v7
	v_mad_u64_u32 v[3:4], s[0:1], v8, s45, 0
	v_mul_hi_u32 v6, v8, s48
	v_addc_co_u32_e32 v5, vcc, v1, v7, vcc
	v_xor_b32_e32 v9, v5, v7
	v_add_co_u32_e32 v10, vcc, v6, v3
	v_addc_co_u32_e32 v11, vcc, 0, v4, vcc
	v_mad_u64_u32 v[3:4], s[0:1], v9, s48, 0
	v_mad_u64_u32 v[5:6], s[0:1], v9, s45, 0
	v_add_co_u32_e32 v3, vcc, v10, v3
	v_addc_co_u32_e32 v3, vcc, v11, v4, vcc
	v_addc_co_u32_e32 v4, vcc, 0, v6, vcc
	v_add_co_u32_e32 v5, vcc, v3, v5
	v_addc_co_u32_e32 v6, vcc, 0, v4, vcc
	v_mul_lo_u32 v10, s47, v5
	v_mul_lo_u32 v11, s46, v6
	v_mad_u64_u32 v[3:4], s[0:1], s46, v5, 0
	v_add3_u32 v4, v4, v11, v10
	v_sub_u32_e32 v10, v9, v4
	v_mov_b32_e32 v11, s47
	v_sub_co_u32_e32 v3, vcc, v8, v3
	v_subb_co_u32_e64 v8, s[0:1], v10, v11, vcc
	v_subrev_co_u32_e64 v10, s[0:1], s46, v3
	v_subbrev_co_u32_e64 v8, s[0:1], 0, v8, s[0:1]
	v_cmp_le_u32_e64 s[0:1], s47, v8
	v_cndmask_b32_e64 v11, 0, -1, s[0:1]
	v_cmp_le_u32_e64 s[0:1], s46, v10
	v_cndmask_b32_e64 v10, 0, -1, s[0:1]
	v_cmp_eq_u32_e64 s[0:1], s47, v8
	v_cndmask_b32_e64 v8, v11, v10, s[0:1]
	v_add_co_u32_e64 v10, s[0:1], 2, v5
	v_subb_co_u32_e32 v4, vcc, v9, v4, vcc
	v_addc_co_u32_e64 v11, s[0:1], 0, v6, s[0:1]
	v_cmp_le_u32_e32 vcc, s47, v4
	v_add_co_u32_e64 v12, s[0:1], 1, v5
	v_cndmask_b32_e64 v9, 0, -1, vcc
	v_cmp_le_u32_e32 vcc, s46, v3
	v_addc_co_u32_e64 v13, s[0:1], 0, v6, s[0:1]
	v_cndmask_b32_e64 v3, 0, -1, vcc
	v_cmp_eq_u32_e32 vcc, s47, v4
	v_cmp_ne_u32_e64 s[0:1], 0, v8
	v_cndmask_b32_e32 v3, v9, v3, vcc
	v_cmp_ne_u32_e32 vcc, 0, v3
	v_cndmask_b32_e64 v4, v12, v10, s[0:1]
	v_cndmask_b32_e64 v8, v13, v11, s[0:1]
	v_cndmask_b32_e32 v4, v5, v4, vcc
	v_xor_b32_e32 v5, s44, v7
	v_cndmask_b32_e32 v3, v6, v8, vcc
	v_xor_b32_e32 v4, v4, v5
	v_xor_b32_e32 v3, v3, v5
	v_sub_co_u32_e32 v6, vcc, v4, v5
	v_subb_co_u32_e32 v7, vcc, v3, v5, vcc
.LBB75_5:                               ;   in Loop: Header=BB75_3 Depth=1
	s_andn2_saveexec_b64 s[0:1], s[42:43]
	s_cbranch_execz .LBB75_7
; %bb.6:                                ;   in Loop: Header=BB75_3 Depth=1
	v_cvt_f32_u32_e32 v3, s26
	s_sub_i32 s42, 0, s26
	v_mov_b32_e32 v7, v2
	v_rcp_iflag_f32_e32 v3, v3
	v_mul_f32_e32 v3, 0x4f7ffffe, v3
	v_cvt_u32_f32_e32 v3, v3
	v_mul_lo_u32 v4, s42, v3
	v_mul_hi_u32 v4, v3, v4
	v_add_u32_e32 v3, v3, v4
	v_mul_hi_u32 v3, v0, v3
	v_mul_lo_u32 v4, v3, s26
	v_add_u32_e32 v5, 1, v3
	v_sub_u32_e32 v4, v0, v4
	v_subrev_u32_e32 v6, s26, v4
	v_cmp_le_u32_e32 vcc, s26, v4
	v_cndmask_b32_e32 v4, v4, v6, vcc
	v_cndmask_b32_e32 v3, v3, v5, vcc
	v_add_u32_e32 v5, 1, v3
	v_cmp_le_u32_e32 vcc, s26, v4
	v_cndmask_b32_e32 v6, v3, v5, vcc
.LBB75_7:                               ;   in Loop: Header=BB75_3 Depth=1
	s_or_b64 exec, exec, s[0:1]
	v_or_b32_e32 v3, s13, v7
	v_cmp_ne_u64_e32 vcc, 0, v[2:3]
                                        ; implicit-def: $vgpr10_vgpr11
	s_and_saveexec_b64 s[0:1], vcc
	s_xor_b64 s[42:43], exec, s[0:1]
	s_cbranch_execz .LBB75_9
; %bb.8:                                ;   in Loop: Header=BB75_3 Depth=1
	s_ashr_i32 s44, s13, 31
	s_add_u32 s0, s12, s44
	s_mov_b32 s45, s44
	s_addc_u32 s1, s13, s44
	s_xor_b64 s[46:47], s[0:1], s[44:45]
	v_cvt_f32_u32_e32 v3, s46
	v_cvt_f32_u32_e32 v4, s47
	s_sub_u32 s45, 0, s46
	s_subb_u32 s48, 0, s47
	v_ashrrev_i32_e32 v5, 31, v7
	v_mac_f32_e32 v3, 0x4f800000, v4
	v_rcp_f32_e32 v3, v3
	v_mul_f32_e32 v3, 0x5f7ffffc, v3
	v_mul_f32_e32 v4, 0x2f800000, v3
	v_trunc_f32_e32 v4, v4
	v_mac_f32_e32 v3, 0xcf800000, v4
	v_cvt_u32_f32_e32 v4, v4
	v_cvt_u32_f32_e32 v3, v3
	v_readfirstlane_b32 s49, v4
	v_readfirstlane_b32 s0, v3
	s_mul_i32 s1, s45, s49
	s_mul_hi_u32 s51, s45, s0
	s_mul_i32 s50, s48, s0
	s_add_i32 s1, s51, s1
	s_add_i32 s1, s1, s50
	s_mul_i32 s52, s45, s0
	s_mul_i32 s51, s0, s1
	s_mul_hi_u32 s53, s0, s52
	s_mul_hi_u32 s50, s0, s1
	s_add_u32 s51, s53, s51
	s_addc_u32 s50, 0, s50
	s_mul_hi_u32 s54, s49, s52
	s_mul_i32 s52, s49, s52
	s_add_u32 s51, s51, s52
	s_mul_hi_u32 s53, s49, s1
	s_addc_u32 s50, s50, s54
	s_addc_u32 s51, s53, 0
	s_mul_i32 s1, s49, s1
	s_add_u32 s1, s50, s1
	s_addc_u32 s50, 0, s51
	s_add_u32 s51, s0, s1
	s_cselect_b64 s[0:1], -1, 0
	s_cmp_lg_u64 s[0:1], 0
	s_addc_u32 s49, s49, s50
	s_mul_i32 s0, s45, s49
	s_mul_hi_u32 s1, s45, s51
	s_add_i32 s0, s1, s0
	s_mul_i32 s48, s48, s51
	s_add_i32 s0, s0, s48
	s_mul_i32 s45, s45, s51
	s_mul_hi_u32 s48, s49, s45
	s_mul_i32 s50, s49, s45
	s_mul_i32 s53, s51, s0
	s_mul_hi_u32 s45, s51, s45
	s_mul_hi_u32 s52, s51, s0
	s_add_u32 s45, s45, s53
	s_addc_u32 s52, 0, s52
	s_add_u32 s45, s45, s50
	s_mul_hi_u32 s1, s49, s0
	s_addc_u32 s45, s52, s48
	s_addc_u32 s1, s1, 0
	s_mul_i32 s0, s49, s0
	s_add_u32 s0, s45, s0
	s_addc_u32 s45, 0, s1
	s_add_u32 s48, s51, s0
	s_cselect_b64 s[0:1], -1, 0
	s_cmp_lg_u64 s[0:1], 0
	v_add_co_u32_e32 v3, vcc, v6, v5
	s_addc_u32 s45, s49, s45
	v_xor_b32_e32 v10, v3, v5
	v_mad_u64_u32 v[3:4], s[0:1], v10, s45, 0
	v_mul_hi_u32 v9, v10, s48
	v_addc_co_u32_e32 v8, vcc, v7, v5, vcc
	v_xor_b32_e32 v11, v8, v5
	v_add_co_u32_e32 v12, vcc, v9, v3
	v_addc_co_u32_e32 v13, vcc, 0, v4, vcc
	v_mad_u64_u32 v[3:4], s[0:1], v11, s48, 0
	v_mad_u64_u32 v[8:9], s[0:1], v11, s45, 0
	v_add_co_u32_e32 v3, vcc, v12, v3
	v_addc_co_u32_e32 v3, vcc, v13, v4, vcc
	v_addc_co_u32_e32 v4, vcc, 0, v9, vcc
	v_add_co_u32_e32 v8, vcc, v3, v8
	v_addc_co_u32_e32 v9, vcc, 0, v4, vcc
	v_mul_lo_u32 v12, s47, v8
	v_mul_lo_u32 v13, s46, v9
	v_mad_u64_u32 v[3:4], s[0:1], s46, v8, 0
	v_xor_b32_e32 v5, s44, v5
	v_add3_u32 v4, v4, v13, v12
	v_sub_u32_e32 v12, v11, v4
	v_mov_b32_e32 v13, s47
	v_sub_co_u32_e32 v3, vcc, v10, v3
	v_subb_co_u32_e64 v10, s[0:1], v12, v13, vcc
	v_subrev_co_u32_e64 v12, s[0:1], s46, v3
	v_subbrev_co_u32_e64 v10, s[0:1], 0, v10, s[0:1]
	v_cmp_le_u32_e64 s[0:1], s47, v10
	v_cndmask_b32_e64 v13, 0, -1, s[0:1]
	v_cmp_le_u32_e64 s[0:1], s46, v12
	v_cndmask_b32_e64 v12, 0, -1, s[0:1]
	v_cmp_eq_u32_e64 s[0:1], s47, v10
	v_cndmask_b32_e64 v10, v13, v12, s[0:1]
	v_add_co_u32_e64 v12, s[0:1], 2, v8
	v_subb_co_u32_e32 v4, vcc, v11, v4, vcc
	v_addc_co_u32_e64 v13, s[0:1], 0, v9, s[0:1]
	v_cmp_le_u32_e32 vcc, s47, v4
	v_add_co_u32_e64 v14, s[0:1], 1, v8
	v_cndmask_b32_e64 v11, 0, -1, vcc
	v_cmp_le_u32_e32 vcc, s46, v3
	v_addc_co_u32_e64 v15, s[0:1], 0, v9, s[0:1]
	v_cndmask_b32_e64 v3, 0, -1, vcc
	v_cmp_eq_u32_e32 vcc, s47, v4
	v_cmp_ne_u32_e64 s[0:1], 0, v10
	v_cndmask_b32_e32 v3, v11, v3, vcc
	v_cmp_ne_u32_e32 vcc, 0, v3
	v_cndmask_b32_e64 v4, v14, v12, s[0:1]
	v_cndmask_b32_e64 v10, v15, v13, s[0:1]
	v_cndmask_b32_e32 v4, v8, v4, vcc
	v_cndmask_b32_e32 v3, v9, v10, vcc
	v_xor_b32_e32 v4, v4, v5
	v_xor_b32_e32 v3, v3, v5
	v_sub_co_u32_e32 v10, vcc, v4, v5
	v_subb_co_u32_e32 v11, vcc, v3, v5, vcc
.LBB75_9:                               ;   in Loop: Header=BB75_3 Depth=1
	s_andn2_saveexec_b64 s[0:1], s[42:43]
	s_cbranch_execz .LBB75_11
; %bb.10:                               ;   in Loop: Header=BB75_3 Depth=1
	v_cvt_f32_u32_e32 v3, s12
	s_sub_i32 s42, 0, s12
	v_mov_b32_e32 v11, v2
	v_rcp_iflag_f32_e32 v3, v3
	v_mul_f32_e32 v3, 0x4f7ffffe, v3
	v_cvt_u32_f32_e32 v3, v3
	v_mul_lo_u32 v4, s42, v3
	v_mul_hi_u32 v4, v3, v4
	v_add_u32_e32 v3, v3, v4
	v_mul_hi_u32 v3, v6, v3
	v_mul_lo_u32 v4, v3, s12
	v_add_u32_e32 v5, 1, v3
	v_sub_u32_e32 v4, v6, v4
	v_subrev_u32_e32 v8, s12, v4
	v_cmp_le_u32_e32 vcc, s12, v4
	v_cndmask_b32_e32 v4, v4, v8, vcc
	v_cndmask_b32_e32 v3, v3, v5, vcc
	v_add_u32_e32 v5, 1, v3
	v_cmp_le_u32_e32 vcc, s12, v4
	v_cndmask_b32_e32 v10, v3, v5, vcc
.LBB75_11:                              ;   in Loop: Header=BB75_3 Depth=1
	s_or_b64 exec, exec, s[0:1]
	v_mul_lo_u32 v5, v7, s26
	v_mul_lo_u32 v8, v6, s27
	v_mad_u64_u32 v[3:4], s[0:1], v6, s26, 0
	v_mul_lo_u32 v12, v11, s12
	v_mul_lo_u32 v13, v10, s13
	v_add3_u32 v5, v4, v8, v5
	v_mad_u64_u32 v[8:9], s[0:1], v10, s12, 0
	v_sub_co_u32_e32 v4, vcc, v0, v3
	v_subb_co_u32_e32 v5, vcc, v1, v5, vcc
	v_add3_u32 v3, v9, v13, v12
	v_mul_lo_u32 v9, s19, v4
	v_mul_lo_u32 v14, s18, v5
	v_mad_u64_u32 v[12:13], s[0:1], s18, v4, 0
	v_sub_co_u32_e32 v16, vcc, v6, v8
	v_subb_co_u32_e32 v17, vcc, v7, v3, vcc
	v_add3_u32 v13, v13, v14, v9
	v_mul_lo_u32 v3, s23, v4
	v_mul_lo_u32 v14, s22, v5
	v_mad_u64_u32 v[6:7], s[0:1], s22, v4, 0
	v_mad_u64_u32 v[8:9], s[0:1], s16, v16, v[12:13]
	v_mul_lo_u32 v12, s16, v17
	v_mul_lo_u32 v13, s17, v16
	v_add3_u32 v7, v7, v14, v3
	v_mad_u64_u32 v[6:7], s[0:1], s20, v16, v[6:7]
	v_add3_u32 v9, v13, v9, v12
	v_mul_lo_u32 v3, s20, v17
	v_mul_lo_u32 v12, s21, v16
	s_andn2_b64 vcc, exec, s[6:7]
	v_add3_u32 v7, v12, v7, v3
	s_cbranch_vccnz .LBB75_29
; %bb.12:                               ;   in Loop: Header=BB75_3 Depth=1
	s_andn2_b64 vcc, exec, s[30:31]
	s_cbranch_vccnz .LBB75_18
; %bb.13:                               ;   in Loop: Header=BB75_3 Depth=1
	s_load_dwordx2 s[42:43], s[34:35], 0x8
                                        ; implicit-def: $vgpr12_vgpr13
	s_waitcnt lgkmcnt(0)
	v_or_b32_e32 v3, s43, v11
	v_cmp_ne_u64_e32 vcc, 0, v[2:3]
	s_and_saveexec_b64 s[0:1], vcc
	s_xor_b64 s[44:45], exec, s[0:1]
	s_cbranch_execz .LBB75_15
; %bb.14:                               ;   in Loop: Header=BB75_3 Depth=1
	s_ashr_i32 s46, s43, 31
	s_add_u32 s0, s42, s46
	s_mov_b32 s47, s46
	s_addc_u32 s1, s43, s46
	s_xor_b64 s[48:49], s[0:1], s[46:47]
	v_cvt_f32_u32_e32 v3, s48
	v_cvt_f32_u32_e32 v12, s49
	s_sub_u32 s47, 0, s48
	s_subb_u32 s50, 0, s49
	v_mac_f32_e32 v3, 0x4f800000, v12
	v_rcp_f32_e32 v3, v3
	v_mul_f32_e32 v3, 0x5f7ffffc, v3
	v_mul_f32_e32 v12, 0x2f800000, v3
	v_trunc_f32_e32 v12, v12
	v_mac_f32_e32 v3, 0xcf800000, v12
	v_cvt_u32_f32_e32 v12, v12
	v_cvt_u32_f32_e32 v3, v3
	v_readfirstlane_b32 s51, v12
	v_readfirstlane_b32 s0, v3
	s_mul_i32 s1, s47, s51
	s_mul_hi_u32 s53, s47, s0
	s_mul_i32 s52, s50, s0
	s_add_i32 s1, s53, s1
	s_add_i32 s1, s1, s52
	s_mul_i32 s54, s47, s0
	s_mul_i32 s53, s0, s1
	s_mul_hi_u32 s55, s0, s54
	s_mul_hi_u32 s52, s0, s1
	s_add_u32 s53, s55, s53
	s_addc_u32 s52, 0, s52
	s_mul_hi_u32 s56, s51, s54
	s_mul_i32 s54, s51, s54
	s_add_u32 s53, s53, s54
	s_mul_hi_u32 s55, s51, s1
	s_addc_u32 s52, s52, s56
	s_addc_u32 s53, s55, 0
	s_mul_i32 s1, s51, s1
	s_add_u32 s1, s52, s1
	s_addc_u32 s52, 0, s53
	s_add_u32 s53, s0, s1
	s_cselect_b64 s[0:1], -1, 0
	s_cmp_lg_u64 s[0:1], 0
	s_addc_u32 s51, s51, s52
	s_mul_i32 s0, s47, s51
	s_mul_hi_u32 s1, s47, s53
	s_add_i32 s0, s1, s0
	s_mul_i32 s50, s50, s53
	s_add_i32 s0, s0, s50
	s_mul_i32 s47, s47, s53
	s_mul_hi_u32 s50, s51, s47
	s_mul_i32 s52, s51, s47
	s_mul_i32 s55, s53, s0
	s_mul_hi_u32 s47, s53, s47
	s_mul_hi_u32 s54, s53, s0
	s_add_u32 s47, s47, s55
	s_addc_u32 s54, 0, s54
	s_add_u32 s47, s47, s52
	s_mul_hi_u32 s1, s51, s0
	s_addc_u32 s47, s54, s50
	s_addc_u32 s1, s1, 0
	s_mul_i32 s0, s51, s0
	s_add_u32 s0, s47, s0
	s_addc_u32 s47, 0, s1
	s_add_u32 s50, s53, s0
	s_cselect_b64 s[0:1], -1, 0
	v_ashrrev_i32_e32 v3, 31, v11
	s_cmp_lg_u64 s[0:1], 0
	v_add_co_u32_e32 v12, vcc, v10, v3
	s_addc_u32 s47, s51, s47
	v_xor_b32_e32 v18, v12, v3
	v_mad_u64_u32 v[12:13], s[0:1], v18, s47, 0
	v_mul_hi_u32 v15, v18, s50
	v_addc_co_u32_e32 v14, vcc, v11, v3, vcc
	v_xor_b32_e32 v19, v14, v3
	v_add_co_u32_e32 v20, vcc, v15, v12
	v_addc_co_u32_e32 v21, vcc, 0, v13, vcc
	v_mad_u64_u32 v[12:13], s[0:1], v19, s50, 0
	v_mad_u64_u32 v[14:15], s[0:1], v19, s47, 0
	v_add_co_u32_e32 v12, vcc, v20, v12
	v_addc_co_u32_e32 v12, vcc, v21, v13, vcc
	v_addc_co_u32_e32 v13, vcc, 0, v15, vcc
	v_add_co_u32_e32 v14, vcc, v12, v14
	v_addc_co_u32_e32 v15, vcc, 0, v13, vcc
	v_mul_lo_u32 v20, s49, v14
	v_mul_lo_u32 v21, s48, v15
	v_mad_u64_u32 v[12:13], s[0:1], s48, v14, 0
	v_xor_b32_e32 v3, s46, v3
	v_add3_u32 v13, v13, v21, v20
	v_sub_u32_e32 v20, v19, v13
	v_mov_b32_e32 v21, s49
	v_sub_co_u32_e32 v12, vcc, v18, v12
	v_subb_co_u32_e64 v18, s[0:1], v20, v21, vcc
	v_subrev_co_u32_e64 v20, s[0:1], s48, v12
	v_subbrev_co_u32_e64 v18, s[0:1], 0, v18, s[0:1]
	v_cmp_le_u32_e64 s[0:1], s49, v18
	v_cndmask_b32_e64 v21, 0, -1, s[0:1]
	v_cmp_le_u32_e64 s[0:1], s48, v20
	v_cndmask_b32_e64 v20, 0, -1, s[0:1]
	v_cmp_eq_u32_e64 s[0:1], s49, v18
	v_cndmask_b32_e64 v18, v21, v20, s[0:1]
	v_add_co_u32_e64 v20, s[0:1], 2, v14
	v_subb_co_u32_e32 v13, vcc, v19, v13, vcc
	v_addc_co_u32_e64 v21, s[0:1], 0, v15, s[0:1]
	v_cmp_le_u32_e32 vcc, s49, v13
	v_add_co_u32_e64 v22, s[0:1], 1, v14
	v_cndmask_b32_e64 v19, 0, -1, vcc
	v_cmp_le_u32_e32 vcc, s48, v12
	v_addc_co_u32_e64 v23, s[0:1], 0, v15, s[0:1]
	v_cndmask_b32_e64 v12, 0, -1, vcc
	v_cmp_eq_u32_e32 vcc, s49, v13
	v_cmp_ne_u32_e64 s[0:1], 0, v18
	v_cndmask_b32_e32 v12, v19, v12, vcc
	v_cndmask_b32_e64 v18, v23, v21, s[0:1]
	v_cmp_ne_u32_e32 vcc, 0, v12
	v_cndmask_b32_e64 v13, v22, v20, s[0:1]
	v_cndmask_b32_e32 v12, v15, v18, vcc
	v_cndmask_b32_e32 v13, v14, v13, vcc
	v_xor_b32_e32 v14, v12, v3
	v_xor_b32_e32 v12, v13, v3
	v_sub_co_u32_e32 v12, vcc, v12, v3
	v_subb_co_u32_e32 v13, vcc, v14, v3, vcc
.LBB75_15:                              ;   in Loop: Header=BB75_3 Depth=1
	s_andn2_saveexec_b64 s[0:1], s[44:45]
	s_cbranch_execz .LBB75_17
; %bb.16:                               ;   in Loop: Header=BB75_3 Depth=1
	v_cvt_f32_u32_e32 v3, s42
	s_sub_i32 s44, 0, s42
	v_rcp_iflag_f32_e32 v3, v3
	v_mul_f32_e32 v3, 0x4f7ffffe, v3
	v_cvt_u32_f32_e32 v3, v3
	v_mul_lo_u32 v12, s44, v3
	v_mul_hi_u32 v12, v3, v12
	v_add_u32_e32 v3, v3, v12
	v_mul_hi_u32 v3, v10, v3
	v_mul_lo_u32 v12, v3, s42
	v_add_u32_e32 v13, 1, v3
	v_sub_u32_e32 v12, v10, v12
	v_subrev_u32_e32 v14, s42, v12
	v_cmp_le_u32_e32 vcc, s42, v12
	v_cndmask_b32_e32 v12, v12, v14, vcc
	v_cndmask_b32_e32 v3, v3, v13, vcc
	v_add_u32_e32 v13, 1, v3
	v_cmp_le_u32_e32 vcc, s42, v12
	v_cndmask_b32_e32 v12, v3, v13, vcc
	v_mov_b32_e32 v13, v2
.LBB75_17:                              ;   in Loop: Header=BB75_3 Depth=1
	s_or_b64 exec, exec, s[0:1]
	v_mul_lo_u32 v3, v13, s42
	v_mul_lo_u32 v18, v12, s43
	v_mad_u64_u32 v[14:15], s[0:1], v12, s42, 0
	s_load_dwordx2 s[0:1], s[34:35], 0xd0
	s_load_dwordx2 s[42:43], s[36:37], 0xd0
	v_add3_u32 v3, v15, v18, v3
	v_sub_co_u32_e32 v10, vcc, v10, v14
	v_subb_co_u32_e32 v3, vcc, v11, v3, vcc
	s_waitcnt lgkmcnt(0)
	v_mul_lo_u32 v11, s0, v3
	v_mul_lo_u32 v14, s1, v10
	v_mad_u64_u32 v[8:9], s[0:1], s0, v10, v[8:9]
	v_mul_lo_u32 v3, s42, v3
	v_mul_lo_u32 v15, s43, v10
	v_mad_u64_u32 v[6:7], s[0:1], s42, v10, v[6:7]
	v_add3_u32 v9, v14, v9, v11
	v_mov_b32_e32 v10, v12
	v_add3_u32 v7, v15, v7, v3
	v_mov_b32_e32 v11, v13
	s_mov_b64 s[0:1], s[38:39]
	s_andn2_b64 vcc, exec, s[40:41]
	s_cbranch_vccz .LBB75_19
	s_branch .LBB75_29
.LBB75_18:                              ;   in Loop: Header=BB75_3 Depth=1
	s_mov_b64 s[0:1], s[24:25]
	s_andn2_b64 vcc, exec, s[40:41]
	s_cbranch_vccnz .LBB75_29
.LBB75_19:                              ;   in Loop: Header=BB75_3 Depth=1
	s_lshl_b64 s[44:45], s[0:1], 3
	s_add_u32 s42, s64, s44
	s_addc_u32 s43, s65, s45
	s_add_u32 s44, s33, s44
	s_addc_u32 s45, s62, s45
	;; [unrolled: 2-line block ×3, first 2 shown]
	s_branch .LBB75_21
.LBB75_20:                              ;   in Loop: Header=BB75_21 Depth=2
	s_or_b64 exec, exec, s[0:1]
	v_mul_lo_u32 v3, v13, s48
	v_mul_lo_u32 v20, v12, s49
	v_mad_u64_u32 v[18:19], s[0:1], v12, s48, 0
	v_mul_lo_u32 v21, v15, s50
	v_mul_lo_u32 v22, v14, s51
	v_add3_u32 v3, v19, v20, v3
	v_sub_co_u32_e32 v10, vcc, v10, v18
	v_subb_co_u32_e32 v3, vcc, v11, v3, vcc
	v_mul_lo_u32 v18, s54, v3
	v_mul_lo_u32 v19, s55, v10
	v_mad_u64_u32 v[8:9], s[0:1], s54, v10, v[8:9]
	v_mul_lo_u32 v3, s52, v3
	v_mul_lo_u32 v20, s53, v10
	v_mad_u64_u32 v[6:7], s[0:1], s52, v10, v[6:7]
	v_mad_u64_u32 v[10:11], s[0:1], v14, s50, 0
	s_load_dwordx2 s[0:1], s[44:45], 0xc8
	s_load_dwordx2 s[48:49], s[42:43], 0x0
	v_add3_u32 v7, v20, v7, v3
	v_add3_u32 v3, v11, v22, v21
	v_sub_co_u32_e32 v10, vcc, v12, v10
	v_add3_u32 v9, v19, v9, v18
	v_subb_co_u32_e32 v3, vcc, v13, v3, vcc
	s_add_u32 s42, s42, -16
	s_waitcnt lgkmcnt(0)
	v_mad_u64_u32 v[8:9], s[50:51], s0, v10, v[8:9]
	v_mul_lo_u32 v11, s0, v3
	v_mul_lo_u32 v12, s1, v10
	v_mad_u64_u32 v[6:7], s[0:1], s48, v10, v[6:7]
	v_mul_lo_u32 v3, s48, v3
	v_mul_lo_u32 v10, s49, v10
	s_addc_u32 s43, s43, -1
	s_add_u32 s44, s44, -16
	s_addc_u32 s45, s45, -1
	s_add_u32 s46, s46, -2
	v_add3_u32 v9, v12, v9, v11
	v_add3_u32 v7, v10, v7, v3
	s_addc_u32 s47, s47, -1
	v_mov_b32_e32 v10, v14
	s_cmp_eq_u64 s[46:47], 0
	v_mov_b32_e32 v11, v15
	s_cbranch_scc1 .LBB75_29
.LBB75_21:                              ;   Parent Loop BB75_3 Depth=1
                                        ; =>  This Inner Loop Header: Depth=2
	s_load_dwordx2 s[48:49], s[44:45], 0x8
                                        ; implicit-def: $vgpr12_vgpr13
	s_waitcnt lgkmcnt(0)
	v_or_b32_e32 v3, s49, v11
	v_cmp_ne_u64_e32 vcc, 0, v[2:3]
	s_and_saveexec_b64 s[0:1], vcc
	s_xor_b64 s[50:51], exec, s[0:1]
	s_cbranch_execz .LBB75_23
; %bb.22:                               ;   in Loop: Header=BB75_21 Depth=2
	s_ashr_i32 s52, s49, 31
	s_add_u32 s0, s48, s52
	s_mov_b32 s53, s52
	s_addc_u32 s1, s49, s52
	s_xor_b64 s[54:55], s[0:1], s[52:53]
	v_cvt_f32_u32_e32 v3, s54
	v_cvt_f32_u32_e32 v12, s55
	s_sub_u32 s53, 0, s54
	s_subb_u32 s56, 0, s55
	v_mac_f32_e32 v3, 0x4f800000, v12
	v_rcp_f32_e32 v3, v3
	v_mul_f32_e32 v3, 0x5f7ffffc, v3
	v_mul_f32_e32 v12, 0x2f800000, v3
	v_trunc_f32_e32 v12, v12
	v_mac_f32_e32 v3, 0xcf800000, v12
	v_cvt_u32_f32_e32 v12, v12
	v_cvt_u32_f32_e32 v3, v3
	v_readfirstlane_b32 s57, v12
	v_readfirstlane_b32 s0, v3
	s_mul_i32 s1, s53, s57
	s_mul_hi_u32 s59, s53, s0
	s_mul_i32 s58, s56, s0
	s_add_i32 s1, s59, s1
	s_add_i32 s1, s1, s58
	s_mul_i32 s60, s53, s0
	s_mul_i32 s59, s0, s1
	s_mul_hi_u32 s61, s0, s60
	s_mul_hi_u32 s58, s0, s1
	s_add_u32 s59, s61, s59
	s_addc_u32 s58, 0, s58
	s_mul_hi_u32 s66, s57, s60
	s_mul_i32 s60, s57, s60
	s_add_u32 s59, s59, s60
	s_mul_hi_u32 s61, s57, s1
	s_addc_u32 s58, s58, s66
	s_addc_u32 s59, s61, 0
	s_mul_i32 s1, s57, s1
	s_add_u32 s1, s58, s1
	s_addc_u32 s58, 0, s59
	s_add_u32 s59, s0, s1
	s_cselect_b64 s[0:1], -1, 0
	s_cmp_lg_u64 s[0:1], 0
	s_addc_u32 s57, s57, s58
	s_mul_i32 s0, s53, s57
	s_mul_hi_u32 s1, s53, s59
	s_add_i32 s0, s1, s0
	s_mul_i32 s56, s56, s59
	s_add_i32 s0, s0, s56
	s_mul_i32 s53, s53, s59
	s_mul_hi_u32 s56, s57, s53
	s_mul_i32 s58, s57, s53
	s_mul_i32 s61, s59, s0
	s_mul_hi_u32 s53, s59, s53
	s_mul_hi_u32 s60, s59, s0
	s_add_u32 s53, s53, s61
	s_addc_u32 s60, 0, s60
	s_add_u32 s53, s53, s58
	s_mul_hi_u32 s1, s57, s0
	s_addc_u32 s53, s60, s56
	s_addc_u32 s1, s1, 0
	s_mul_i32 s0, s57, s0
	s_add_u32 s0, s53, s0
	s_addc_u32 s53, 0, s1
	s_add_u32 s56, s59, s0
	s_cselect_b64 s[0:1], -1, 0
	v_ashrrev_i32_e32 v3, 31, v11
	s_cmp_lg_u64 s[0:1], 0
	v_add_co_u32_e32 v12, vcc, v10, v3
	s_addc_u32 s53, s57, s53
	v_xor_b32_e32 v18, v12, v3
	v_mad_u64_u32 v[12:13], s[0:1], v18, s53, 0
	v_mul_hi_u32 v15, v18, s56
	v_addc_co_u32_e32 v14, vcc, v11, v3, vcc
	v_xor_b32_e32 v19, v14, v3
	v_add_co_u32_e32 v20, vcc, v15, v12
	v_addc_co_u32_e32 v21, vcc, 0, v13, vcc
	v_mad_u64_u32 v[12:13], s[0:1], v19, s56, 0
	v_mad_u64_u32 v[14:15], s[0:1], v19, s53, 0
	v_add_co_u32_e32 v12, vcc, v20, v12
	v_addc_co_u32_e32 v12, vcc, v21, v13, vcc
	v_addc_co_u32_e32 v13, vcc, 0, v15, vcc
	v_add_co_u32_e32 v14, vcc, v12, v14
	v_addc_co_u32_e32 v15, vcc, 0, v13, vcc
	v_mul_lo_u32 v20, s55, v14
	v_mul_lo_u32 v21, s54, v15
	v_mad_u64_u32 v[12:13], s[0:1], s54, v14, 0
	v_xor_b32_e32 v3, s52, v3
	v_add3_u32 v13, v13, v21, v20
	v_sub_u32_e32 v20, v19, v13
	v_mov_b32_e32 v21, s55
	v_sub_co_u32_e32 v12, vcc, v18, v12
	v_subb_co_u32_e64 v18, s[0:1], v20, v21, vcc
	v_subrev_co_u32_e64 v20, s[0:1], s54, v12
	v_subbrev_co_u32_e64 v18, s[0:1], 0, v18, s[0:1]
	v_cmp_le_u32_e64 s[0:1], s55, v18
	v_cndmask_b32_e64 v21, 0, -1, s[0:1]
	v_cmp_le_u32_e64 s[0:1], s54, v20
	v_cndmask_b32_e64 v20, 0, -1, s[0:1]
	v_cmp_eq_u32_e64 s[0:1], s55, v18
	v_cndmask_b32_e64 v18, v21, v20, s[0:1]
	v_add_co_u32_e64 v20, s[0:1], 2, v14
	v_subb_co_u32_e32 v13, vcc, v19, v13, vcc
	v_addc_co_u32_e64 v21, s[0:1], 0, v15, s[0:1]
	v_cmp_le_u32_e32 vcc, s55, v13
	v_add_co_u32_e64 v22, s[0:1], 1, v14
	v_cndmask_b32_e64 v19, 0, -1, vcc
	v_cmp_le_u32_e32 vcc, s54, v12
	v_addc_co_u32_e64 v23, s[0:1], 0, v15, s[0:1]
	v_cndmask_b32_e64 v12, 0, -1, vcc
	v_cmp_eq_u32_e32 vcc, s55, v13
	v_cmp_ne_u32_e64 s[0:1], 0, v18
	v_cndmask_b32_e32 v12, v19, v12, vcc
	v_cndmask_b32_e64 v18, v23, v21, s[0:1]
	v_cmp_ne_u32_e32 vcc, 0, v12
	v_cndmask_b32_e64 v13, v22, v20, s[0:1]
	v_cndmask_b32_e32 v12, v15, v18, vcc
	v_cndmask_b32_e32 v13, v14, v13, vcc
	v_xor_b32_e32 v14, v12, v3
	v_xor_b32_e32 v12, v13, v3
	v_sub_co_u32_e32 v12, vcc, v12, v3
	v_subb_co_u32_e32 v13, vcc, v14, v3, vcc
.LBB75_23:                              ;   in Loop: Header=BB75_21 Depth=2
	s_andn2_saveexec_b64 s[0:1], s[50:51]
	s_cbranch_execz .LBB75_25
; %bb.24:                               ;   in Loop: Header=BB75_21 Depth=2
	v_cvt_f32_u32_e32 v3, s48
	s_sub_i32 s50, 0, s48
	v_rcp_iflag_f32_e32 v3, v3
	v_mul_f32_e32 v3, 0x4f7ffffe, v3
	v_cvt_u32_f32_e32 v3, v3
	v_mul_lo_u32 v12, s50, v3
	v_mul_hi_u32 v12, v3, v12
	v_add_u32_e32 v3, v3, v12
	v_mul_hi_u32 v3, v10, v3
	v_mul_lo_u32 v12, v3, s48
	v_add_u32_e32 v13, 1, v3
	v_sub_u32_e32 v12, v10, v12
	v_subrev_u32_e32 v14, s48, v12
	v_cmp_le_u32_e32 vcc, s48, v12
	v_cndmask_b32_e32 v12, v12, v14, vcc
	v_cndmask_b32_e32 v3, v3, v13, vcc
	v_add_u32_e32 v13, 1, v3
	v_cmp_le_u32_e32 vcc, s48, v12
	v_cndmask_b32_e32 v12, v3, v13, vcc
	v_mov_b32_e32 v13, v2
.LBB75_25:                              ;   in Loop: Header=BB75_21 Depth=2
	s_or_b64 exec, exec, s[0:1]
	s_load_dwordx2 s[50:51], s[44:45], 0x0
	s_load_dwordx2 s[54:55], s[44:45], 0xd0
	;; [unrolled: 1-line block ×3, first 2 shown]
                                        ; implicit-def: $vgpr14_vgpr15
	s_waitcnt lgkmcnt(0)
	v_or_b32_e32 v3, s51, v13
	v_cmp_ne_u64_e32 vcc, 0, v[2:3]
	s_and_saveexec_b64 s[0:1], vcc
	s_xor_b64 s[56:57], exec, s[0:1]
	s_cbranch_execz .LBB75_27
; %bb.26:                               ;   in Loop: Header=BB75_21 Depth=2
	s_ashr_i32 s58, s51, 31
	s_add_u32 s0, s50, s58
	s_mov_b32 s59, s58
	s_addc_u32 s1, s51, s58
	s_xor_b64 s[60:61], s[0:1], s[58:59]
	v_cvt_f32_u32_e32 v3, s60
	v_cvt_f32_u32_e32 v14, s61
	s_sub_u32 s59, 0, s60
	s_subb_u32 s66, 0, s61
	v_mac_f32_e32 v3, 0x4f800000, v14
	v_rcp_f32_e32 v3, v3
	v_mul_f32_e32 v3, 0x5f7ffffc, v3
	v_mul_f32_e32 v14, 0x2f800000, v3
	v_trunc_f32_e32 v14, v14
	v_mac_f32_e32 v3, 0xcf800000, v14
	v_cvt_u32_f32_e32 v14, v14
	v_cvt_u32_f32_e32 v3, v3
	v_readfirstlane_b32 s67, v14
	v_readfirstlane_b32 s0, v3
	s_mul_i32 s1, s59, s67
	s_mul_hi_u32 s69, s59, s0
	s_mul_i32 s68, s66, s0
	s_add_i32 s1, s69, s1
	s_add_i32 s1, s1, s68
	s_mul_i32 s70, s59, s0
	s_mul_i32 s69, s0, s1
	s_mul_hi_u32 s71, s0, s70
	s_mul_hi_u32 s68, s0, s1
	s_add_u32 s69, s71, s69
	s_addc_u32 s68, 0, s68
	s_mul_hi_u32 s72, s67, s70
	s_mul_i32 s70, s67, s70
	s_add_u32 s69, s69, s70
	s_mul_hi_u32 s71, s67, s1
	s_addc_u32 s68, s68, s72
	s_addc_u32 s69, s71, 0
	s_mul_i32 s1, s67, s1
	s_add_u32 s1, s68, s1
	s_addc_u32 s68, 0, s69
	s_add_u32 s69, s0, s1
	s_cselect_b64 s[0:1], -1, 0
	s_cmp_lg_u64 s[0:1], 0
	s_addc_u32 s67, s67, s68
	s_mul_i32 s0, s59, s67
	s_mul_hi_u32 s1, s59, s69
	s_add_i32 s0, s1, s0
	s_mul_i32 s66, s66, s69
	s_add_i32 s0, s0, s66
	s_mul_i32 s59, s59, s69
	s_mul_hi_u32 s66, s67, s59
	s_mul_i32 s68, s67, s59
	s_mul_i32 s71, s69, s0
	s_mul_hi_u32 s59, s69, s59
	s_mul_hi_u32 s70, s69, s0
	s_add_u32 s59, s59, s71
	s_addc_u32 s70, 0, s70
	s_add_u32 s59, s59, s68
	s_mul_hi_u32 s1, s67, s0
	s_addc_u32 s59, s70, s66
	s_addc_u32 s1, s1, 0
	s_mul_i32 s0, s67, s0
	s_add_u32 s0, s59, s0
	s_addc_u32 s59, 0, s1
	s_add_u32 s66, s69, s0
	s_cselect_b64 s[0:1], -1, 0
	v_ashrrev_i32_e32 v3, 31, v13
	s_cmp_lg_u64 s[0:1], 0
	v_add_co_u32_e32 v14, vcc, v12, v3
	s_addc_u32 s59, s67, s59
	v_xor_b32_e32 v20, v14, v3
	v_mad_u64_u32 v[14:15], s[0:1], v20, s59, 0
	v_mul_hi_u32 v19, v20, s66
	v_addc_co_u32_e32 v18, vcc, v13, v3, vcc
	v_xor_b32_e32 v21, v18, v3
	v_add_co_u32_e32 v22, vcc, v19, v14
	v_addc_co_u32_e32 v23, vcc, 0, v15, vcc
	v_mad_u64_u32 v[14:15], s[0:1], v21, s66, 0
	v_mad_u64_u32 v[18:19], s[0:1], v21, s59, 0
	v_add_co_u32_e32 v14, vcc, v22, v14
	v_addc_co_u32_e32 v14, vcc, v23, v15, vcc
	v_addc_co_u32_e32 v15, vcc, 0, v19, vcc
	v_add_co_u32_e32 v18, vcc, v14, v18
	v_addc_co_u32_e32 v19, vcc, 0, v15, vcc
	v_mul_lo_u32 v22, s61, v18
	v_mul_lo_u32 v23, s60, v19
	v_mad_u64_u32 v[14:15], s[0:1], s60, v18, 0
	v_xor_b32_e32 v3, s58, v3
	v_add3_u32 v15, v15, v23, v22
	v_sub_u32_e32 v22, v21, v15
	v_mov_b32_e32 v23, s61
	v_sub_co_u32_e32 v14, vcc, v20, v14
	v_subb_co_u32_e64 v20, s[0:1], v22, v23, vcc
	v_subrev_co_u32_e64 v22, s[0:1], s60, v14
	v_subbrev_co_u32_e64 v20, s[0:1], 0, v20, s[0:1]
	v_cmp_le_u32_e64 s[0:1], s61, v20
	v_cndmask_b32_e64 v23, 0, -1, s[0:1]
	v_cmp_le_u32_e64 s[0:1], s60, v22
	v_cndmask_b32_e64 v22, 0, -1, s[0:1]
	v_cmp_eq_u32_e64 s[0:1], s61, v20
	v_cndmask_b32_e64 v20, v23, v22, s[0:1]
	v_add_co_u32_e64 v22, s[0:1], 2, v18
	v_subb_co_u32_e32 v15, vcc, v21, v15, vcc
	v_addc_co_u32_e64 v23, s[0:1], 0, v19, s[0:1]
	v_cmp_le_u32_e32 vcc, s61, v15
	v_add_co_u32_e64 v24, s[0:1], 1, v18
	v_cndmask_b32_e64 v21, 0, -1, vcc
	v_cmp_le_u32_e32 vcc, s60, v14
	v_addc_co_u32_e64 v25, s[0:1], 0, v19, s[0:1]
	v_cndmask_b32_e64 v14, 0, -1, vcc
	v_cmp_eq_u32_e32 vcc, s61, v15
	v_cmp_ne_u32_e64 s[0:1], 0, v20
	v_cndmask_b32_e32 v14, v21, v14, vcc
	v_cndmask_b32_e64 v20, v25, v23, s[0:1]
	v_cmp_ne_u32_e32 vcc, 0, v14
	v_cndmask_b32_e64 v15, v24, v22, s[0:1]
	v_cndmask_b32_e32 v14, v19, v20, vcc
	v_cndmask_b32_e32 v15, v18, v15, vcc
	v_xor_b32_e32 v18, v14, v3
	v_xor_b32_e32 v14, v15, v3
	v_sub_co_u32_e32 v14, vcc, v14, v3
	v_subb_co_u32_e32 v15, vcc, v18, v3, vcc
.LBB75_27:                              ;   in Loop: Header=BB75_21 Depth=2
	s_andn2_saveexec_b64 s[0:1], s[56:57]
	s_cbranch_execz .LBB75_20
; %bb.28:                               ;   in Loop: Header=BB75_21 Depth=2
	v_cvt_f32_u32_e32 v3, s50
	s_sub_i32 s56, 0, s50
	v_rcp_iflag_f32_e32 v3, v3
	v_mul_f32_e32 v3, 0x4f7ffffe, v3
	v_cvt_u32_f32_e32 v3, v3
	v_mul_lo_u32 v14, s56, v3
	v_mul_hi_u32 v14, v3, v14
	v_add_u32_e32 v3, v3, v14
	v_mul_hi_u32 v3, v12, v3
	v_mul_lo_u32 v14, v3, s50
	v_add_u32_e32 v15, 1, v3
	v_sub_u32_e32 v14, v12, v14
	v_subrev_u32_e32 v18, s50, v14
	v_cmp_le_u32_e32 vcc, s50, v14
	v_cndmask_b32_e32 v14, v14, v18, vcc
	v_cndmask_b32_e32 v3, v3, v15, vcc
	v_add_u32_e32 v15, 1, v3
	v_cmp_le_u32_e32 vcc, s50, v14
	v_cndmask_b32_e32 v14, v3, v15, vcc
	v_mov_b32_e32 v15, v2
	s_branch .LBB75_20
.LBB75_29:                              ;   in Loop: Header=BB75_3 Depth=1
	v_sub_co_u32_e32 v10, vcc, v4, v16
	v_subb_co_u32_e32 v11, vcc, v5, v17, vcc
	v_add_co_u32_e32 v12, vcc, 2, v10
	v_addc_co_u32_e32 v13, vcc, 0, v11, vcc
	v_cmp_le_i64_e32 vcc, s[8:9], v[12:13]
	v_mov_b32_e32 v12, 0
	v_mov_b32_e32 v14, 0
	;; [unrolled: 1-line block ×4, first 2 shown]
	s_and_saveexec_b64 s[0:1], vcc
	s_cbranch_execz .LBB75_35
; %bb.30:                               ;   in Loop: Header=BB75_3 Depth=1
	v_cmp_gt_i64_e32 vcc, s[14:15], v[4:5]
	v_mov_b32_e32 v12, 0
	v_mov_b32_e32 v16, 0
	;; [unrolled: 1-line block ×4, first 2 shown]
	s_and_saveexec_b64 s[42:43], vcc
	s_cbranch_execz .LBB75_34
; %bb.31:                               ;   in Loop: Header=BB75_3 Depth=1
	v_lshlrev_b64 v[8:9], 3, v[8:9]
	v_mov_b32_e32 v3, s3
	v_add_co_u32_e32 v8, vcc, s2, v8
	v_addc_co_u32_e32 v9, vcc, v3, v9, vcc
	global_load_dwordx2 v[12:13], v[8:9], off
	v_add_co_u32_e32 v14, vcc, 1, v4
	v_addc_co_u32_e32 v15, vcc, 0, v5, vcc
	v_cmp_gt_i64_e32 vcc, s[14:15], v[14:15]
	v_mov_b32_e32 v16, 0
	v_mov_b32_e32 v17, 0
	s_and_saveexec_b64 s[44:45], vcc
	s_xor_b64 s[44:45], exec, s[44:45]
	s_cbranch_execz .LBB75_33
; %bb.32:                               ;   in Loop: Header=BB75_3 Depth=1
	s_lshl_b64 s[46:47], s[18:19], 3
	v_mov_b32_e32 v3, s47
	v_add_co_u32_e32 v8, vcc, s46, v8
	v_addc_co_u32_e32 v9, vcc, v9, v3, vcc
	global_load_dwordx2 v[16:17], v[8:9], off
.LBB75_33:                              ;   in Loop: Header=BB75_3 Depth=1
	s_or_b64 exec, exec, s[44:45]
.LBB75_34:                              ;   in Loop: Header=BB75_3 Depth=1
	s_or_b64 exec, exec, s[42:43]
	v_cmp_le_i64_e32 vcc, s[8:9], v[10:11]
	s_waitcnt vmcnt(0)
	v_cndmask_b32_e32 v15, 0, v13, vcc
	v_cndmask_b32_e32 v14, 0, v12, vcc
	v_add_co_u32_e32 v8, vcc, 1, v10
	v_addc_co_u32_e32 v9, vcc, 0, v11, vcc
	v_cmp_le_i64_e32 vcc, s[8:9], v[8:9]
	v_cndmask_b32_e32 v13, 0, v17, vcc
	v_cndmask_b32_e32 v12, 0, v16, vcc
.LBB75_35:                              ;   in Loop: Header=BB75_3 Depth=1
	s_or_b64 exec, exec, s[0:1]
	v_cmp_gt_i64_e32 vcc, s[14:15], v[4:5]
	s_and_saveexec_b64 s[0:1], vcc
	s_cbranch_execz .LBB75_2
; %bb.36:                               ;   in Loop: Header=BB75_3 Depth=1
	v_lshlrev_b64 v[6:7], 3, v[6:7]
	v_mov_b32_e32 v3, s29
	v_add_co_u32_e32 v6, vcc, s28, v6
	v_addc_co_u32_e32 v7, vcc, v3, v7, vcc
	v_add_co_u32_e32 v3, vcc, 1, v4
	v_addc_co_u32_e32 v4, vcc, 0, v5, vcc
	v_cmp_gt_i64_e32 vcc, s[14:15], v[3:4]
	global_store_dwordx2 v[6:7], v[14:15], off
	s_and_saveexec_b64 s[42:43], vcc
	s_xor_b64 s[42:43], exec, s[42:43]
	s_cbranch_execz .LBB75_2
; %bb.37:                               ;   in Loop: Header=BB75_3 Depth=1
	s_lshl_b64 s[42:43], s[22:23], 3
	v_mov_b32_e32 v4, s43
	v_add_co_u32_e32 v3, vcc, s42, v6
	v_addc_co_u32_e32 v4, vcc, v7, v4, vcc
	global_store_dwordx2 v[3:4], v[12:13], off
	s_branch .LBB75_2
.LBB75_38:
	s_endpgm
	.section	.rodata,"a",@progbits
	.p2align	6, 0x0
	.amdhsa_kernel _ZN2at6native16triu_tril_kernelIdlLb1ELi2ELb0EEEvNS_4cuda6detail10TensorInfoIT_T0_EENS4_IKS5_S6_EEllS6_
		.amdhsa_group_segment_fixed_size 0
		.amdhsa_private_segment_fixed_size 0
		.amdhsa_kernarg_size 1112
		.amdhsa_user_sgpr_count 6
		.amdhsa_user_sgpr_private_segment_buffer 1
		.amdhsa_user_sgpr_dispatch_ptr 0
		.amdhsa_user_sgpr_queue_ptr 0
		.amdhsa_user_sgpr_kernarg_segment_ptr 1
		.amdhsa_user_sgpr_dispatch_id 0
		.amdhsa_user_sgpr_flat_scratch_init 0
		.amdhsa_user_sgpr_private_segment_size 0
		.amdhsa_uses_dynamic_stack 0
		.amdhsa_system_sgpr_private_segment_wavefront_offset 0
		.amdhsa_system_sgpr_workgroup_id_x 1
		.amdhsa_system_sgpr_workgroup_id_y 0
		.amdhsa_system_sgpr_workgroup_id_z 0
		.amdhsa_system_sgpr_workgroup_info 0
		.amdhsa_system_vgpr_workitem_id 0
		.amdhsa_next_free_vgpr 26
		.amdhsa_next_free_sgpr 73
		.amdhsa_reserve_vcc 1
		.amdhsa_reserve_flat_scratch 0
		.amdhsa_float_round_mode_32 0
		.amdhsa_float_round_mode_16_64 0
		.amdhsa_float_denorm_mode_32 3
		.amdhsa_float_denorm_mode_16_64 3
		.amdhsa_dx10_clamp 1
		.amdhsa_ieee_mode 1
		.amdhsa_fp16_overflow 0
		.amdhsa_exception_fp_ieee_invalid_op 0
		.amdhsa_exception_fp_denorm_src 0
		.amdhsa_exception_fp_ieee_div_zero 0
		.amdhsa_exception_fp_ieee_overflow 0
		.amdhsa_exception_fp_ieee_underflow 0
		.amdhsa_exception_fp_ieee_inexact 0
		.amdhsa_exception_int_div_zero 0
	.end_amdhsa_kernel
	.section	.text._ZN2at6native16triu_tril_kernelIdlLb1ELi2ELb0EEEvNS_4cuda6detail10TensorInfoIT_T0_EENS4_IKS5_S6_EEllS6_,"axG",@progbits,_ZN2at6native16triu_tril_kernelIdlLb1ELi2ELb0EEEvNS_4cuda6detail10TensorInfoIT_T0_EENS4_IKS5_S6_EEllS6_,comdat
.Lfunc_end75:
	.size	_ZN2at6native16triu_tril_kernelIdlLb1ELi2ELb0EEEvNS_4cuda6detail10TensorInfoIT_T0_EENS4_IKS5_S6_EEllS6_, .Lfunc_end75-_ZN2at6native16triu_tril_kernelIdlLb1ELi2ELb0EEEvNS_4cuda6detail10TensorInfoIT_T0_EENS4_IKS5_S6_EEllS6_
                                        ; -- End function
	.set _ZN2at6native16triu_tril_kernelIdlLb1ELi2ELb0EEEvNS_4cuda6detail10TensorInfoIT_T0_EENS4_IKS5_S6_EEllS6_.num_vgpr, 26
	.set _ZN2at6native16triu_tril_kernelIdlLb1ELi2ELb0EEEvNS_4cuda6detail10TensorInfoIT_T0_EENS4_IKS5_S6_EEllS6_.num_agpr, 0
	.set _ZN2at6native16triu_tril_kernelIdlLb1ELi2ELb0EEEvNS_4cuda6detail10TensorInfoIT_T0_EENS4_IKS5_S6_EEllS6_.numbered_sgpr, 73
	.set _ZN2at6native16triu_tril_kernelIdlLb1ELi2ELb0EEEvNS_4cuda6detail10TensorInfoIT_T0_EENS4_IKS5_S6_EEllS6_.num_named_barrier, 0
	.set _ZN2at6native16triu_tril_kernelIdlLb1ELi2ELb0EEEvNS_4cuda6detail10TensorInfoIT_T0_EENS4_IKS5_S6_EEllS6_.private_seg_size, 0
	.set _ZN2at6native16triu_tril_kernelIdlLb1ELi2ELb0EEEvNS_4cuda6detail10TensorInfoIT_T0_EENS4_IKS5_S6_EEllS6_.uses_vcc, 1
	.set _ZN2at6native16triu_tril_kernelIdlLb1ELi2ELb0EEEvNS_4cuda6detail10TensorInfoIT_T0_EENS4_IKS5_S6_EEllS6_.uses_flat_scratch, 0
	.set _ZN2at6native16triu_tril_kernelIdlLb1ELi2ELb0EEEvNS_4cuda6detail10TensorInfoIT_T0_EENS4_IKS5_S6_EEllS6_.has_dyn_sized_stack, 0
	.set _ZN2at6native16triu_tril_kernelIdlLb1ELi2ELb0EEEvNS_4cuda6detail10TensorInfoIT_T0_EENS4_IKS5_S6_EEllS6_.has_recursion, 0
	.set _ZN2at6native16triu_tril_kernelIdlLb1ELi2ELb0EEEvNS_4cuda6detail10TensorInfoIT_T0_EENS4_IKS5_S6_EEllS6_.has_indirect_call, 0
	.section	.AMDGPU.csdata,"",@progbits
; Kernel info:
; codeLenInByte = 5032
; TotalNumSgprs: 77
; NumVgprs: 26
; ScratchSize: 0
; MemoryBound: 0
; FloatMode: 240
; IeeeMode: 1
; LDSByteSize: 0 bytes/workgroup (compile time only)
; SGPRBlocks: 9
; VGPRBlocks: 6
; NumSGPRsForWavesPerEU: 77
; NumVGPRsForWavesPerEU: 26
; Occupancy: 9
; WaveLimiterHint : 0
; COMPUTE_PGM_RSRC2:SCRATCH_EN: 0
; COMPUTE_PGM_RSRC2:USER_SGPR: 6
; COMPUTE_PGM_RSRC2:TRAP_HANDLER: 0
; COMPUTE_PGM_RSRC2:TGID_X_EN: 1
; COMPUTE_PGM_RSRC2:TGID_Y_EN: 0
; COMPUTE_PGM_RSRC2:TGID_Z_EN: 0
; COMPUTE_PGM_RSRC2:TIDIG_COMP_CNT: 0
	.section	.text._ZN2at6native16triu_tril_kernelIfiLb1ELi2ELb1EEEvNS_4cuda6detail10TensorInfoIT_T0_EENS4_IKS5_S6_EEllS6_,"axG",@progbits,_ZN2at6native16triu_tril_kernelIfiLb1ELi2ELb1EEEvNS_4cuda6detail10TensorInfoIT_T0_EENS4_IKS5_S6_EEllS6_,comdat
	.protected	_ZN2at6native16triu_tril_kernelIfiLb1ELi2ELb1EEEvNS_4cuda6detail10TensorInfoIT_T0_EENS4_IKS5_S6_EEllS6_ ; -- Begin function _ZN2at6native16triu_tril_kernelIfiLb1ELi2ELb1EEEvNS_4cuda6detail10TensorInfoIT_T0_EENS4_IKS5_S6_EEllS6_
	.globl	_ZN2at6native16triu_tril_kernelIfiLb1ELi2ELb1EEEvNS_4cuda6detail10TensorInfoIT_T0_EENS4_IKS5_S6_EEllS6_
	.p2align	8
	.type	_ZN2at6native16triu_tril_kernelIfiLb1ELi2ELb1EEEvNS_4cuda6detail10TensorInfoIT_T0_EENS4_IKS5_S6_EEllS6_,@function
_ZN2at6native16triu_tril_kernelIfiLb1ELi2ELb1EEEvNS_4cuda6detail10TensorInfoIT_T0_EENS4_IKS5_S6_EEllS6_: ; @_ZN2at6native16triu_tril_kernelIfiLb1ELi2ELb1EEEvNS_4cuda6detail10TensorInfoIT_T0_EENS4_IKS5_S6_EEllS6_
; %bb.0:
	s_load_dword s2, s[4:5], 0x1d4
	s_load_dwordx4 s[8:11], s[4:5], 0x1b0
	s_add_u32 s0, s4, 0x1c8
	v_mov_b32_e32 v2, 0
	s_addc_u32 s1, s5, 0
	s_waitcnt lgkmcnt(0)
	s_and_b32 s7, s2, 0xffff
	v_mov_b32_e32 v1, v2
	v_mov_b32_e32 v3, s6
	v_mad_u64_u32 v[0:1], s[2:3], s7, v3, v[0:1]
	v_lshlrev_b64 v[0:1], 1, v[0:1]
	v_cmp_gt_i64_e32 vcc, s[10:11], v[0:1]
	s_and_saveexec_b64 s[2:3], vcc
	s_cbranch_execz .LBB76_61
; %bb.1:
	s_load_dword s33, s[4:5], 0x1c0
	s_load_dword s16, s[4:5], 0x1a8
	s_add_u32 s42, s4, 0xd8
	s_addc_u32 s43, s5, 0
	s_load_dword s6, s[0:1], 0x0
	s_waitcnt lgkmcnt(0)
	s_ashr_i32 s44, s33, 31
	s_ashr_i32 s17, s16, 31
	s_lshl_b64 s[0:1], s[16:17], 2
	s_add_u32 s2, s42, s0
	s_addc_u32 s3, s43, s1
	s_load_dword s45, s[2:3], 0x0
	s_load_dwordx2 s[12:13], s[4:5], 0x0
	s_mul_i32 s18, s6, s7
	v_cmp_gt_i64_e64 s[6:7], s[16:17], 2
	s_mov_b32 s17, 0
	s_waitcnt lgkmcnt(0)
	s_ashr_i32 s46, s45, 31
	s_add_u32 s14, s4, s0
	s_addc_u32 s15, s5, s1
	s_add_i32 s0, s16, 6
	s_add_i32 s47, s16, -3
	s_lshl_b32 s48, s18, 1
	s_and_b32 s49, s0, 7
	s_and_b32 s0, s16, 7
	s_cmp_lg_u32 s0, 2
	s_cselect_b64 s[18:19], -1, 0
	s_cmp_gt_u32 s47, 6
	s_cselect_b64 s[20:21], -1, 0
	s_mov_b64 s[22:23], 0
	s_ashr_i32 s24, s44, 31
	s_branch .LBB76_3
.LBB76_2:                               ;   in Loop: Header=BB76_3 Depth=1
	s_or_b64 exec, exec, s[26:27]
	v_add_co_u32_e32 v0, vcc, s48, v0
	v_addc_co_u32_e32 v1, vcc, 0, v1, vcc
	v_cmp_le_i64_e32 vcc, s[10:11], v[0:1]
	s_or_b64 s[22:23], vcc, s[22:23]
	s_andn2_b64 exec, exec, s[22:23]
	s_cbranch_execz .LBB76_61
.LBB76_3:                               ; =>This Loop Header: Depth=1
                                        ;     Child Loop BB76_14 Depth 2
                                        ;     Child Loop BB76_23 Depth 2
	v_or_b32_e32 v3, s44, v1
	v_cmp_ne_u64_e32 vcc, 0, v[2:3]
                                        ; implicit-def: $vgpr4_vgpr5
	s_and_saveexec_b64 s[0:1], vcc
	s_xor_b64 s[26:27], exec, s[0:1]
	s_cbranch_execz .LBB76_5
; %bb.4:                                ;   in Loop: Header=BB76_3 Depth=1
	s_add_u32 s0, s33, s24
	s_mov_b32 s25, s24
	s_addc_u32 s1, s44, s24
	s_xor_b64 s[28:29], s[0:1], s[24:25]
	v_cvt_f32_u32_e32 v3, s28
	v_cvt_f32_u32_e32 v4, s29
	s_sub_u32 s16, 0, s28
	s_subb_u32 s25, 0, s29
	v_ashrrev_i32_e32 v7, 31, v1
	v_mac_f32_e32 v3, 0x4f800000, v4
	v_rcp_f32_e32 v3, v3
	v_mul_f32_e32 v3, 0x5f7ffffc, v3
	v_mul_f32_e32 v4, 0x2f800000, v3
	v_trunc_f32_e32 v4, v4
	v_mac_f32_e32 v3, 0xcf800000, v4
	v_cvt_u32_f32_e32 v4, v4
	v_cvt_u32_f32_e32 v3, v3
	v_readfirstlane_b32 s30, v4
	v_readfirstlane_b32 s0, v3
	s_mul_i32 s1, s16, s30
	s_mul_hi_u32 s34, s16, s0
	s_mul_i32 s31, s25, s0
	s_add_i32 s1, s34, s1
	s_add_i32 s1, s1, s31
	s_mul_i32 s35, s16, s0
	s_mul_i32 s34, s0, s1
	s_mul_hi_u32 s36, s0, s35
	s_mul_hi_u32 s31, s0, s1
	s_add_u32 s34, s36, s34
	s_addc_u32 s31, 0, s31
	s_mul_hi_u32 s37, s30, s35
	s_mul_i32 s35, s30, s35
	s_add_u32 s34, s34, s35
	s_mul_hi_u32 s36, s30, s1
	s_addc_u32 s31, s31, s37
	s_addc_u32 s34, s36, 0
	s_mul_i32 s1, s30, s1
	s_add_u32 s1, s31, s1
	s_addc_u32 s31, 0, s34
	s_add_u32 s34, s0, s1
	s_cselect_b64 s[0:1], -1, 0
	s_cmp_lg_u64 s[0:1], 0
	s_addc_u32 s30, s30, s31
	s_mul_i32 s0, s16, s30
	s_mul_hi_u32 s1, s16, s34
	s_add_i32 s0, s1, s0
	s_mul_i32 s25, s25, s34
	s_add_i32 s0, s0, s25
	s_mul_i32 s16, s16, s34
	s_mul_hi_u32 s25, s30, s16
	s_mul_i32 s31, s30, s16
	s_mul_i32 s36, s34, s0
	s_mul_hi_u32 s16, s34, s16
	s_mul_hi_u32 s35, s34, s0
	s_add_u32 s16, s16, s36
	s_addc_u32 s35, 0, s35
	s_add_u32 s16, s16, s31
	s_mul_hi_u32 s1, s30, s0
	s_addc_u32 s16, s35, s25
	s_addc_u32 s1, s1, 0
	s_mul_i32 s0, s30, s0
	s_add_u32 s0, s16, s0
	s_addc_u32 s16, 0, s1
	s_add_u32 s25, s34, s0
	s_cselect_b64 s[0:1], -1, 0
	s_cmp_lg_u64 s[0:1], 0
	v_add_co_u32_e32 v3, vcc, v0, v7
	s_addc_u32 s16, s30, s16
	v_xor_b32_e32 v8, v3, v7
	v_mad_u64_u32 v[3:4], s[0:1], v8, s16, 0
	v_mul_hi_u32 v6, v8, s25
	v_addc_co_u32_e32 v5, vcc, v1, v7, vcc
	v_xor_b32_e32 v9, v5, v7
	v_add_co_u32_e32 v10, vcc, v6, v3
	v_addc_co_u32_e32 v11, vcc, 0, v4, vcc
	v_mad_u64_u32 v[3:4], s[0:1], v9, s25, 0
	v_mad_u64_u32 v[5:6], s[0:1], v9, s16, 0
	v_add_co_u32_e32 v3, vcc, v10, v3
	v_addc_co_u32_e32 v3, vcc, v11, v4, vcc
	v_addc_co_u32_e32 v4, vcc, 0, v6, vcc
	v_add_co_u32_e32 v5, vcc, v3, v5
	v_addc_co_u32_e32 v6, vcc, 0, v4, vcc
	v_mul_lo_u32 v10, s29, v5
	v_mul_lo_u32 v11, s28, v6
	v_mad_u64_u32 v[3:4], s[0:1], s28, v5, 0
	v_add3_u32 v4, v4, v11, v10
	v_sub_u32_e32 v10, v9, v4
	v_mov_b32_e32 v11, s29
	v_sub_co_u32_e32 v3, vcc, v8, v3
	v_subb_co_u32_e64 v8, s[0:1], v10, v11, vcc
	v_subrev_co_u32_e64 v10, s[0:1], s28, v3
	v_subbrev_co_u32_e64 v8, s[0:1], 0, v8, s[0:1]
	v_cmp_le_u32_e64 s[0:1], s29, v8
	v_cndmask_b32_e64 v11, 0, -1, s[0:1]
	v_cmp_le_u32_e64 s[0:1], s28, v10
	v_cndmask_b32_e64 v10, 0, -1, s[0:1]
	v_cmp_eq_u32_e64 s[0:1], s29, v8
	v_cndmask_b32_e64 v8, v11, v10, s[0:1]
	v_add_co_u32_e64 v10, s[0:1], 2, v5
	v_subb_co_u32_e32 v4, vcc, v9, v4, vcc
	v_addc_co_u32_e64 v11, s[0:1], 0, v6, s[0:1]
	v_cmp_le_u32_e32 vcc, s29, v4
	v_add_co_u32_e64 v12, s[0:1], 1, v5
	v_cndmask_b32_e64 v9, 0, -1, vcc
	v_cmp_le_u32_e32 vcc, s28, v3
	v_addc_co_u32_e64 v13, s[0:1], 0, v6, s[0:1]
	v_cndmask_b32_e64 v3, 0, -1, vcc
	v_cmp_eq_u32_e32 vcc, s29, v4
	v_cmp_ne_u32_e64 s[0:1], 0, v8
	v_cndmask_b32_e32 v3, v9, v3, vcc
	v_cmp_ne_u32_e32 vcc, 0, v3
	v_cndmask_b32_e64 v4, v12, v10, s[0:1]
	v_cndmask_b32_e64 v8, v13, v11, s[0:1]
	v_cndmask_b32_e32 v4, v5, v4, vcc
	v_xor_b32_e32 v5, s24, v7
	v_cndmask_b32_e32 v3, v6, v8, vcc
	v_xor_b32_e32 v4, v4, v5
	v_xor_b32_e32 v3, v3, v5
	v_sub_co_u32_e32 v4, vcc, v4, v5
	v_subb_co_u32_e32 v5, vcc, v3, v5, vcc
.LBB76_5:                               ;   in Loop: Header=BB76_3 Depth=1
	s_andn2_saveexec_b64 s[0:1], s[26:27]
	s_cbranch_execz .LBB76_7
; %bb.6:                                ;   in Loop: Header=BB76_3 Depth=1
	v_cvt_f32_u32_e32 v3, s33
	s_sub_i32 s16, 0, s33
	v_rcp_iflag_f32_e32 v3, v3
	v_mul_f32_e32 v3, 0x4f7ffffe, v3
	v_cvt_u32_f32_e32 v3, v3
	v_mul_lo_u32 v4, s16, v3
	v_mul_hi_u32 v4, v3, v4
	v_add_u32_e32 v3, v3, v4
	v_mul_hi_u32 v3, v0, v3
	v_mul_lo_u32 v4, v3, s33
	v_add_u32_e32 v5, 1, v3
	v_sub_u32_e32 v4, v0, v4
	v_subrev_u32_e32 v6, s33, v4
	v_cmp_le_u32_e32 vcc, s33, v4
	v_cndmask_b32_e32 v4, v4, v6, vcc
	v_cndmask_b32_e32 v3, v3, v5, vcc
	v_add_u32_e32 v5, 1, v3
	v_cmp_le_u32_e32 vcc, s33, v4
	v_cndmask_b32_e32 v4, v3, v5, vcc
	v_mov_b32_e32 v5, v2
.LBB76_7:                               ;   in Loop: Header=BB76_3 Depth=1
	s_or_b64 exec, exec, s[0:1]
	v_or_b32_e32 v3, s46, v5
	v_cmp_ne_u64_e32 vcc, 0, v[2:3]
                                        ; implicit-def: $vgpr6_vgpr7
	s_and_saveexec_b64 s[0:1], vcc
	s_xor_b64 s[26:27], exec, s[0:1]
	s_cbranch_execz .LBB76_9
; %bb.8:                                ;   in Loop: Header=BB76_3 Depth=1
	s_ashr_i32 s28, s46, 31
	s_add_u32 s0, s45, s28
	s_mov_b32 s29, s28
	s_addc_u32 s1, s46, s28
	s_xor_b64 s[30:31], s[0:1], s[28:29]
	v_cvt_f32_u32_e32 v3, s30
	v_cvt_f32_u32_e32 v6, s31
	s_sub_u32 s16, 0, s30
	s_subb_u32 s25, 0, s31
	v_mac_f32_e32 v3, 0x4f800000, v6
	v_rcp_f32_e32 v3, v3
	v_mul_f32_e32 v3, 0x5f7ffffc, v3
	v_mul_f32_e32 v6, 0x2f800000, v3
	v_trunc_f32_e32 v6, v6
	v_mac_f32_e32 v3, 0xcf800000, v6
	v_cvt_u32_f32_e32 v6, v6
	v_cvt_u32_f32_e32 v3, v3
	v_readfirstlane_b32 s29, v6
	v_readfirstlane_b32 s0, v3
	s_mul_i32 s1, s16, s29
	s_mul_hi_u32 s35, s16, s0
	s_mul_i32 s34, s25, s0
	s_add_i32 s1, s35, s1
	s_add_i32 s1, s1, s34
	s_mul_i32 s36, s16, s0
	s_mul_i32 s35, s0, s1
	s_mul_hi_u32 s37, s0, s36
	s_mul_hi_u32 s34, s0, s1
	s_add_u32 s35, s37, s35
	s_addc_u32 s34, 0, s34
	s_mul_hi_u32 s38, s29, s36
	s_mul_i32 s36, s29, s36
	s_add_u32 s35, s35, s36
	s_mul_hi_u32 s37, s29, s1
	s_addc_u32 s34, s34, s38
	s_addc_u32 s35, s37, 0
	s_mul_i32 s1, s29, s1
	s_add_u32 s1, s34, s1
	s_addc_u32 s34, 0, s35
	s_add_u32 s35, s0, s1
	s_cselect_b64 s[0:1], -1, 0
	s_cmp_lg_u64 s[0:1], 0
	s_addc_u32 s29, s29, s34
	s_mul_i32 s0, s16, s29
	s_mul_hi_u32 s1, s16, s35
	s_add_i32 s0, s1, s0
	s_mul_i32 s25, s25, s35
	s_add_i32 s0, s0, s25
	s_mul_i32 s16, s16, s35
	s_mul_hi_u32 s25, s29, s16
	s_mul_i32 s34, s29, s16
	s_mul_i32 s37, s35, s0
	s_mul_hi_u32 s16, s35, s16
	s_mul_hi_u32 s36, s35, s0
	s_add_u32 s16, s16, s37
	s_addc_u32 s36, 0, s36
	s_add_u32 s16, s16, s34
	s_mul_hi_u32 s1, s29, s0
	s_addc_u32 s16, s36, s25
	s_addc_u32 s1, s1, 0
	s_mul_i32 s0, s29, s0
	s_add_u32 s0, s16, s0
	s_addc_u32 s16, 0, s1
	s_add_u32 s25, s35, s0
	s_cselect_b64 s[0:1], -1, 0
	v_ashrrev_i32_e32 v3, 31, v5
	s_cmp_lg_u64 s[0:1], 0
	v_add_co_u32_e32 v6, vcc, v4, v3
	s_addc_u32 s16, s29, s16
	v_xor_b32_e32 v9, v6, v3
	v_addc_co_u32_e32 v7, vcc, v5, v3, vcc
	v_mad_u64_u32 v[5:6], s[0:1], v9, s16, 0
	v_mul_hi_u32 v8, v9, s25
	v_xor_b32_e32 v10, v7, v3
	v_xor_b32_e32 v3, s28, v3
	v_add_co_u32_e32 v11, vcc, v8, v5
	v_addc_co_u32_e32 v12, vcc, 0, v6, vcc
	v_mad_u64_u32 v[5:6], s[0:1], v10, s25, 0
	v_mad_u64_u32 v[7:8], s[0:1], v10, s16, 0
	v_add_co_u32_e32 v5, vcc, v11, v5
	v_addc_co_u32_e32 v5, vcc, v12, v6, vcc
	v_addc_co_u32_e32 v6, vcc, 0, v8, vcc
	v_add_co_u32_e32 v7, vcc, v5, v7
	v_addc_co_u32_e32 v8, vcc, 0, v6, vcc
	v_mul_lo_u32 v11, s31, v7
	v_mul_lo_u32 v12, s30, v8
	v_mad_u64_u32 v[5:6], s[0:1], s30, v7, 0
	v_add3_u32 v6, v6, v12, v11
	v_sub_u32_e32 v11, v10, v6
	v_mov_b32_e32 v12, s31
	v_sub_co_u32_e32 v5, vcc, v9, v5
	v_subb_co_u32_e64 v9, s[0:1], v11, v12, vcc
	v_subrev_co_u32_e64 v11, s[0:1], s30, v5
	v_subbrev_co_u32_e64 v9, s[0:1], 0, v9, s[0:1]
	v_cmp_le_u32_e64 s[0:1], s31, v9
	v_cndmask_b32_e64 v12, 0, -1, s[0:1]
	v_cmp_le_u32_e64 s[0:1], s30, v11
	v_cndmask_b32_e64 v11, 0, -1, s[0:1]
	v_cmp_eq_u32_e64 s[0:1], s31, v9
	v_cndmask_b32_e64 v9, v12, v11, s[0:1]
	v_add_co_u32_e64 v11, s[0:1], 2, v7
	v_subb_co_u32_e32 v6, vcc, v10, v6, vcc
	v_addc_co_u32_e64 v12, s[0:1], 0, v8, s[0:1]
	v_cmp_le_u32_e32 vcc, s31, v6
	v_add_co_u32_e64 v13, s[0:1], 1, v7
	v_cndmask_b32_e64 v10, 0, -1, vcc
	v_cmp_le_u32_e32 vcc, s30, v5
	v_addc_co_u32_e64 v14, s[0:1], 0, v8, s[0:1]
	v_cndmask_b32_e64 v5, 0, -1, vcc
	v_cmp_eq_u32_e32 vcc, s31, v6
	v_cmp_ne_u32_e64 s[0:1], 0, v9
	v_cndmask_b32_e32 v5, v10, v5, vcc
	v_cmp_ne_u32_e32 vcc, 0, v5
	v_cndmask_b32_e64 v6, v13, v11, s[0:1]
	v_cndmask_b32_e64 v9, v14, v12, s[0:1]
	v_cndmask_b32_e32 v6, v7, v6, vcc
	v_cndmask_b32_e32 v5, v8, v9, vcc
	v_xor_b32_e32 v6, v6, v3
	v_xor_b32_e32 v5, v5, v3
	v_sub_co_u32_e32 v6, vcc, v6, v3
	v_subb_co_u32_e32 v7, vcc, v5, v3, vcc
.LBB76_9:                               ;   in Loop: Header=BB76_3 Depth=1
	s_andn2_saveexec_b64 s[0:1], s[26:27]
	s_cbranch_execz .LBB76_11
; %bb.10:                               ;   in Loop: Header=BB76_3 Depth=1
	v_cvt_f32_u32_e32 v3, s45
	s_sub_i32 s16, 0, s45
	v_rcp_iflag_f32_e32 v3, v3
	v_mul_f32_e32 v3, 0x4f7ffffe, v3
	v_cvt_u32_f32_e32 v3, v3
	v_mul_lo_u32 v5, s16, v3
	v_mul_hi_u32 v5, v3, v5
	v_add_u32_e32 v3, v3, v5
	v_mul_hi_u32 v3, v4, v3
	v_mul_lo_u32 v5, v3, s45
	v_add_u32_e32 v6, 1, v3
	v_sub_u32_e32 v5, v4, v5
	v_subrev_u32_e32 v7, s45, v5
	v_cmp_le_u32_e32 vcc, s45, v5
	v_cndmask_b32_e32 v5, v5, v7, vcc
	v_cndmask_b32_e32 v3, v3, v6, vcc
	v_add_u32_e32 v6, 1, v3
	v_cmp_le_u32_e32 vcc, s45, v5
	v_cndmask_b32_e32 v6, v3, v6, vcc
	v_mov_b32_e32 v7, v2
.LBB76_11:                              ;   in Loop: Header=BB76_3 Depth=1
	s_or_b64 exec, exec, s[0:1]
	v_mad_u64_u32 v[8:9], s[0:1], v4, s33, 0
	v_mad_u64_u32 v[9:10], s[0:1], v6, s45, 0
	v_sub_co_u32_e32 v25, vcc, v0, v8
	v_sub_co_u32_e32 v24, vcc, v4, v9
	v_sub_u32_e32 v3, v25, v24
	v_ashrrev_i32_e32 v4, 31, v3
	v_cmp_gt_i64_e32 vcc, s[8:9], v[3:4]
	s_and_saveexec_b64 s[26:27], vcc
	s_cbranch_execz .LBB76_2
; %bb.12:                               ;   in Loop: Header=BB76_3 Depth=1
	s_load_dwordx2 s[28:29], s[14:15], 0x64
	s_andn2_b64 vcc, exec, s[6:7]
	s_waitcnt lgkmcnt(0)
	v_mul_lo_u32 v3, s29, v25
	v_mad_u64_u32 v[4:5], s[0:1], s28, v24, v[3:4]
	s_cbranch_vccnz .LBB76_57
; %bb.13:                               ;   in Loop: Header=BB76_3 Depth=1
	s_andn2_b64 vcc, exec, s[18:19]
	s_mov_b32 s25, s49
	s_mov_b32 s16, s47
	;; [unrolled: 1-line block ×3, first 2 shown]
	s_cbranch_vccnz .LBB76_21
.LBB76_14:                              ;   Parent Loop BB76_3 Depth=1
                                        ; =>  This Inner Loop Header: Depth=2
	s_lshl_b64 s[30:31], s[16:17], 2
	s_add_u32 s0, s42, s30
	s_addc_u32 s1, s43, s31
	s_load_dword s28, s[0:1], 0x8
                                        ; implicit-def: $vgpr8_vgpr9
	s_waitcnt lgkmcnt(0)
	s_ashr_i32 s0, s28, 31
	v_or_b32_e32 v3, s0, v7
	v_cmp_ne_u64_e32 vcc, 0, v[2:3]
	s_and_saveexec_b64 s[34:35], vcc
	s_xor_b64 s[34:35], exec, s[34:35]
	s_cbranch_execz .LBB76_16
; %bb.15:                               ;   in Loop: Header=BB76_14 Depth=2
	s_ashr_i32 s36, s0, 31
	s_add_u32 s38, s28, s36
	s_mov_b32 s37, s36
	s_addc_u32 s39, s0, s36
	s_xor_b64 s[38:39], s[38:39], s[36:37]
	v_cvt_f32_u32_e32 v3, s38
	v_cvt_f32_u32_e32 v5, s39
	s_sub_u32 s37, 0, s38
	s_subb_u32 s40, 0, s39
	v_mac_f32_e32 v3, 0x4f800000, v5
	v_rcp_f32_e32 v3, v3
	v_mul_f32_e32 v3, 0x5f7ffffc, v3
	v_mul_f32_e32 v5, 0x2f800000, v3
	v_trunc_f32_e32 v5, v5
	v_mac_f32_e32 v3, 0xcf800000, v5
	v_cvt_u32_f32_e32 v5, v5
	v_cvt_u32_f32_e32 v3, v3
	v_readfirstlane_b32 s41, v5
	v_readfirstlane_b32 s0, v3
	s_mul_i32 s1, s37, s41
	s_mul_hi_u32 s51, s37, s0
	s_mul_i32 s50, s40, s0
	s_add_i32 s1, s51, s1
	s_add_i32 s1, s1, s50
	s_mul_i32 s52, s37, s0
	s_mul_i32 s51, s0, s1
	s_mul_hi_u32 s53, s0, s52
	s_mul_hi_u32 s50, s0, s1
	s_add_u32 s51, s53, s51
	s_addc_u32 s50, 0, s50
	s_mul_hi_u32 s54, s41, s52
	s_mul_i32 s52, s41, s52
	s_add_u32 s51, s51, s52
	s_mul_hi_u32 s53, s41, s1
	s_addc_u32 s50, s50, s54
	s_addc_u32 s51, s53, 0
	s_mul_i32 s1, s41, s1
	s_add_u32 s1, s50, s1
	s_addc_u32 s50, 0, s51
	s_add_u32 s51, s0, s1
	s_cselect_b64 s[0:1], -1, 0
	s_cmp_lg_u64 s[0:1], 0
	s_addc_u32 s41, s41, s50
	s_mul_i32 s0, s37, s41
	s_mul_hi_u32 s1, s37, s51
	s_add_i32 s0, s1, s0
	s_mul_i32 s40, s40, s51
	s_add_i32 s0, s0, s40
	s_mul_i32 s37, s37, s51
	s_mul_hi_u32 s40, s41, s37
	s_mul_i32 s50, s41, s37
	s_mul_i32 s53, s51, s0
	s_mul_hi_u32 s37, s51, s37
	s_mul_hi_u32 s52, s51, s0
	s_add_u32 s37, s37, s53
	s_addc_u32 s52, 0, s52
	s_add_u32 s37, s37, s50
	s_mul_hi_u32 s1, s41, s0
	s_addc_u32 s37, s52, s40
	s_addc_u32 s1, s1, 0
	s_mul_i32 s0, s41, s0
	s_add_u32 s0, s37, s0
	s_addc_u32 s37, 0, s1
	s_add_u32 s40, s51, s0
	s_cselect_b64 s[0:1], -1, 0
	v_ashrrev_i32_e32 v3, 31, v7
	s_cmp_lg_u64 s[0:1], 0
	v_add_co_u32_e32 v5, vcc, v6, v3
	s_addc_u32 s37, s41, s37
	v_xor_b32_e32 v5, v5, v3
	v_addc_co_u32_e32 v9, vcc, v7, v3, vcc
	v_mad_u64_u32 v[7:8], s[0:1], v5, s37, 0
	v_mul_hi_u32 v10, v5, s40
	v_xor_b32_e32 v11, v9, v3
	v_xor_b32_e32 v3, s36, v3
	v_add_co_u32_e32 v12, vcc, v10, v7
	v_addc_co_u32_e32 v13, vcc, 0, v8, vcc
	v_mad_u64_u32 v[7:8], s[0:1], v11, s40, 0
	v_mad_u64_u32 v[9:10], s[0:1], v11, s37, 0
	v_add_co_u32_e32 v7, vcc, v12, v7
	v_addc_co_u32_e32 v7, vcc, v13, v8, vcc
	v_addc_co_u32_e32 v8, vcc, 0, v10, vcc
	v_add_co_u32_e32 v9, vcc, v7, v9
	v_addc_co_u32_e32 v10, vcc, 0, v8, vcc
	v_mul_lo_u32 v12, s39, v9
	v_mul_lo_u32 v13, s38, v10
	v_mad_u64_u32 v[7:8], s[0:1], s38, v9, 0
	v_add3_u32 v8, v8, v13, v12
	v_sub_u32_e32 v12, v11, v8
	v_mov_b32_e32 v13, s39
	v_sub_co_u32_e32 v5, vcc, v5, v7
	v_subb_co_u32_e64 v7, s[0:1], v12, v13, vcc
	v_subrev_co_u32_e64 v12, s[0:1], s38, v5
	v_subbrev_co_u32_e64 v7, s[0:1], 0, v7, s[0:1]
	v_cmp_le_u32_e64 s[0:1], s39, v7
	v_cndmask_b32_e64 v13, 0, -1, s[0:1]
	v_cmp_le_u32_e64 s[0:1], s38, v12
	v_cndmask_b32_e64 v12, 0, -1, s[0:1]
	v_cmp_eq_u32_e64 s[0:1], s39, v7
	v_cndmask_b32_e64 v7, v13, v12, s[0:1]
	v_add_co_u32_e64 v12, s[0:1], 2, v9
	v_subb_co_u32_e32 v8, vcc, v11, v8, vcc
	v_addc_co_u32_e64 v13, s[0:1], 0, v10, s[0:1]
	v_cmp_le_u32_e32 vcc, s39, v8
	v_add_co_u32_e64 v14, s[0:1], 1, v9
	v_cndmask_b32_e64 v11, 0, -1, vcc
	v_cmp_le_u32_e32 vcc, s38, v5
	v_addc_co_u32_e64 v15, s[0:1], 0, v10, s[0:1]
	v_cndmask_b32_e64 v5, 0, -1, vcc
	v_cmp_eq_u32_e32 vcc, s39, v8
	v_cmp_ne_u32_e64 s[0:1], 0, v7
	v_cndmask_b32_e32 v5, v11, v5, vcc
	v_cndmask_b32_e64 v7, v15, v13, s[0:1]
	v_cmp_ne_u32_e32 vcc, 0, v5
	v_cndmask_b32_e32 v5, v10, v7, vcc
	v_cndmask_b32_e64 v7, v14, v12, s[0:1]
	v_cndmask_b32_e32 v7, v9, v7, vcc
	v_xor_b32_e32 v7, v7, v3
	v_xor_b32_e32 v5, v5, v3
	v_sub_co_u32_e32 v8, vcc, v7, v3
	v_subb_co_u32_e32 v9, vcc, v5, v3, vcc
.LBB76_16:                              ;   in Loop: Header=BB76_14 Depth=2
	s_andn2_saveexec_b64 s[0:1], s[34:35]
	s_cbranch_execz .LBB76_18
; %bb.17:                               ;   in Loop: Header=BB76_14 Depth=2
	v_cvt_f32_u32_e32 v3, s28
	s_sub_i32 s34, 0, s28
	v_mov_b32_e32 v9, v2
	v_rcp_iflag_f32_e32 v3, v3
	v_mul_f32_e32 v3, 0x4f7ffffe, v3
	v_cvt_u32_f32_e32 v3, v3
	v_mul_lo_u32 v5, s34, v3
	v_mul_hi_u32 v5, v3, v5
	v_add_u32_e32 v3, v3, v5
	v_mul_hi_u32 v3, v6, v3
	v_mul_lo_u32 v5, v3, s28
	v_add_u32_e32 v7, 1, v3
	v_sub_u32_e32 v5, v6, v5
	v_subrev_u32_e32 v8, s28, v5
	v_cmp_le_u32_e32 vcc, s28, v5
	v_cndmask_b32_e32 v5, v5, v8, vcc
	v_cndmask_b32_e32 v3, v3, v7, vcc
	v_add_u32_e32 v7, 1, v3
	v_cmp_le_u32_e32 vcc, s28, v5
	v_cndmask_b32_e32 v8, v3, v7, vcc
.LBB76_18:                              ;   in Loop: Header=BB76_14 Depth=2
	s_or_b64 exec, exec, s[0:1]
	s_add_u32 s0, s4, s30
	s_addc_u32 s1, s5, s31
	v_mul_lo_u32 v3, v8, s28
	s_load_dword s0, s[0:1], 0x6c
	s_add_i32 s16, s16, -1
	s_add_i32 s25, s25, -1
	v_sub_u32_e32 v3, v6, v3
	s_cmp_lg_u32 s25, 0
	s_waitcnt lgkmcnt(0)
	v_mad_u64_u32 v[4:5], s[0:1], s0, v3, v[4:5]
	s_cbranch_scc0 .LBB76_20
; %bb.19:                               ;   in Loop: Header=BB76_14 Depth=2
	v_mov_b32_e32 v6, v8
	v_mov_b32_e32 v7, v9
	s_branch .LBB76_14
.LBB76_20:                              ;   in Loop: Header=BB76_3 Depth=1
	v_mov_b32_e32 v6, v8
	s_mov_b32 s0, s16
	v_mov_b32_e32 v7, v9
.LBB76_21:                              ;   in Loop: Header=BB76_3 Depth=1
	s_andn2_b64 vcc, exec, s[20:21]
	s_cbranch_vccnz .LBB76_57
; %bb.22:                               ;   in Loop: Header=BB76_3 Depth=1
	s_add_i32 s30, s0, -7
.LBB76_23:                              ;   Parent Loop BB76_3 Depth=1
                                        ; =>  This Inner Loop Header: Depth=2
	s_add_i32 s16, s30, 7
	s_lshl_b64 s[34:35], s[16:17], 2
	s_add_u32 s0, s42, s34
	s_addc_u32 s1, s43, s35
	s_load_dword s25, s[0:1], 0x8
                                        ; implicit-def: $vgpr8_vgpr9
	s_waitcnt lgkmcnt(0)
	s_ashr_i32 s0, s25, 31
	v_or_b32_e32 v3, s0, v7
	v_cmp_ne_u64_e32 vcc, 0, v[2:3]
	s_and_saveexec_b64 s[36:37], vcc
	s_xor_b64 s[36:37], exec, s[36:37]
	s_cbranch_execz .LBB76_25
; %bb.24:                               ;   in Loop: Header=BB76_23 Depth=2
	s_ashr_i32 s38, s0, 31
	s_add_u32 s40, s25, s38
	s_mov_b32 s39, s38
	s_addc_u32 s41, s0, s38
	s_xor_b64 s[40:41], s[40:41], s[38:39]
	v_cvt_f32_u32_e32 v3, s40
	v_cvt_f32_u32_e32 v5, s41
	s_sub_u32 s16, 0, s40
	s_subb_u32 s28, 0, s41
	v_mac_f32_e32 v3, 0x4f800000, v5
	v_rcp_f32_e32 v3, v3
	v_mul_f32_e32 v3, 0x5f7ffffc, v3
	v_mul_f32_e32 v5, 0x2f800000, v3
	v_trunc_f32_e32 v5, v5
	v_mac_f32_e32 v3, 0xcf800000, v5
	v_cvt_u32_f32_e32 v5, v5
	v_cvt_u32_f32_e32 v3, v3
	v_readfirstlane_b32 s31, v5
	v_readfirstlane_b32 s0, v3
	s_mul_i32 s1, s16, s31
	s_mul_hi_u32 s50, s16, s0
	s_mul_i32 s39, s28, s0
	s_add_i32 s1, s50, s1
	s_add_i32 s1, s1, s39
	s_mul_i32 s51, s16, s0
	s_mul_i32 s50, s0, s1
	s_mul_hi_u32 s52, s0, s51
	s_mul_hi_u32 s39, s0, s1
	s_add_u32 s50, s52, s50
	s_addc_u32 s39, 0, s39
	s_mul_hi_u32 s53, s31, s51
	s_mul_i32 s51, s31, s51
	s_add_u32 s50, s50, s51
	s_mul_hi_u32 s52, s31, s1
	s_addc_u32 s39, s39, s53
	s_addc_u32 s50, s52, 0
	s_mul_i32 s1, s31, s1
	s_add_u32 s1, s39, s1
	s_addc_u32 s39, 0, s50
	s_add_u32 s50, s0, s1
	s_cselect_b64 s[0:1], -1, 0
	s_cmp_lg_u64 s[0:1], 0
	s_addc_u32 s31, s31, s39
	s_mul_i32 s0, s16, s31
	s_mul_hi_u32 s1, s16, s50
	s_add_i32 s0, s1, s0
	s_mul_i32 s28, s28, s50
	s_add_i32 s0, s0, s28
	s_mul_i32 s16, s16, s50
	s_mul_hi_u32 s28, s31, s16
	s_mul_i32 s39, s31, s16
	s_mul_i32 s52, s50, s0
	s_mul_hi_u32 s16, s50, s16
	s_mul_hi_u32 s51, s50, s0
	s_add_u32 s16, s16, s52
	s_addc_u32 s51, 0, s51
	s_add_u32 s16, s16, s39
	s_mul_hi_u32 s1, s31, s0
	s_addc_u32 s16, s51, s28
	s_addc_u32 s1, s1, 0
	s_mul_i32 s0, s31, s0
	s_add_u32 s0, s16, s0
	s_addc_u32 s16, 0, s1
	s_add_u32 s28, s50, s0
	s_cselect_b64 s[0:1], -1, 0
	v_ashrrev_i32_e32 v3, 31, v7
	s_cmp_lg_u64 s[0:1], 0
	v_add_co_u32_e32 v5, vcc, v6, v3
	s_addc_u32 s16, s31, s16
	v_xor_b32_e32 v5, v5, v3
	v_addc_co_u32_e32 v9, vcc, v7, v3, vcc
	v_mad_u64_u32 v[7:8], s[0:1], v5, s16, 0
	v_mul_hi_u32 v10, v5, s28
	v_xor_b32_e32 v11, v9, v3
	v_xor_b32_e32 v3, s38, v3
	v_add_co_u32_e32 v12, vcc, v10, v7
	v_addc_co_u32_e32 v13, vcc, 0, v8, vcc
	v_mad_u64_u32 v[7:8], s[0:1], v11, s28, 0
	v_mad_u64_u32 v[9:10], s[0:1], v11, s16, 0
	v_add_co_u32_e32 v7, vcc, v12, v7
	v_addc_co_u32_e32 v7, vcc, v13, v8, vcc
	v_addc_co_u32_e32 v8, vcc, 0, v10, vcc
	v_add_co_u32_e32 v9, vcc, v7, v9
	v_addc_co_u32_e32 v10, vcc, 0, v8, vcc
	v_mul_lo_u32 v12, s41, v9
	v_mul_lo_u32 v13, s40, v10
	v_mad_u64_u32 v[7:8], s[0:1], s40, v9, 0
	v_add3_u32 v8, v8, v13, v12
	v_sub_u32_e32 v12, v11, v8
	v_mov_b32_e32 v13, s41
	v_sub_co_u32_e32 v5, vcc, v5, v7
	v_subb_co_u32_e64 v7, s[0:1], v12, v13, vcc
	v_subrev_co_u32_e64 v12, s[0:1], s40, v5
	v_subbrev_co_u32_e64 v7, s[0:1], 0, v7, s[0:1]
	v_cmp_le_u32_e64 s[0:1], s41, v7
	v_cndmask_b32_e64 v13, 0, -1, s[0:1]
	v_cmp_le_u32_e64 s[0:1], s40, v12
	v_cndmask_b32_e64 v12, 0, -1, s[0:1]
	v_cmp_eq_u32_e64 s[0:1], s41, v7
	v_cndmask_b32_e64 v7, v13, v12, s[0:1]
	v_add_co_u32_e64 v12, s[0:1], 2, v9
	v_subb_co_u32_e32 v8, vcc, v11, v8, vcc
	v_addc_co_u32_e64 v13, s[0:1], 0, v10, s[0:1]
	v_cmp_le_u32_e32 vcc, s41, v8
	v_add_co_u32_e64 v14, s[0:1], 1, v9
	v_cndmask_b32_e64 v11, 0, -1, vcc
	v_cmp_le_u32_e32 vcc, s40, v5
	v_addc_co_u32_e64 v15, s[0:1], 0, v10, s[0:1]
	v_cndmask_b32_e64 v5, 0, -1, vcc
	v_cmp_eq_u32_e32 vcc, s41, v8
	v_cmp_ne_u32_e64 s[0:1], 0, v7
	v_cndmask_b32_e32 v5, v11, v5, vcc
	v_cndmask_b32_e64 v7, v15, v13, s[0:1]
	v_cmp_ne_u32_e32 vcc, 0, v5
	v_cndmask_b32_e32 v5, v10, v7, vcc
	v_cndmask_b32_e64 v7, v14, v12, s[0:1]
	v_cndmask_b32_e32 v7, v9, v7, vcc
	v_xor_b32_e32 v7, v7, v3
	v_xor_b32_e32 v5, v5, v3
	v_sub_co_u32_e32 v8, vcc, v7, v3
	v_subb_co_u32_e32 v9, vcc, v5, v3, vcc
.LBB76_25:                              ;   in Loop: Header=BB76_23 Depth=2
	s_andn2_saveexec_b64 s[0:1], s[36:37]
	s_cbranch_execz .LBB76_27
; %bb.26:                               ;   in Loop: Header=BB76_23 Depth=2
	v_cvt_f32_u32_e32 v3, s25
	s_sub_i32 s16, 0, s25
	v_mov_b32_e32 v9, v2
	v_rcp_iflag_f32_e32 v3, v3
	v_mul_f32_e32 v3, 0x4f7ffffe, v3
	v_cvt_u32_f32_e32 v3, v3
	v_mul_lo_u32 v5, s16, v3
	v_mul_hi_u32 v5, v3, v5
	v_add_u32_e32 v3, v3, v5
	v_mul_hi_u32 v3, v6, v3
	v_mul_lo_u32 v5, v3, s25
	v_add_u32_e32 v7, 1, v3
	v_sub_u32_e32 v5, v6, v5
	v_subrev_u32_e32 v8, s25, v5
	v_cmp_le_u32_e32 vcc, s25, v5
	v_cndmask_b32_e32 v5, v5, v8, vcc
	v_cndmask_b32_e32 v3, v3, v7, vcc
	v_add_u32_e32 v7, 1, v3
	v_cmp_le_u32_e32 vcc, s25, v5
	v_cndmask_b32_e32 v8, v3, v7, vcc
.LBB76_27:                              ;   in Loop: Header=BB76_23 Depth=2
	s_or_b64 exec, exec, s[0:1]
	s_add_u32 s0, s4, s34
	s_addc_u32 s1, s5, s35
	s_add_i32 s16, s30, 6
	s_lshl_b64 s[34:35], s[16:17], 2
	s_add_u32 s36, s42, s34
	s_addc_u32 s37, s43, s35
	s_load_dword s50, s[36:37], 0x8
	s_load_dword s28, s[0:1], 0x6c
                                        ; implicit-def: $vgpr10_vgpr11
	s_waitcnt lgkmcnt(0)
	s_ashr_i32 s0, s50, 31
	v_or_b32_e32 v3, s0, v9
	v_cmp_ne_u64_e32 vcc, 0, v[2:3]
	s_and_saveexec_b64 s[36:37], vcc
	s_xor_b64 s[36:37], exec, s[36:37]
	s_cbranch_execz .LBB76_29
; %bb.28:                               ;   in Loop: Header=BB76_23 Depth=2
	s_ashr_i32 s38, s0, 31
	s_add_u32 s40, s50, s38
	s_mov_b32 s39, s38
	s_addc_u32 s41, s0, s38
	s_xor_b64 s[40:41], s[40:41], s[38:39]
	v_cvt_f32_u32_e32 v3, s40
	v_cvt_f32_u32_e32 v5, s41
	s_sub_u32 s16, 0, s40
	s_subb_u32 s31, 0, s41
	v_mac_f32_e32 v3, 0x4f800000, v5
	v_rcp_f32_e32 v3, v3
	v_mul_f32_e32 v3, 0x5f7ffffc, v3
	v_mul_f32_e32 v5, 0x2f800000, v3
	v_trunc_f32_e32 v5, v5
	v_mac_f32_e32 v3, 0xcf800000, v5
	v_cvt_u32_f32_e32 v5, v5
	v_cvt_u32_f32_e32 v3, v3
	v_readfirstlane_b32 s39, v5
	v_readfirstlane_b32 s0, v3
	s_mul_i32 s1, s16, s39
	s_mul_hi_u32 s52, s16, s0
	s_mul_i32 s51, s31, s0
	s_add_i32 s1, s52, s1
	s_add_i32 s1, s1, s51
	s_mul_i32 s53, s16, s0
	s_mul_i32 s52, s0, s1
	s_mul_hi_u32 s54, s0, s53
	s_mul_hi_u32 s51, s0, s1
	s_add_u32 s52, s54, s52
	s_addc_u32 s51, 0, s51
	s_mul_hi_u32 s55, s39, s53
	s_mul_i32 s53, s39, s53
	s_add_u32 s52, s52, s53
	s_mul_hi_u32 s54, s39, s1
	s_addc_u32 s51, s51, s55
	s_addc_u32 s52, s54, 0
	s_mul_i32 s1, s39, s1
	s_add_u32 s1, s51, s1
	s_addc_u32 s51, 0, s52
	s_add_u32 s52, s0, s1
	s_cselect_b64 s[0:1], -1, 0
	s_cmp_lg_u64 s[0:1], 0
	s_addc_u32 s39, s39, s51
	s_mul_i32 s0, s16, s39
	s_mul_hi_u32 s1, s16, s52
	s_add_i32 s0, s1, s0
	s_mul_i32 s31, s31, s52
	s_add_i32 s0, s0, s31
	s_mul_i32 s16, s16, s52
	s_mul_hi_u32 s31, s39, s16
	s_mul_i32 s51, s39, s16
	s_mul_i32 s54, s52, s0
	s_mul_hi_u32 s16, s52, s16
	s_mul_hi_u32 s53, s52, s0
	s_add_u32 s16, s16, s54
	s_addc_u32 s53, 0, s53
	s_add_u32 s16, s16, s51
	s_mul_hi_u32 s1, s39, s0
	s_addc_u32 s16, s53, s31
	s_addc_u32 s1, s1, 0
	s_mul_i32 s0, s39, s0
	s_add_u32 s0, s16, s0
	s_addc_u32 s16, 0, s1
	s_add_u32 s31, s52, s0
	s_cselect_b64 s[0:1], -1, 0
	v_ashrrev_i32_e32 v3, 31, v9
	s_cmp_lg_u64 s[0:1], 0
	v_add_co_u32_e32 v5, vcc, v8, v3
	s_addc_u32 s16, s39, s16
	v_xor_b32_e32 v5, v5, v3
	v_addc_co_u32_e32 v7, vcc, v9, v3, vcc
	v_mad_u64_u32 v[9:10], s[0:1], v5, s16, 0
	v_mul_hi_u32 v11, v5, s31
	v_xor_b32_e32 v7, v7, v3
	v_xor_b32_e32 v3, s38, v3
	v_add_co_u32_e32 v13, vcc, v11, v9
	v_addc_co_u32_e32 v14, vcc, 0, v10, vcc
	v_mad_u64_u32 v[9:10], s[0:1], v7, s31, 0
	v_mad_u64_u32 v[11:12], s[0:1], v7, s16, 0
	v_add_co_u32_e32 v9, vcc, v13, v9
	v_addc_co_u32_e32 v9, vcc, v14, v10, vcc
	v_addc_co_u32_e32 v10, vcc, 0, v12, vcc
	v_add_co_u32_e32 v11, vcc, v9, v11
	v_addc_co_u32_e32 v12, vcc, 0, v10, vcc
	v_mul_lo_u32 v13, s41, v11
	v_mul_lo_u32 v14, s40, v12
	v_mad_u64_u32 v[9:10], s[0:1], s40, v11, 0
	v_add3_u32 v10, v10, v14, v13
	v_sub_u32_e32 v13, v7, v10
	v_mov_b32_e32 v14, s41
	v_sub_co_u32_e32 v5, vcc, v5, v9
	v_subb_co_u32_e64 v9, s[0:1], v13, v14, vcc
	v_subrev_co_u32_e64 v13, s[0:1], s40, v5
	v_subbrev_co_u32_e64 v9, s[0:1], 0, v9, s[0:1]
	v_cmp_le_u32_e64 s[0:1], s41, v9
	v_cndmask_b32_e64 v14, 0, -1, s[0:1]
	v_cmp_le_u32_e64 s[0:1], s40, v13
	v_cndmask_b32_e64 v13, 0, -1, s[0:1]
	v_cmp_eq_u32_e64 s[0:1], s41, v9
	v_cndmask_b32_e64 v9, v14, v13, s[0:1]
	v_add_co_u32_e64 v13, s[0:1], 2, v11
	v_subb_co_u32_e32 v7, vcc, v7, v10, vcc
	v_addc_co_u32_e64 v14, s[0:1], 0, v12, s[0:1]
	v_cmp_le_u32_e32 vcc, s41, v7
	v_add_co_u32_e64 v15, s[0:1], 1, v11
	v_cndmask_b32_e64 v10, 0, -1, vcc
	v_cmp_le_u32_e32 vcc, s40, v5
	v_addc_co_u32_e64 v16, s[0:1], 0, v12, s[0:1]
	v_cndmask_b32_e64 v5, 0, -1, vcc
	v_cmp_eq_u32_e32 vcc, s41, v7
	v_cmp_ne_u32_e64 s[0:1], 0, v9
	v_cndmask_b32_e32 v5, v10, v5, vcc
	v_cmp_ne_u32_e32 vcc, 0, v5
	v_cndmask_b32_e64 v7, v15, v13, s[0:1]
	v_cndmask_b32_e64 v9, v16, v14, s[0:1]
	v_cndmask_b32_e32 v7, v11, v7, vcc
	v_cndmask_b32_e32 v5, v12, v9, vcc
	v_xor_b32_e32 v7, v7, v3
	v_xor_b32_e32 v5, v5, v3
	v_sub_co_u32_e32 v10, vcc, v7, v3
	v_subb_co_u32_e32 v11, vcc, v5, v3, vcc
.LBB76_29:                              ;   in Loop: Header=BB76_23 Depth=2
	s_andn2_saveexec_b64 s[0:1], s[36:37]
	s_cbranch_execz .LBB76_31
; %bb.30:                               ;   in Loop: Header=BB76_23 Depth=2
	v_cvt_f32_u32_e32 v3, s50
	s_sub_i32 s16, 0, s50
	v_mov_b32_e32 v11, v2
	v_rcp_iflag_f32_e32 v3, v3
	v_mul_f32_e32 v3, 0x4f7ffffe, v3
	v_cvt_u32_f32_e32 v3, v3
	v_mul_lo_u32 v5, s16, v3
	v_mul_hi_u32 v5, v3, v5
	v_add_u32_e32 v3, v3, v5
	v_mul_hi_u32 v3, v8, v3
	v_mul_lo_u32 v5, v3, s50
	v_add_u32_e32 v7, 1, v3
	v_sub_u32_e32 v5, v8, v5
	v_subrev_u32_e32 v9, s50, v5
	v_cmp_le_u32_e32 vcc, s50, v5
	v_cndmask_b32_e32 v5, v5, v9, vcc
	v_cndmask_b32_e32 v3, v3, v7, vcc
	v_add_u32_e32 v7, 1, v3
	v_cmp_le_u32_e32 vcc, s50, v5
	v_cndmask_b32_e32 v10, v3, v7, vcc
.LBB76_31:                              ;   in Loop: Header=BB76_23 Depth=2
	s_or_b64 exec, exec, s[0:1]
	s_add_u32 s0, s4, s34
	s_addc_u32 s1, s5, s35
	s_add_i32 s16, s30, 5
	s_lshl_b64 s[34:35], s[16:17], 2
	s_add_u32 s36, s42, s34
	s_addc_u32 s37, s43, s35
	s_load_dword s52, s[36:37], 0x8
	s_load_dword s51, s[0:1], 0x6c
                                        ; implicit-def: $vgpr12_vgpr13
	s_waitcnt lgkmcnt(0)
	s_ashr_i32 s0, s52, 31
	v_or_b32_e32 v3, s0, v11
	v_cmp_ne_u64_e32 vcc, 0, v[2:3]
	s_and_saveexec_b64 s[36:37], vcc
	s_xor_b64 s[36:37], exec, s[36:37]
	s_cbranch_execz .LBB76_33
; %bb.32:                               ;   in Loop: Header=BB76_23 Depth=2
	s_ashr_i32 s38, s0, 31
	s_add_u32 s40, s52, s38
	s_mov_b32 s39, s38
	s_addc_u32 s41, s0, s38
	s_xor_b64 s[40:41], s[40:41], s[38:39]
	v_cvt_f32_u32_e32 v3, s40
	v_cvt_f32_u32_e32 v5, s41
	s_sub_u32 s16, 0, s40
	s_subb_u32 s31, 0, s41
	v_mac_f32_e32 v3, 0x4f800000, v5
	v_rcp_f32_e32 v3, v3
	v_mul_f32_e32 v3, 0x5f7ffffc, v3
	v_mul_f32_e32 v5, 0x2f800000, v3
	v_trunc_f32_e32 v5, v5
	v_mac_f32_e32 v3, 0xcf800000, v5
	v_cvt_u32_f32_e32 v5, v5
	v_cvt_u32_f32_e32 v3, v3
	v_readfirstlane_b32 s39, v5
	v_readfirstlane_b32 s0, v3
	s_mul_i32 s1, s16, s39
	s_mul_hi_u32 s54, s16, s0
	s_mul_i32 s53, s31, s0
	s_add_i32 s1, s54, s1
	s_add_i32 s1, s1, s53
	s_mul_i32 s55, s16, s0
	s_mul_i32 s54, s0, s1
	s_mul_hi_u32 s56, s0, s55
	s_mul_hi_u32 s53, s0, s1
	s_add_u32 s54, s56, s54
	s_addc_u32 s53, 0, s53
	s_mul_hi_u32 s57, s39, s55
	s_mul_i32 s55, s39, s55
	s_add_u32 s54, s54, s55
	s_mul_hi_u32 s56, s39, s1
	s_addc_u32 s53, s53, s57
	s_addc_u32 s54, s56, 0
	s_mul_i32 s1, s39, s1
	s_add_u32 s1, s53, s1
	s_addc_u32 s53, 0, s54
	s_add_u32 s54, s0, s1
	s_cselect_b64 s[0:1], -1, 0
	s_cmp_lg_u64 s[0:1], 0
	s_addc_u32 s39, s39, s53
	s_mul_i32 s0, s16, s39
	s_mul_hi_u32 s1, s16, s54
	s_add_i32 s0, s1, s0
	s_mul_i32 s31, s31, s54
	s_add_i32 s0, s0, s31
	s_mul_i32 s16, s16, s54
	s_mul_hi_u32 s31, s39, s16
	s_mul_i32 s53, s39, s16
	s_mul_i32 s56, s54, s0
	s_mul_hi_u32 s16, s54, s16
	s_mul_hi_u32 s55, s54, s0
	s_add_u32 s16, s16, s56
	s_addc_u32 s55, 0, s55
	s_add_u32 s16, s16, s53
	s_mul_hi_u32 s1, s39, s0
	s_addc_u32 s16, s55, s31
	s_addc_u32 s1, s1, 0
	s_mul_i32 s0, s39, s0
	s_add_u32 s0, s16, s0
	s_addc_u32 s16, 0, s1
	s_add_u32 s31, s54, s0
	s_cselect_b64 s[0:1], -1, 0
	v_ashrrev_i32_e32 v3, 31, v11
	s_cmp_lg_u64 s[0:1], 0
	v_add_co_u32_e32 v5, vcc, v10, v3
	s_addc_u32 s16, s39, s16
	v_xor_b32_e32 v5, v5, v3
	v_addc_co_u32_e32 v7, vcc, v11, v3, vcc
	v_mad_u64_u32 v[11:12], s[0:1], v5, s16, 0
	v_mul_hi_u32 v9, v5, s31
	v_xor_b32_e32 v7, v7, v3
	v_mad_u64_u32 v[13:14], s[0:1], v7, s16, 0
	v_add_co_u32_e32 v9, vcc, v9, v11
	v_addc_co_u32_e32 v15, vcc, 0, v12, vcc
	v_mad_u64_u32 v[11:12], s[0:1], v7, s31, 0
	v_xor_b32_e32 v3, s38, v3
	v_add_co_u32_e32 v9, vcc, v9, v11
	v_addc_co_u32_e32 v9, vcc, v15, v12, vcc
	v_addc_co_u32_e32 v11, vcc, 0, v14, vcc
	v_add_co_u32_e32 v9, vcc, v9, v13
	v_addc_co_u32_e32 v13, vcc, 0, v11, vcc
	v_mul_lo_u32 v14, s41, v9
	v_mul_lo_u32 v15, s40, v13
	v_mad_u64_u32 v[11:12], s[0:1], s40, v9, 0
	v_add3_u32 v12, v12, v15, v14
	v_sub_u32_e32 v14, v7, v12
	v_mov_b32_e32 v15, s41
	v_sub_co_u32_e32 v5, vcc, v5, v11
	v_subb_co_u32_e64 v11, s[0:1], v14, v15, vcc
	v_subrev_co_u32_e64 v14, s[0:1], s40, v5
	v_subbrev_co_u32_e64 v11, s[0:1], 0, v11, s[0:1]
	v_cmp_le_u32_e64 s[0:1], s41, v11
	v_cndmask_b32_e64 v15, 0, -1, s[0:1]
	v_cmp_le_u32_e64 s[0:1], s40, v14
	v_cndmask_b32_e64 v14, 0, -1, s[0:1]
	v_cmp_eq_u32_e64 s[0:1], s41, v11
	v_cndmask_b32_e64 v11, v15, v14, s[0:1]
	v_add_co_u32_e64 v14, s[0:1], 2, v9
	v_subb_co_u32_e32 v7, vcc, v7, v12, vcc
	v_addc_co_u32_e64 v15, s[0:1], 0, v13, s[0:1]
	v_cmp_le_u32_e32 vcc, s41, v7
	v_add_co_u32_e64 v16, s[0:1], 1, v9
	v_cndmask_b32_e64 v12, 0, -1, vcc
	v_cmp_le_u32_e32 vcc, s40, v5
	v_addc_co_u32_e64 v17, s[0:1], 0, v13, s[0:1]
	v_cndmask_b32_e64 v5, 0, -1, vcc
	v_cmp_eq_u32_e32 vcc, s41, v7
	v_cmp_ne_u32_e64 s[0:1], 0, v11
	v_cndmask_b32_e32 v5, v12, v5, vcc
	v_cmp_ne_u32_e32 vcc, 0, v5
	v_cndmask_b32_e64 v7, v16, v14, s[0:1]
	v_cndmask_b32_e64 v11, v17, v15, s[0:1]
	v_cndmask_b32_e32 v7, v9, v7, vcc
	v_cndmask_b32_e32 v5, v13, v11, vcc
	v_xor_b32_e32 v7, v7, v3
	v_xor_b32_e32 v5, v5, v3
	v_sub_co_u32_e32 v12, vcc, v7, v3
	v_subb_co_u32_e32 v13, vcc, v5, v3, vcc
.LBB76_33:                              ;   in Loop: Header=BB76_23 Depth=2
	s_andn2_saveexec_b64 s[0:1], s[36:37]
	s_cbranch_execz .LBB76_35
; %bb.34:                               ;   in Loop: Header=BB76_23 Depth=2
	v_cvt_f32_u32_e32 v3, s52
	s_sub_i32 s16, 0, s52
	v_mov_b32_e32 v13, v2
	v_rcp_iflag_f32_e32 v3, v3
	v_mul_f32_e32 v3, 0x4f7ffffe, v3
	v_cvt_u32_f32_e32 v3, v3
	v_mul_lo_u32 v5, s16, v3
	v_mul_hi_u32 v5, v3, v5
	v_add_u32_e32 v3, v3, v5
	v_mul_hi_u32 v3, v10, v3
	v_mul_lo_u32 v5, v3, s52
	v_add_u32_e32 v7, 1, v3
	v_sub_u32_e32 v5, v10, v5
	v_subrev_u32_e32 v9, s52, v5
	v_cmp_le_u32_e32 vcc, s52, v5
	v_cndmask_b32_e32 v5, v5, v9, vcc
	v_cndmask_b32_e32 v3, v3, v7, vcc
	v_add_u32_e32 v7, 1, v3
	v_cmp_le_u32_e32 vcc, s52, v5
	v_cndmask_b32_e32 v12, v3, v7, vcc
.LBB76_35:                              ;   in Loop: Header=BB76_23 Depth=2
	s_or_b64 exec, exec, s[0:1]
	s_add_u32 s0, s4, s34
	s_addc_u32 s1, s5, s35
	s_add_i32 s16, s30, 4
	s_lshl_b64 s[34:35], s[16:17], 2
	s_add_u32 s36, s42, s34
	s_addc_u32 s37, s43, s35
	s_load_dword s54, s[36:37], 0x8
	s_load_dword s53, s[0:1], 0x6c
                                        ; implicit-def: $vgpr14_vgpr15
	s_waitcnt lgkmcnt(0)
	s_ashr_i32 s0, s54, 31
	v_or_b32_e32 v3, s0, v13
	v_cmp_ne_u64_e32 vcc, 0, v[2:3]
	s_and_saveexec_b64 s[36:37], vcc
	s_xor_b64 s[36:37], exec, s[36:37]
	s_cbranch_execz .LBB76_37
; %bb.36:                               ;   in Loop: Header=BB76_23 Depth=2
	s_ashr_i32 s38, s0, 31
	s_add_u32 s40, s54, s38
	s_mov_b32 s39, s38
	s_addc_u32 s41, s0, s38
	s_xor_b64 s[40:41], s[40:41], s[38:39]
	v_cvt_f32_u32_e32 v3, s40
	v_cvt_f32_u32_e32 v5, s41
	s_sub_u32 s16, 0, s40
	s_subb_u32 s31, 0, s41
	v_mac_f32_e32 v3, 0x4f800000, v5
	v_rcp_f32_e32 v3, v3
	v_mul_f32_e32 v3, 0x5f7ffffc, v3
	v_mul_f32_e32 v5, 0x2f800000, v3
	v_trunc_f32_e32 v5, v5
	v_mac_f32_e32 v3, 0xcf800000, v5
	v_cvt_u32_f32_e32 v5, v5
	v_cvt_u32_f32_e32 v3, v3
	v_readfirstlane_b32 s39, v5
	v_readfirstlane_b32 s0, v3
	s_mul_i32 s1, s16, s39
	s_mul_hi_u32 s56, s16, s0
	s_mul_i32 s55, s31, s0
	s_add_i32 s1, s56, s1
	s_add_i32 s1, s1, s55
	s_mul_i32 s57, s16, s0
	s_mul_i32 s56, s0, s1
	s_mul_hi_u32 s58, s0, s57
	s_mul_hi_u32 s55, s0, s1
	s_add_u32 s56, s58, s56
	s_addc_u32 s55, 0, s55
	s_mul_hi_u32 s59, s39, s57
	s_mul_i32 s57, s39, s57
	s_add_u32 s56, s56, s57
	s_mul_hi_u32 s58, s39, s1
	s_addc_u32 s55, s55, s59
	s_addc_u32 s56, s58, 0
	s_mul_i32 s1, s39, s1
	s_add_u32 s1, s55, s1
	s_addc_u32 s55, 0, s56
	s_add_u32 s56, s0, s1
	s_cselect_b64 s[0:1], -1, 0
	s_cmp_lg_u64 s[0:1], 0
	s_addc_u32 s39, s39, s55
	s_mul_i32 s0, s16, s39
	s_mul_hi_u32 s1, s16, s56
	s_add_i32 s0, s1, s0
	s_mul_i32 s31, s31, s56
	s_add_i32 s0, s0, s31
	s_mul_i32 s16, s16, s56
	s_mul_hi_u32 s31, s39, s16
	s_mul_i32 s55, s39, s16
	s_mul_i32 s58, s56, s0
	s_mul_hi_u32 s16, s56, s16
	s_mul_hi_u32 s57, s56, s0
	s_add_u32 s16, s16, s58
	s_addc_u32 s57, 0, s57
	s_add_u32 s16, s16, s55
	s_mul_hi_u32 s1, s39, s0
	s_addc_u32 s16, s57, s31
	s_addc_u32 s1, s1, 0
	s_mul_i32 s0, s39, s0
	s_add_u32 s0, s16, s0
	s_addc_u32 s16, 0, s1
	s_add_u32 s31, s56, s0
	s_cselect_b64 s[0:1], -1, 0
	v_ashrrev_i32_e32 v3, 31, v13
	s_cmp_lg_u64 s[0:1], 0
	v_add_co_u32_e32 v5, vcc, v12, v3
	s_addc_u32 s16, s39, s16
	v_xor_b32_e32 v5, v5, v3
	v_addc_co_u32_e32 v7, vcc, v13, v3, vcc
	v_mad_u64_u32 v[13:14], s[0:1], v5, s16, 0
	v_mul_hi_u32 v9, v5, s31
	v_xor_b32_e32 v7, v7, v3
	v_mad_u64_u32 v[15:16], s[0:1], v7, s16, 0
	v_add_co_u32_e32 v9, vcc, v9, v13
	v_addc_co_u32_e32 v11, vcc, 0, v14, vcc
	v_mad_u64_u32 v[13:14], s[0:1], v7, s31, 0
	v_xor_b32_e32 v3, s38, v3
	v_add_co_u32_e32 v9, vcc, v9, v13
	v_addc_co_u32_e32 v9, vcc, v11, v14, vcc
	v_addc_co_u32_e32 v11, vcc, 0, v16, vcc
	v_add_co_u32_e32 v9, vcc, v9, v15
	v_addc_co_u32_e32 v11, vcc, 0, v11, vcc
	v_mul_lo_u32 v15, s41, v9
	v_mul_lo_u32 v16, s40, v11
	v_mad_u64_u32 v[13:14], s[0:1], s40, v9, 0
	v_add3_u32 v14, v14, v16, v15
	v_sub_u32_e32 v15, v7, v14
	v_mov_b32_e32 v16, s41
	v_sub_co_u32_e32 v5, vcc, v5, v13
	v_subb_co_u32_e64 v13, s[0:1], v15, v16, vcc
	v_subrev_co_u32_e64 v15, s[0:1], s40, v5
	v_subbrev_co_u32_e64 v13, s[0:1], 0, v13, s[0:1]
	v_cmp_le_u32_e64 s[0:1], s41, v13
	v_cndmask_b32_e64 v16, 0, -1, s[0:1]
	v_cmp_le_u32_e64 s[0:1], s40, v15
	v_cndmask_b32_e64 v15, 0, -1, s[0:1]
	v_cmp_eq_u32_e64 s[0:1], s41, v13
	v_cndmask_b32_e64 v13, v16, v15, s[0:1]
	v_add_co_u32_e64 v15, s[0:1], 2, v9
	v_subb_co_u32_e32 v7, vcc, v7, v14, vcc
	v_addc_co_u32_e64 v16, s[0:1], 0, v11, s[0:1]
	v_cmp_le_u32_e32 vcc, s41, v7
	v_add_co_u32_e64 v17, s[0:1], 1, v9
	v_cndmask_b32_e64 v14, 0, -1, vcc
	v_cmp_le_u32_e32 vcc, s40, v5
	v_addc_co_u32_e64 v18, s[0:1], 0, v11, s[0:1]
	v_cndmask_b32_e64 v5, 0, -1, vcc
	v_cmp_eq_u32_e32 vcc, s41, v7
	v_cmp_ne_u32_e64 s[0:1], 0, v13
	v_cndmask_b32_e32 v5, v14, v5, vcc
	v_cmp_ne_u32_e32 vcc, 0, v5
	v_cndmask_b32_e64 v7, v17, v15, s[0:1]
	v_cndmask_b32_e64 v13, v18, v16, s[0:1]
	v_cndmask_b32_e32 v7, v9, v7, vcc
	v_cndmask_b32_e32 v5, v11, v13, vcc
	v_xor_b32_e32 v7, v7, v3
	v_xor_b32_e32 v5, v5, v3
	v_sub_co_u32_e32 v14, vcc, v7, v3
	v_subb_co_u32_e32 v15, vcc, v5, v3, vcc
.LBB76_37:                              ;   in Loop: Header=BB76_23 Depth=2
	s_andn2_saveexec_b64 s[0:1], s[36:37]
	s_cbranch_execz .LBB76_39
; %bb.38:                               ;   in Loop: Header=BB76_23 Depth=2
	v_cvt_f32_u32_e32 v3, s54
	s_sub_i32 s16, 0, s54
	v_mov_b32_e32 v15, v2
	v_rcp_iflag_f32_e32 v3, v3
	v_mul_f32_e32 v3, 0x4f7ffffe, v3
	v_cvt_u32_f32_e32 v3, v3
	v_mul_lo_u32 v5, s16, v3
	v_mul_hi_u32 v5, v3, v5
	v_add_u32_e32 v3, v3, v5
	v_mul_hi_u32 v3, v12, v3
	v_mul_lo_u32 v5, v3, s54
	v_add_u32_e32 v7, 1, v3
	v_sub_u32_e32 v5, v12, v5
	v_subrev_u32_e32 v9, s54, v5
	v_cmp_le_u32_e32 vcc, s54, v5
	v_cndmask_b32_e32 v5, v5, v9, vcc
	v_cndmask_b32_e32 v3, v3, v7, vcc
	v_add_u32_e32 v7, 1, v3
	v_cmp_le_u32_e32 vcc, s54, v5
	v_cndmask_b32_e32 v14, v3, v7, vcc
.LBB76_39:                              ;   in Loop: Header=BB76_23 Depth=2
	s_or_b64 exec, exec, s[0:1]
	s_add_u32 s0, s4, s34
	s_addc_u32 s1, s5, s35
	s_add_i32 s16, s30, 3
	s_lshl_b64 s[34:35], s[16:17], 2
	s_add_u32 s36, s42, s34
	s_addc_u32 s37, s43, s35
	s_load_dword s55, s[36:37], 0x8
	s_load_dword s56, s[0:1], 0x6c
                                        ; implicit-def: $vgpr16_vgpr17
	s_waitcnt lgkmcnt(0)
	s_ashr_i32 s0, s55, 31
	v_or_b32_e32 v3, s0, v15
	v_cmp_ne_u64_e32 vcc, 0, v[2:3]
	s_and_saveexec_b64 s[36:37], vcc
	s_xor_b64 s[36:37], exec, s[36:37]
	s_cbranch_execz .LBB76_41
; %bb.40:                               ;   in Loop: Header=BB76_23 Depth=2
	s_ashr_i32 s38, s0, 31
	s_add_u32 s40, s55, s38
	s_mov_b32 s39, s38
	s_addc_u32 s41, s0, s38
	s_xor_b64 s[40:41], s[40:41], s[38:39]
	v_cvt_f32_u32_e32 v3, s40
	v_cvt_f32_u32_e32 v5, s41
	s_sub_u32 s16, 0, s40
	s_subb_u32 s31, 0, s41
	v_mac_f32_e32 v3, 0x4f800000, v5
	v_rcp_f32_e32 v3, v3
	v_mul_f32_e32 v3, 0x5f7ffffc, v3
	v_mul_f32_e32 v5, 0x2f800000, v3
	v_trunc_f32_e32 v5, v5
	v_mac_f32_e32 v3, 0xcf800000, v5
	v_cvt_u32_f32_e32 v5, v5
	v_cvt_u32_f32_e32 v3, v3
	v_readfirstlane_b32 s39, v5
	v_readfirstlane_b32 s0, v3
	s_mul_i32 s1, s16, s39
	s_mul_hi_u32 s58, s16, s0
	s_mul_i32 s57, s31, s0
	s_add_i32 s1, s58, s1
	s_add_i32 s1, s1, s57
	s_mul_i32 s59, s16, s0
	s_mul_i32 s58, s0, s1
	s_mul_hi_u32 s60, s0, s59
	s_mul_hi_u32 s57, s0, s1
	s_add_u32 s58, s60, s58
	s_addc_u32 s57, 0, s57
	s_mul_hi_u32 s61, s39, s59
	s_mul_i32 s59, s39, s59
	s_add_u32 s58, s58, s59
	s_mul_hi_u32 s60, s39, s1
	s_addc_u32 s57, s57, s61
	s_addc_u32 s58, s60, 0
	s_mul_i32 s1, s39, s1
	s_add_u32 s1, s57, s1
	s_addc_u32 s57, 0, s58
	s_add_u32 s58, s0, s1
	s_cselect_b64 s[0:1], -1, 0
	s_cmp_lg_u64 s[0:1], 0
	s_addc_u32 s39, s39, s57
	s_mul_i32 s0, s16, s39
	s_mul_hi_u32 s1, s16, s58
	s_add_i32 s0, s1, s0
	s_mul_i32 s31, s31, s58
	s_add_i32 s0, s0, s31
	s_mul_i32 s16, s16, s58
	s_mul_hi_u32 s31, s39, s16
	s_mul_i32 s57, s39, s16
	s_mul_i32 s60, s58, s0
	s_mul_hi_u32 s16, s58, s16
	s_mul_hi_u32 s59, s58, s0
	s_add_u32 s16, s16, s60
	s_addc_u32 s59, 0, s59
	s_add_u32 s16, s16, s57
	s_mul_hi_u32 s1, s39, s0
	s_addc_u32 s16, s59, s31
	s_addc_u32 s1, s1, 0
	s_mul_i32 s0, s39, s0
	s_add_u32 s0, s16, s0
	s_addc_u32 s16, 0, s1
	s_add_u32 s31, s58, s0
	s_cselect_b64 s[0:1], -1, 0
	v_ashrrev_i32_e32 v3, 31, v15
	s_cmp_lg_u64 s[0:1], 0
	v_add_co_u32_e32 v5, vcc, v14, v3
	s_addc_u32 s16, s39, s16
	v_xor_b32_e32 v5, v5, v3
	v_addc_co_u32_e32 v7, vcc, v15, v3, vcc
	v_mad_u64_u32 v[15:16], s[0:1], v5, s16, 0
	v_mul_hi_u32 v9, v5, s31
	v_xor_b32_e32 v7, v7, v3
	v_mad_u64_u32 v[17:18], s[0:1], v7, s16, 0
	v_add_co_u32_e32 v9, vcc, v9, v15
	v_addc_co_u32_e32 v11, vcc, 0, v16, vcc
	v_mad_u64_u32 v[15:16], s[0:1], v7, s31, 0
	v_xor_b32_e32 v3, s38, v3
	v_add_co_u32_e32 v9, vcc, v9, v15
	v_addc_co_u32_e32 v9, vcc, v11, v16, vcc
	v_addc_co_u32_e32 v11, vcc, 0, v18, vcc
	v_add_co_u32_e32 v9, vcc, v9, v17
	v_addc_co_u32_e32 v11, vcc, 0, v11, vcc
	v_mul_lo_u32 v13, s41, v9
	v_mul_lo_u32 v17, s40, v11
	v_mad_u64_u32 v[15:16], s[0:1], s40, v9, 0
	v_add3_u32 v13, v16, v17, v13
	v_sub_u32_e32 v16, v7, v13
	v_mov_b32_e32 v17, s41
	v_sub_co_u32_e32 v5, vcc, v5, v15
	v_subb_co_u32_e64 v15, s[0:1], v16, v17, vcc
	v_subrev_co_u32_e64 v16, s[0:1], s40, v5
	v_subbrev_co_u32_e64 v15, s[0:1], 0, v15, s[0:1]
	v_cmp_le_u32_e64 s[0:1], s41, v15
	v_cndmask_b32_e64 v17, 0, -1, s[0:1]
	v_cmp_le_u32_e64 s[0:1], s40, v16
	v_cndmask_b32_e64 v16, 0, -1, s[0:1]
	v_cmp_eq_u32_e64 s[0:1], s41, v15
	v_cndmask_b32_e64 v15, v17, v16, s[0:1]
	v_add_co_u32_e64 v16, s[0:1], 2, v9
	v_subb_co_u32_e32 v7, vcc, v7, v13, vcc
	v_addc_co_u32_e64 v17, s[0:1], 0, v11, s[0:1]
	v_cmp_le_u32_e32 vcc, s41, v7
	v_add_co_u32_e64 v18, s[0:1], 1, v9
	v_cndmask_b32_e64 v13, 0, -1, vcc
	v_cmp_le_u32_e32 vcc, s40, v5
	v_addc_co_u32_e64 v19, s[0:1], 0, v11, s[0:1]
	v_cndmask_b32_e64 v5, 0, -1, vcc
	v_cmp_eq_u32_e32 vcc, s41, v7
	v_cmp_ne_u32_e64 s[0:1], 0, v15
	v_cndmask_b32_e32 v5, v13, v5, vcc
	v_cmp_ne_u32_e32 vcc, 0, v5
	v_cndmask_b32_e64 v7, v18, v16, s[0:1]
	v_cndmask_b32_e64 v15, v19, v17, s[0:1]
	v_cndmask_b32_e32 v7, v9, v7, vcc
	v_cndmask_b32_e32 v5, v11, v15, vcc
	v_xor_b32_e32 v7, v7, v3
	v_xor_b32_e32 v5, v5, v3
	v_sub_co_u32_e32 v16, vcc, v7, v3
	v_subb_co_u32_e32 v17, vcc, v5, v3, vcc
.LBB76_41:                              ;   in Loop: Header=BB76_23 Depth=2
	s_andn2_saveexec_b64 s[0:1], s[36:37]
	s_cbranch_execz .LBB76_43
; %bb.42:                               ;   in Loop: Header=BB76_23 Depth=2
	v_cvt_f32_u32_e32 v3, s55
	s_sub_i32 s16, 0, s55
	v_mov_b32_e32 v17, v2
	v_rcp_iflag_f32_e32 v3, v3
	v_mul_f32_e32 v3, 0x4f7ffffe, v3
	v_cvt_u32_f32_e32 v3, v3
	v_mul_lo_u32 v5, s16, v3
	v_mul_hi_u32 v5, v3, v5
	v_add_u32_e32 v3, v3, v5
	v_mul_hi_u32 v3, v14, v3
	v_mul_lo_u32 v5, v3, s55
	v_add_u32_e32 v7, 1, v3
	v_sub_u32_e32 v5, v14, v5
	v_subrev_u32_e32 v9, s55, v5
	v_cmp_le_u32_e32 vcc, s55, v5
	v_cndmask_b32_e32 v5, v5, v9, vcc
	v_cndmask_b32_e32 v3, v3, v7, vcc
	v_add_u32_e32 v7, 1, v3
	v_cmp_le_u32_e32 vcc, s55, v5
	v_cndmask_b32_e32 v16, v3, v7, vcc
.LBB76_43:                              ;   in Loop: Header=BB76_23 Depth=2
	s_or_b64 exec, exec, s[0:1]
	s_add_u32 s0, s4, s34
	s_addc_u32 s1, s5, s35
	s_add_i32 s16, s30, 2
	s_lshl_b64 s[34:35], s[16:17], 2
	s_add_u32 s36, s42, s34
	s_addc_u32 s37, s43, s35
	s_load_dword s58, s[36:37], 0x8
	s_load_dword s57, s[0:1], 0x6c
                                        ; implicit-def: $vgpr18_vgpr19
	s_waitcnt lgkmcnt(0)
	s_ashr_i32 s0, s58, 31
	v_or_b32_e32 v3, s0, v17
	v_cmp_ne_u64_e32 vcc, 0, v[2:3]
	s_and_saveexec_b64 s[36:37], vcc
	s_xor_b64 s[36:37], exec, s[36:37]
	s_cbranch_execz .LBB76_45
; %bb.44:                               ;   in Loop: Header=BB76_23 Depth=2
	s_ashr_i32 s38, s0, 31
	s_add_u32 s40, s58, s38
	s_mov_b32 s39, s38
	s_addc_u32 s41, s0, s38
	s_xor_b64 s[40:41], s[40:41], s[38:39]
	v_cvt_f32_u32_e32 v3, s40
	v_cvt_f32_u32_e32 v5, s41
	s_sub_u32 s16, 0, s40
	s_subb_u32 s31, 0, s41
	v_mac_f32_e32 v3, 0x4f800000, v5
	v_rcp_f32_e32 v3, v3
	v_mul_f32_e32 v3, 0x5f7ffffc, v3
	v_mul_f32_e32 v5, 0x2f800000, v3
	v_trunc_f32_e32 v5, v5
	v_mac_f32_e32 v3, 0xcf800000, v5
	v_cvt_u32_f32_e32 v5, v5
	v_cvt_u32_f32_e32 v3, v3
	v_readfirstlane_b32 s39, v5
	v_readfirstlane_b32 s0, v3
	s_mul_i32 s1, s16, s39
	s_mul_hi_u32 s60, s16, s0
	s_mul_i32 s59, s31, s0
	s_add_i32 s1, s60, s1
	s_add_i32 s1, s1, s59
	s_mul_i32 s61, s16, s0
	s_mul_i32 s60, s0, s1
	s_mul_hi_u32 s62, s0, s61
	s_mul_hi_u32 s59, s0, s1
	s_add_u32 s60, s62, s60
	s_addc_u32 s59, 0, s59
	s_mul_hi_u32 s63, s39, s61
	s_mul_i32 s61, s39, s61
	s_add_u32 s60, s60, s61
	s_mul_hi_u32 s62, s39, s1
	s_addc_u32 s59, s59, s63
	s_addc_u32 s60, s62, 0
	s_mul_i32 s1, s39, s1
	s_add_u32 s1, s59, s1
	s_addc_u32 s59, 0, s60
	s_add_u32 s60, s0, s1
	s_cselect_b64 s[0:1], -1, 0
	s_cmp_lg_u64 s[0:1], 0
	s_addc_u32 s39, s39, s59
	s_mul_i32 s0, s16, s39
	s_mul_hi_u32 s1, s16, s60
	s_add_i32 s0, s1, s0
	s_mul_i32 s31, s31, s60
	s_add_i32 s0, s0, s31
	s_mul_i32 s16, s16, s60
	s_mul_hi_u32 s31, s39, s16
	s_mul_i32 s59, s39, s16
	s_mul_i32 s62, s60, s0
	s_mul_hi_u32 s16, s60, s16
	s_mul_hi_u32 s61, s60, s0
	s_add_u32 s16, s16, s62
	s_addc_u32 s61, 0, s61
	s_add_u32 s16, s16, s59
	s_mul_hi_u32 s1, s39, s0
	s_addc_u32 s16, s61, s31
	s_addc_u32 s1, s1, 0
	s_mul_i32 s0, s39, s0
	s_add_u32 s0, s16, s0
	s_addc_u32 s16, 0, s1
	s_add_u32 s31, s60, s0
	s_cselect_b64 s[0:1], -1, 0
	v_ashrrev_i32_e32 v3, 31, v17
	s_cmp_lg_u64 s[0:1], 0
	v_add_co_u32_e32 v5, vcc, v16, v3
	s_addc_u32 s16, s39, s16
	v_xor_b32_e32 v5, v5, v3
	v_addc_co_u32_e32 v7, vcc, v17, v3, vcc
	v_mad_u64_u32 v[17:18], s[0:1], v5, s16, 0
	v_mul_hi_u32 v9, v5, s31
	v_xor_b32_e32 v7, v7, v3
	v_mad_u64_u32 v[19:20], s[0:1], v7, s16, 0
	v_add_co_u32_e32 v9, vcc, v9, v17
	v_addc_co_u32_e32 v11, vcc, 0, v18, vcc
	v_mad_u64_u32 v[17:18], s[0:1], v7, s31, 0
	v_xor_b32_e32 v3, s38, v3
	v_add_co_u32_e32 v9, vcc, v9, v17
	v_addc_co_u32_e32 v9, vcc, v11, v18, vcc
	v_addc_co_u32_e32 v11, vcc, 0, v20, vcc
	v_add_co_u32_e32 v9, vcc, v9, v19
	v_addc_co_u32_e32 v11, vcc, 0, v11, vcc
	v_mul_lo_u32 v13, s41, v9
	v_mul_lo_u32 v15, s40, v11
	v_mad_u64_u32 v[17:18], s[0:1], s40, v9, 0
	v_add3_u32 v13, v18, v15, v13
	v_sub_u32_e32 v15, v7, v13
	v_mov_b32_e32 v18, s41
	v_sub_co_u32_e32 v5, vcc, v5, v17
	v_subb_co_u32_e64 v15, s[0:1], v15, v18, vcc
	v_subrev_co_u32_e64 v17, s[0:1], s40, v5
	v_subbrev_co_u32_e64 v15, s[0:1], 0, v15, s[0:1]
	v_cmp_le_u32_e64 s[0:1], s41, v15
	v_cndmask_b32_e64 v18, 0, -1, s[0:1]
	v_cmp_le_u32_e64 s[0:1], s40, v17
	v_cndmask_b32_e64 v17, 0, -1, s[0:1]
	v_cmp_eq_u32_e64 s[0:1], s41, v15
	v_cndmask_b32_e64 v15, v18, v17, s[0:1]
	v_add_co_u32_e64 v17, s[0:1], 2, v9
	v_subb_co_u32_e32 v7, vcc, v7, v13, vcc
	v_addc_co_u32_e64 v18, s[0:1], 0, v11, s[0:1]
	v_cmp_le_u32_e32 vcc, s41, v7
	v_add_co_u32_e64 v19, s[0:1], 1, v9
	v_cndmask_b32_e64 v13, 0, -1, vcc
	v_cmp_le_u32_e32 vcc, s40, v5
	v_addc_co_u32_e64 v20, s[0:1], 0, v11, s[0:1]
	v_cndmask_b32_e64 v5, 0, -1, vcc
	v_cmp_eq_u32_e32 vcc, s41, v7
	v_cmp_ne_u32_e64 s[0:1], 0, v15
	v_cndmask_b32_e32 v5, v13, v5, vcc
	v_cmp_ne_u32_e32 vcc, 0, v5
	v_cndmask_b32_e64 v7, v19, v17, s[0:1]
	v_cndmask_b32_e64 v15, v20, v18, s[0:1]
	v_cndmask_b32_e32 v7, v9, v7, vcc
	v_cndmask_b32_e32 v5, v11, v15, vcc
	v_xor_b32_e32 v7, v7, v3
	v_xor_b32_e32 v5, v5, v3
	v_sub_co_u32_e32 v18, vcc, v7, v3
	v_subb_co_u32_e32 v19, vcc, v5, v3, vcc
.LBB76_45:                              ;   in Loop: Header=BB76_23 Depth=2
	s_andn2_saveexec_b64 s[0:1], s[36:37]
	s_cbranch_execz .LBB76_47
; %bb.46:                               ;   in Loop: Header=BB76_23 Depth=2
	v_cvt_f32_u32_e32 v3, s58
	s_sub_i32 s16, 0, s58
	v_mov_b32_e32 v19, v2
	v_rcp_iflag_f32_e32 v3, v3
	v_mul_f32_e32 v3, 0x4f7ffffe, v3
	v_cvt_u32_f32_e32 v3, v3
	v_mul_lo_u32 v5, s16, v3
	v_mul_hi_u32 v5, v3, v5
	v_add_u32_e32 v3, v3, v5
	v_mul_hi_u32 v3, v16, v3
	v_mul_lo_u32 v5, v3, s58
	v_add_u32_e32 v7, 1, v3
	v_sub_u32_e32 v5, v16, v5
	v_subrev_u32_e32 v9, s58, v5
	v_cmp_le_u32_e32 vcc, s58, v5
	v_cndmask_b32_e32 v5, v5, v9, vcc
	v_cndmask_b32_e32 v3, v3, v7, vcc
	v_add_u32_e32 v7, 1, v3
	v_cmp_le_u32_e32 vcc, s58, v5
	v_cndmask_b32_e32 v18, v3, v7, vcc
.LBB76_47:                              ;   in Loop: Header=BB76_23 Depth=2
	s_or_b64 exec, exec, s[0:1]
	s_add_u32 s0, s4, s34
	s_addc_u32 s1, s5, s35
	s_add_i32 s16, s30, 1
	s_lshl_b64 s[34:35], s[16:17], 2
	s_add_u32 s36, s42, s34
	s_addc_u32 s37, s43, s35
	s_load_dword s59, s[36:37], 0x8
	s_load_dword s16, s[0:1], 0x6c
                                        ; implicit-def: $vgpr20_vgpr21
	s_waitcnt lgkmcnt(0)
	s_ashr_i32 s0, s59, 31
	v_or_b32_e32 v3, s0, v19
	v_cmp_ne_u64_e32 vcc, 0, v[2:3]
	s_and_saveexec_b64 s[36:37], vcc
	s_xor_b64 s[36:37], exec, s[36:37]
	s_cbranch_execz .LBB76_49
; %bb.48:                               ;   in Loop: Header=BB76_23 Depth=2
	s_ashr_i32 s38, s0, 31
	s_add_u32 s40, s59, s38
	s_mov_b32 s39, s38
	s_addc_u32 s41, s0, s38
	s_xor_b64 s[40:41], s[40:41], s[38:39]
	v_cvt_f32_u32_e32 v3, s40
	v_cvt_f32_u32_e32 v5, s41
	s_sub_u32 s31, 0, s40
	s_subb_u32 s39, 0, s41
	v_mov_b32_e32 v17, s41
	v_mac_f32_e32 v3, 0x4f800000, v5
	v_rcp_f32_e32 v3, v3
	v_mul_f32_e32 v3, 0x5f7ffffc, v3
	v_mul_f32_e32 v5, 0x2f800000, v3
	v_trunc_f32_e32 v5, v5
	v_mac_f32_e32 v3, 0xcf800000, v5
	v_cvt_u32_f32_e32 v5, v5
	v_cvt_u32_f32_e32 v3, v3
	v_readfirstlane_b32 s60, v5
	v_readfirstlane_b32 s0, v3
	s_mul_i32 s1, s31, s60
	s_mul_hi_u32 s62, s31, s0
	s_mul_i32 s61, s39, s0
	s_add_i32 s1, s62, s1
	s_add_i32 s1, s1, s61
	s_mul_i32 s63, s31, s0
	s_mul_i32 s62, s0, s1
	s_mul_hi_u32 s64, s0, s63
	s_mul_hi_u32 s61, s0, s1
	s_add_u32 s62, s64, s62
	s_addc_u32 s61, 0, s61
	s_mul_hi_u32 s65, s60, s63
	s_mul_i32 s63, s60, s63
	s_add_u32 s62, s62, s63
	s_mul_hi_u32 s64, s60, s1
	s_addc_u32 s61, s61, s65
	s_addc_u32 s62, s64, 0
	s_mul_i32 s1, s60, s1
	s_add_u32 s1, s61, s1
	s_addc_u32 s61, 0, s62
	s_add_u32 s62, s0, s1
	s_cselect_b64 s[0:1], -1, 0
	s_cmp_lg_u64 s[0:1], 0
	s_addc_u32 s60, s60, s61
	s_mul_i32 s0, s31, s60
	s_mul_hi_u32 s1, s31, s62
	s_add_i32 s0, s1, s0
	s_mul_i32 s39, s39, s62
	s_add_i32 s0, s0, s39
	s_mul_i32 s31, s31, s62
	s_mul_hi_u32 s39, s60, s31
	s_mul_i32 s61, s60, s31
	s_mul_i32 s64, s62, s0
	s_mul_hi_u32 s31, s62, s31
	s_mul_hi_u32 s63, s62, s0
	s_add_u32 s31, s31, s64
	s_addc_u32 s63, 0, s63
	s_add_u32 s31, s31, s61
	s_mul_hi_u32 s1, s60, s0
	s_addc_u32 s31, s63, s39
	s_addc_u32 s1, s1, 0
	s_mul_i32 s0, s60, s0
	s_add_u32 s0, s31, s0
	s_addc_u32 s31, 0, s1
	s_add_u32 s39, s62, s0
	s_cselect_b64 s[0:1], -1, 0
	v_ashrrev_i32_e32 v3, 31, v19
	s_cmp_lg_u64 s[0:1], 0
	v_add_co_u32_e32 v5, vcc, v18, v3
	s_addc_u32 s31, s60, s31
	v_xor_b32_e32 v5, v5, v3
	v_addc_co_u32_e32 v7, vcc, v19, v3, vcc
	v_mad_u64_u32 v[19:20], s[0:1], v5, s31, 0
	v_mul_hi_u32 v9, v5, s39
	v_xor_b32_e32 v7, v7, v3
	v_mad_u64_u32 v[21:22], s[0:1], v7, s31, 0
	v_add_co_u32_e32 v9, vcc, v9, v19
	v_addc_co_u32_e32 v11, vcc, 0, v20, vcc
	v_mad_u64_u32 v[19:20], s[0:1], v7, s39, 0
	v_xor_b32_e32 v3, s38, v3
	v_add_co_u32_e32 v9, vcc, v9, v19
	v_addc_co_u32_e32 v9, vcc, v11, v20, vcc
	v_addc_co_u32_e32 v11, vcc, 0, v22, vcc
	v_add_co_u32_e32 v9, vcc, v9, v21
	v_addc_co_u32_e32 v11, vcc, 0, v11, vcc
	v_mul_lo_u32 v13, s41, v9
	v_mul_lo_u32 v15, s40, v11
	v_mad_u64_u32 v[19:20], s[0:1], s40, v9, 0
	v_add3_u32 v13, v20, v15, v13
	v_sub_u32_e32 v15, v7, v13
	v_sub_co_u32_e32 v5, vcc, v5, v19
	v_subb_co_u32_e64 v15, s[0:1], v15, v17, vcc
	v_subrev_co_u32_e64 v17, s[0:1], s40, v5
	v_subbrev_co_u32_e64 v15, s[0:1], 0, v15, s[0:1]
	v_cmp_le_u32_e64 s[0:1], s41, v15
	v_cndmask_b32_e64 v19, 0, -1, s[0:1]
	v_cmp_le_u32_e64 s[0:1], s40, v17
	v_cndmask_b32_e64 v17, 0, -1, s[0:1]
	v_cmp_eq_u32_e64 s[0:1], s41, v15
	v_cndmask_b32_e64 v15, v19, v17, s[0:1]
	v_add_co_u32_e64 v17, s[0:1], 2, v9
	v_subb_co_u32_e32 v7, vcc, v7, v13, vcc
	v_addc_co_u32_e64 v19, s[0:1], 0, v11, s[0:1]
	v_cmp_le_u32_e32 vcc, s41, v7
	v_add_co_u32_e64 v20, s[0:1], 1, v9
	v_cndmask_b32_e64 v13, 0, -1, vcc
	v_cmp_le_u32_e32 vcc, s40, v5
	v_addc_co_u32_e64 v21, s[0:1], 0, v11, s[0:1]
	v_cndmask_b32_e64 v5, 0, -1, vcc
	v_cmp_eq_u32_e32 vcc, s41, v7
	v_cmp_ne_u32_e64 s[0:1], 0, v15
	v_cndmask_b32_e32 v5, v13, v5, vcc
	v_cmp_ne_u32_e32 vcc, 0, v5
	v_cndmask_b32_e64 v7, v20, v17, s[0:1]
	v_cndmask_b32_e64 v15, v21, v19, s[0:1]
	v_cndmask_b32_e32 v7, v9, v7, vcc
	v_cndmask_b32_e32 v5, v11, v15, vcc
	v_xor_b32_e32 v7, v7, v3
	v_xor_b32_e32 v5, v5, v3
	v_sub_co_u32_e32 v20, vcc, v7, v3
	v_subb_co_u32_e32 v21, vcc, v5, v3, vcc
.LBB76_49:                              ;   in Loop: Header=BB76_23 Depth=2
	s_andn2_saveexec_b64 s[0:1], s[36:37]
	s_cbranch_execz .LBB76_51
; %bb.50:                               ;   in Loop: Header=BB76_23 Depth=2
	v_cvt_f32_u32_e32 v3, s59
	s_sub_i32 s31, 0, s59
	v_mov_b32_e32 v21, v2
	v_rcp_iflag_f32_e32 v3, v3
	v_mul_f32_e32 v3, 0x4f7ffffe, v3
	v_cvt_u32_f32_e32 v3, v3
	v_mul_lo_u32 v5, s31, v3
	v_mul_hi_u32 v5, v3, v5
	v_add_u32_e32 v3, v3, v5
	v_mul_hi_u32 v3, v18, v3
	v_mul_lo_u32 v5, v3, s59
	v_add_u32_e32 v7, 1, v3
	v_sub_u32_e32 v5, v18, v5
	v_subrev_u32_e32 v9, s59, v5
	v_cmp_le_u32_e32 vcc, s59, v5
	v_cndmask_b32_e32 v5, v5, v9, vcc
	v_cndmask_b32_e32 v3, v3, v7, vcc
	v_add_u32_e32 v7, 1, v3
	v_cmp_le_u32_e32 vcc, s59, v5
	v_cndmask_b32_e32 v20, v3, v7, vcc
.LBB76_51:                              ;   in Loop: Header=BB76_23 Depth=2
	s_or_b64 exec, exec, s[0:1]
	s_add_u32 s0, s4, s34
	s_mov_b32 s31, s17
	s_addc_u32 s1, s5, s35
	s_lshl_b64 s[34:35], s[30:31], 2
	s_add_u32 s36, s42, s34
	s_addc_u32 s37, s43, s35
	s_load_dword s60, s[36:37], 0x8
	s_load_dword s31, s[0:1], 0x6c
                                        ; implicit-def: $vgpr22_vgpr23
	s_waitcnt lgkmcnt(0)
	s_ashr_i32 s0, s60, 31
	v_or_b32_e32 v3, s0, v21
	v_cmp_ne_u64_e32 vcc, 0, v[2:3]
	s_and_saveexec_b64 s[36:37], vcc
	s_xor_b64 s[36:37], exec, s[36:37]
	s_cbranch_execz .LBB76_53
; %bb.52:                               ;   in Loop: Header=BB76_23 Depth=2
	s_ashr_i32 s38, s0, 31
	s_add_u32 s40, s60, s38
	s_mov_b32 s39, s38
	s_addc_u32 s41, s0, s38
	s_xor_b64 s[40:41], s[40:41], s[38:39]
	v_cvt_f32_u32_e32 v3, s40
	v_cvt_f32_u32_e32 v5, s41
	s_sub_u32 s39, 0, s40
	s_subb_u32 s61, 0, s41
	v_mov_b32_e32 v17, s41
	v_mac_f32_e32 v3, 0x4f800000, v5
	v_rcp_f32_e32 v3, v3
	v_mul_f32_e32 v3, 0x5f7ffffc, v3
	v_mul_f32_e32 v5, 0x2f800000, v3
	v_trunc_f32_e32 v5, v5
	v_mac_f32_e32 v3, 0xcf800000, v5
	v_cvt_u32_f32_e32 v5, v5
	v_cvt_u32_f32_e32 v3, v3
	v_readfirstlane_b32 s62, v5
	v_readfirstlane_b32 s0, v3
	s_mul_i32 s1, s39, s62
	s_mul_hi_u32 s64, s39, s0
	s_mul_i32 s63, s61, s0
	s_add_i32 s1, s64, s1
	s_add_i32 s1, s1, s63
	s_mul_i32 s65, s39, s0
	s_mul_i32 s64, s0, s1
	s_mul_hi_u32 s66, s0, s65
	s_mul_hi_u32 s63, s0, s1
	s_add_u32 s64, s66, s64
	s_addc_u32 s63, 0, s63
	s_mul_hi_u32 s67, s62, s65
	s_mul_i32 s65, s62, s65
	s_add_u32 s64, s64, s65
	s_mul_hi_u32 s66, s62, s1
	s_addc_u32 s63, s63, s67
	s_addc_u32 s64, s66, 0
	s_mul_i32 s1, s62, s1
	s_add_u32 s1, s63, s1
	s_addc_u32 s63, 0, s64
	s_add_u32 s64, s0, s1
	s_cselect_b64 s[0:1], -1, 0
	s_cmp_lg_u64 s[0:1], 0
	s_addc_u32 s62, s62, s63
	s_mul_i32 s0, s39, s62
	s_mul_hi_u32 s1, s39, s64
	s_add_i32 s0, s1, s0
	s_mul_i32 s61, s61, s64
	s_add_i32 s0, s0, s61
	s_mul_i32 s39, s39, s64
	s_mul_hi_u32 s61, s62, s39
	s_mul_i32 s63, s62, s39
	s_mul_i32 s66, s64, s0
	s_mul_hi_u32 s39, s64, s39
	s_mul_hi_u32 s65, s64, s0
	s_add_u32 s39, s39, s66
	s_addc_u32 s65, 0, s65
	s_add_u32 s39, s39, s63
	s_mul_hi_u32 s1, s62, s0
	s_addc_u32 s39, s65, s61
	s_addc_u32 s1, s1, 0
	s_mul_i32 s0, s62, s0
	s_add_u32 s0, s39, s0
	s_addc_u32 s39, 0, s1
	s_add_u32 s61, s64, s0
	s_cselect_b64 s[0:1], -1, 0
	v_ashrrev_i32_e32 v3, 31, v21
	s_cmp_lg_u64 s[0:1], 0
	v_add_co_u32_e32 v5, vcc, v20, v3
	s_addc_u32 s39, s62, s39
	v_xor_b32_e32 v5, v5, v3
	v_addc_co_u32_e32 v7, vcc, v21, v3, vcc
	v_mad_u64_u32 v[21:22], s[0:1], v5, s39, 0
	v_mul_hi_u32 v9, v5, s61
	v_xor_b32_e32 v7, v7, v3
	v_mad_u64_u32 v[26:27], s[0:1], v7, s39, 0
	v_add_co_u32_e32 v9, vcc, v9, v21
	v_addc_co_u32_e32 v11, vcc, 0, v22, vcc
	v_mad_u64_u32 v[21:22], s[0:1], v7, s61, 0
	v_xor_b32_e32 v3, s38, v3
	v_add_co_u32_e32 v9, vcc, v9, v21
	v_addc_co_u32_e32 v9, vcc, v11, v22, vcc
	v_addc_co_u32_e32 v11, vcc, 0, v27, vcc
	v_add_co_u32_e32 v9, vcc, v9, v26
	v_addc_co_u32_e32 v11, vcc, 0, v11, vcc
	v_mul_lo_u32 v13, s41, v9
	v_mul_lo_u32 v15, s40, v11
	v_mad_u64_u32 v[21:22], s[0:1], s40, v9, 0
	v_add3_u32 v13, v22, v15, v13
	v_sub_u32_e32 v15, v7, v13
	v_sub_co_u32_e32 v5, vcc, v5, v21
	v_subb_co_u32_e64 v15, s[0:1], v15, v17, vcc
	v_subrev_co_u32_e64 v17, s[0:1], s40, v5
	v_subbrev_co_u32_e64 v15, s[0:1], 0, v15, s[0:1]
	v_cmp_le_u32_e64 s[0:1], s41, v15
	v_cndmask_b32_e64 v19, 0, -1, s[0:1]
	v_cmp_le_u32_e64 s[0:1], s40, v17
	v_cndmask_b32_e64 v17, 0, -1, s[0:1]
	v_cmp_eq_u32_e64 s[0:1], s41, v15
	v_cndmask_b32_e64 v15, v19, v17, s[0:1]
	v_add_co_u32_e64 v17, s[0:1], 2, v9
	v_subb_co_u32_e32 v7, vcc, v7, v13, vcc
	v_addc_co_u32_e64 v19, s[0:1], 0, v11, s[0:1]
	v_cmp_le_u32_e32 vcc, s41, v7
	v_add_co_u32_e64 v21, s[0:1], 1, v9
	v_cndmask_b32_e64 v13, 0, -1, vcc
	v_cmp_le_u32_e32 vcc, s40, v5
	v_addc_co_u32_e64 v22, s[0:1], 0, v11, s[0:1]
	v_cndmask_b32_e64 v5, 0, -1, vcc
	v_cmp_eq_u32_e32 vcc, s41, v7
	v_cmp_ne_u32_e64 s[0:1], 0, v15
	v_cndmask_b32_e32 v5, v13, v5, vcc
	v_cmp_ne_u32_e32 vcc, 0, v5
	v_cndmask_b32_e64 v7, v21, v17, s[0:1]
	v_cndmask_b32_e64 v15, v22, v19, s[0:1]
	v_cndmask_b32_e32 v7, v9, v7, vcc
	v_cndmask_b32_e32 v5, v11, v15, vcc
	v_xor_b32_e32 v7, v7, v3
	v_xor_b32_e32 v5, v5, v3
	v_sub_co_u32_e32 v22, vcc, v7, v3
	v_subb_co_u32_e32 v23, vcc, v5, v3, vcc
.LBB76_53:                              ;   in Loop: Header=BB76_23 Depth=2
	s_andn2_saveexec_b64 s[0:1], s[36:37]
	s_cbranch_execz .LBB76_55
; %bb.54:                               ;   in Loop: Header=BB76_23 Depth=2
	v_cvt_f32_u32_e32 v3, s60
	s_sub_i32 s36, 0, s60
	v_mov_b32_e32 v23, v2
	v_rcp_iflag_f32_e32 v3, v3
	v_mul_f32_e32 v3, 0x4f7ffffe, v3
	v_cvt_u32_f32_e32 v3, v3
	v_mul_lo_u32 v5, s36, v3
	v_mul_hi_u32 v5, v3, v5
	v_add_u32_e32 v3, v3, v5
	v_mul_hi_u32 v3, v20, v3
	v_mul_lo_u32 v5, v3, s60
	v_add_u32_e32 v7, 1, v3
	v_sub_u32_e32 v5, v20, v5
	v_subrev_u32_e32 v9, s60, v5
	v_cmp_le_u32_e32 vcc, s60, v5
	v_cndmask_b32_e32 v5, v5, v9, vcc
	v_cndmask_b32_e32 v3, v3, v7, vcc
	v_add_u32_e32 v7, 1, v3
	v_cmp_le_u32_e32 vcc, s60, v5
	v_cndmask_b32_e32 v22, v3, v7, vcc
.LBB76_55:                              ;   in Loop: Header=BB76_23 Depth=2
	s_or_b64 exec, exec, s[0:1]
	v_mul_lo_u32 v3, v8, s25
	v_mul_lo_u32 v5, v10, s50
	;; [unrolled: 1-line block ×3, first 2 shown]
	s_add_u32 s0, s4, s34
	v_sub_u32_e32 v3, v6, v3
	v_mul_lo_u32 v6, v14, s54
	v_sub_u32_e32 v5, v8, v5
	v_mul_lo_u32 v3, s28, v3
	v_mul_lo_u32 v5, s51, v5
	v_sub_u32_e32 v7, v10, v7
	v_sub_u32_e32 v6, v12, v6
	v_mul_lo_u32 v7, s53, v7
	v_mul_lo_u32 v6, s56, v6
	;; [unrolled: 1-line block ×3, first 2 shown]
	v_add3_u32 v3, v3, v4, v5
	v_mul_lo_u32 v4, v18, s58
	s_addc_u32 s1, s5, s35
	v_add3_u32 v3, v7, v3, v6
	v_mul_lo_u32 v6, v20, s59
	v_mul_lo_u32 v7, v22, s60
	s_load_dword s0, s[0:1], 0x6c
	v_sub_u32_e32 v5, v14, v8
	v_sub_u32_e32 v4, v16, v4
	v_mul_lo_u32 v5, s57, v5
	v_mul_lo_u32 v4, s16, v4
	v_sub_u32_e32 v6, v18, v6
	v_sub_u32_e32 v7, v20, v7
	v_mul_lo_u32 v6, s31, v6
	s_waitcnt lgkmcnt(0)
	v_mul_lo_u32 v7, s0, v7
	v_add3_u32 v3, v5, v3, v4
	s_add_i32 s30, s30, -8
	s_cmp_eq_u32 s30, -8
	v_add3_u32 v4, v6, v3, v7
	s_cbranch_scc1 .LBB76_57
; %bb.56:                               ;   in Loop: Header=BB76_23 Depth=2
	v_mov_b32_e32 v6, v22
	v_mov_b32_e32 v7, v23
	s_branch .LBB76_23
.LBB76_57:                              ;   in Loop: Header=BB76_3 Depth=1
	s_load_dword s0, s[2:3], 0x4
	s_waitcnt lgkmcnt(0)
	v_cmp_gt_i32_e32 vcc, s0, v25
	s_and_b64 exec, exec, vcc
	s_cbranch_execz .LBB76_2
; %bb.58:                               ;   in Loop: Header=BB76_3 Depth=1
	v_ashrrev_i32_e32 v5, 31, v4
	v_lshlrev_b64 v[5:6], 2, v[4:5]
	v_mov_b32_e32 v3, s13
	v_add_co_u32_e32 v5, vcc, s12, v5
	v_addc_co_u32_e32 v6, vcc, v3, v6, vcc
	v_add_u32_e32 v3, 1, v25
	v_cmp_gt_i32_e32 vcc, s0, v3
	global_store_dword v[5:6], v2, off
	s_and_b64 exec, exec, vcc
	s_cbranch_execz .LBB76_2
; %bb.59:                               ;   in Loop: Header=BB76_3 Depth=1
	v_sub_u32_e32 v5, v3, v24
	v_ashrrev_i32_e32 v6, 31, v5
	v_cmp_gt_i64_e32 vcc, s[8:9], v[5:6]
	s_and_b64 exec, exec, vcc
	s_cbranch_execz .LBB76_2
; %bb.60:                               ;   in Loop: Header=BB76_3 Depth=1
	v_add_u32_e32 v3, s29, v4
	v_ashrrev_i32_e32 v4, 31, v3
	v_lshlrev_b64 v[3:4], 2, v[3:4]
	v_mov_b32_e32 v5, s13
	v_add_co_u32_e32 v3, vcc, s12, v3
	v_addc_co_u32_e32 v4, vcc, v5, v4, vcc
	global_store_dword v[3:4], v2, off
	s_branch .LBB76_2
.LBB76_61:
	s_endpgm
	.section	.rodata,"a",@progbits
	.p2align	6, 0x0
	.amdhsa_kernel _ZN2at6native16triu_tril_kernelIfiLb1ELi2ELb1EEEvNS_4cuda6detail10TensorInfoIT_T0_EENS4_IKS5_S6_EEllS6_
		.amdhsa_group_segment_fixed_size 0
		.amdhsa_private_segment_fixed_size 0
		.amdhsa_kernarg_size 712
		.amdhsa_user_sgpr_count 6
		.amdhsa_user_sgpr_private_segment_buffer 1
		.amdhsa_user_sgpr_dispatch_ptr 0
		.amdhsa_user_sgpr_queue_ptr 0
		.amdhsa_user_sgpr_kernarg_segment_ptr 1
		.amdhsa_user_sgpr_dispatch_id 0
		.amdhsa_user_sgpr_flat_scratch_init 0
		.amdhsa_user_sgpr_private_segment_size 0
		.amdhsa_uses_dynamic_stack 0
		.amdhsa_system_sgpr_private_segment_wavefront_offset 0
		.amdhsa_system_sgpr_workgroup_id_x 1
		.amdhsa_system_sgpr_workgroup_id_y 0
		.amdhsa_system_sgpr_workgroup_id_z 0
		.amdhsa_system_sgpr_workgroup_info 0
		.amdhsa_system_vgpr_workitem_id 0
		.amdhsa_next_free_vgpr 28
		.amdhsa_next_free_sgpr 68
		.amdhsa_reserve_vcc 1
		.amdhsa_reserve_flat_scratch 0
		.amdhsa_float_round_mode_32 0
		.amdhsa_float_round_mode_16_64 0
		.amdhsa_float_denorm_mode_32 3
		.amdhsa_float_denorm_mode_16_64 3
		.amdhsa_dx10_clamp 1
		.amdhsa_ieee_mode 1
		.amdhsa_fp16_overflow 0
		.amdhsa_exception_fp_ieee_invalid_op 0
		.amdhsa_exception_fp_denorm_src 0
		.amdhsa_exception_fp_ieee_div_zero 0
		.amdhsa_exception_fp_ieee_overflow 0
		.amdhsa_exception_fp_ieee_underflow 0
		.amdhsa_exception_fp_ieee_inexact 0
		.amdhsa_exception_int_div_zero 0
	.end_amdhsa_kernel
	.section	.text._ZN2at6native16triu_tril_kernelIfiLb1ELi2ELb1EEEvNS_4cuda6detail10TensorInfoIT_T0_EENS4_IKS5_S6_EEllS6_,"axG",@progbits,_ZN2at6native16triu_tril_kernelIfiLb1ELi2ELb1EEEvNS_4cuda6detail10TensorInfoIT_T0_EENS4_IKS5_S6_EEllS6_,comdat
.Lfunc_end76:
	.size	_ZN2at6native16triu_tril_kernelIfiLb1ELi2ELb1EEEvNS_4cuda6detail10TensorInfoIT_T0_EENS4_IKS5_S6_EEllS6_, .Lfunc_end76-_ZN2at6native16triu_tril_kernelIfiLb1ELi2ELb1EEEvNS_4cuda6detail10TensorInfoIT_T0_EENS4_IKS5_S6_EEllS6_
                                        ; -- End function
	.set _ZN2at6native16triu_tril_kernelIfiLb1ELi2ELb1EEEvNS_4cuda6detail10TensorInfoIT_T0_EENS4_IKS5_S6_EEllS6_.num_vgpr, 28
	.set _ZN2at6native16triu_tril_kernelIfiLb1ELi2ELb1EEEvNS_4cuda6detail10TensorInfoIT_T0_EENS4_IKS5_S6_EEllS6_.num_agpr, 0
	.set _ZN2at6native16triu_tril_kernelIfiLb1ELi2ELb1EEEvNS_4cuda6detail10TensorInfoIT_T0_EENS4_IKS5_S6_EEllS6_.numbered_sgpr, 68
	.set _ZN2at6native16triu_tril_kernelIfiLb1ELi2ELb1EEEvNS_4cuda6detail10TensorInfoIT_T0_EENS4_IKS5_S6_EEllS6_.num_named_barrier, 0
	.set _ZN2at6native16triu_tril_kernelIfiLb1ELi2ELb1EEEvNS_4cuda6detail10TensorInfoIT_T0_EENS4_IKS5_S6_EEllS6_.private_seg_size, 0
	.set _ZN2at6native16triu_tril_kernelIfiLb1ELi2ELb1EEEvNS_4cuda6detail10TensorInfoIT_T0_EENS4_IKS5_S6_EEllS6_.uses_vcc, 1
	.set _ZN2at6native16triu_tril_kernelIfiLb1ELi2ELb1EEEvNS_4cuda6detail10TensorInfoIT_T0_EENS4_IKS5_S6_EEllS6_.uses_flat_scratch, 0
	.set _ZN2at6native16triu_tril_kernelIfiLb1ELi2ELb1EEEvNS_4cuda6detail10TensorInfoIT_T0_EENS4_IKS5_S6_EEllS6_.has_dyn_sized_stack, 0
	.set _ZN2at6native16triu_tril_kernelIfiLb1ELi2ELb1EEEvNS_4cuda6detail10TensorInfoIT_T0_EENS4_IKS5_S6_EEllS6_.has_recursion, 0
	.set _ZN2at6native16triu_tril_kernelIfiLb1ELi2ELb1EEEvNS_4cuda6detail10TensorInfoIT_T0_EENS4_IKS5_S6_EEllS6_.has_indirect_call, 0
	.section	.AMDGPU.csdata,"",@progbits
; Kernel info:
; codeLenInByte = 9316
; TotalNumSgprs: 72
; NumVgprs: 28
; ScratchSize: 0
; MemoryBound: 0
; FloatMode: 240
; IeeeMode: 1
; LDSByteSize: 0 bytes/workgroup (compile time only)
; SGPRBlocks: 8
; VGPRBlocks: 6
; NumSGPRsForWavesPerEU: 72
; NumVGPRsForWavesPerEU: 28
; Occupancy: 9
; WaveLimiterHint : 0
; COMPUTE_PGM_RSRC2:SCRATCH_EN: 0
; COMPUTE_PGM_RSRC2:USER_SGPR: 6
; COMPUTE_PGM_RSRC2:TRAP_HANDLER: 0
; COMPUTE_PGM_RSRC2:TGID_X_EN: 1
; COMPUTE_PGM_RSRC2:TGID_Y_EN: 0
; COMPUTE_PGM_RSRC2:TGID_Z_EN: 0
; COMPUTE_PGM_RSRC2:TIDIG_COMP_CNT: 0
	.section	.text._ZN2at6native16triu_tril_kernelIfiLb1ELi2ELb0EEEvNS_4cuda6detail10TensorInfoIT_T0_EENS4_IKS5_S6_EEllS6_,"axG",@progbits,_ZN2at6native16triu_tril_kernelIfiLb1ELi2ELb0EEEvNS_4cuda6detail10TensorInfoIT_T0_EENS4_IKS5_S6_EEllS6_,comdat
	.protected	_ZN2at6native16triu_tril_kernelIfiLb1ELi2ELb0EEEvNS_4cuda6detail10TensorInfoIT_T0_EENS4_IKS5_S6_EEllS6_ ; -- Begin function _ZN2at6native16triu_tril_kernelIfiLb1ELi2ELb0EEEvNS_4cuda6detail10TensorInfoIT_T0_EENS4_IKS5_S6_EEllS6_
	.globl	_ZN2at6native16triu_tril_kernelIfiLb1ELi2ELb0EEEvNS_4cuda6detail10TensorInfoIT_T0_EENS4_IKS5_S6_EEllS6_
	.p2align	8
	.type	_ZN2at6native16triu_tril_kernelIfiLb1ELi2ELb0EEEvNS_4cuda6detail10TensorInfoIT_T0_EENS4_IKS5_S6_EEllS6_,@function
_ZN2at6native16triu_tril_kernelIfiLb1ELi2ELb0EEEvNS_4cuda6detail10TensorInfoIT_T0_EENS4_IKS5_S6_EEllS6_: ; @_ZN2at6native16triu_tril_kernelIfiLb1ELi2ELb0EEEvNS_4cuda6detail10TensorInfoIT_T0_EENS4_IKS5_S6_EEllS6_
; %bb.0:
	s_load_dword s2, s[4:5], 0x1d4
	s_load_dwordx4 s[8:11], s[4:5], 0x1b0
	s_add_u32 s0, s4, 0x1c8
	v_mov_b32_e32 v2, 0
	s_addc_u32 s1, s5, 0
	s_waitcnt lgkmcnt(0)
	s_and_b32 s12, s2, 0xffff
	v_mov_b32_e32 v1, v2
	v_mov_b32_e32 v3, s6
	v_mad_u64_u32 v[0:1], s[2:3], s12, v3, v[0:1]
	v_lshlrev_b64 v[0:1], 1, v[0:1]
	v_cmp_gt_i64_e32 vcc, s[10:11], v[0:1]
	s_and_saveexec_b64 s[2:3], vcc
	s_cbranch_execz .LBB77_48
; %bb.1:
	s_load_dword s33, s[4:5], 0x1c0
	s_load_dwordx2 s[2:3], s[4:5], 0xd8
	s_load_dwordx2 s[18:19], s[4:5], 0x0
	s_load_dword s20, s[4:5], 0x1a8
	s_load_dword s13, s[0:1], 0x0
	s_add_u32 s46, s4, 0xd8
	s_addc_u32 s47, s5, 0
	s_waitcnt lgkmcnt(0)
	s_ashr_i32 s48, s33, 31
	s_ashr_i32 s21, s20, 31
	s_lshl_b64 s[0:1], s[20:21], 2
	s_add_u32 s16, s46, s0
	s_addc_u32 s17, s47, s1
	s_load_dwordx2 s[6:7], s[16:17], 0x0
	s_load_dwordx2 s[14:15], s[16:17], 0x64
	s_mul_i32 s22, s13, s12
	v_cmp_gt_i64_e64 s[12:13], s[20:21], 2
	s_mov_b32 s21, 0
	s_waitcnt lgkmcnt(0)
	s_ashr_i32 s49, s6, 31
	s_add_u32 s0, s4, s0
	s_addc_u32 s1, s5, s1
	s_load_dwordx2 s[16:17], s[0:1], 0x64
	s_add_i32 s50, s20, -3
	s_lshl_b32 s51, s22, 1
	s_and_b32 s52, s20, 3
	s_cmp_lg_u32 s52, 2
	s_cselect_b64 s[22:23], -1, 0
	s_cmp_gt_u32 s50, 2
	s_cselect_b64 s[24:25], -1, 0
	s_ashr_i32 s27, s15, 31
	s_mov_b32 s26, s15
	s_waitcnt lgkmcnt(0)
	s_ashr_i32 s29, s17, 31
	s_mov_b32 s28, s17
	s_mov_b64 s[30:31], 0
	s_ashr_i32 s34, s48, 31
	s_branch .LBB77_3
.LBB77_2:                               ;   in Loop: Header=BB77_3 Depth=1
	s_or_b64 exec, exec, s[0:1]
	v_add_co_u32_e32 v0, vcc, s51, v0
	v_addc_co_u32_e32 v1, vcc, 0, v1, vcc
	v_cmp_le_i64_e32 vcc, s[10:11], v[0:1]
	s_or_b64 s[30:31], vcc, s[30:31]
	s_andn2_b64 exec, exec, s[30:31]
	s_cbranch_execz .LBB77_48
.LBB77_3:                               ; =>This Loop Header: Depth=1
                                        ;     Child Loop BB77_13 Depth 2
                                        ;     Child Loop BB77_21 Depth 2
	v_or_b32_e32 v3, s48, v1
	v_cmp_ne_u64_e32 vcc, 0, v[2:3]
                                        ; implicit-def: $vgpr4_vgpr5
	s_and_saveexec_b64 s[0:1], vcc
	s_xor_b64 s[36:37], exec, s[0:1]
	s_cbranch_execz .LBB77_5
; %bb.4:                                ;   in Loop: Header=BB77_3 Depth=1
	s_add_u32 s0, s33, s34
	s_mov_b32 s35, s34
	s_addc_u32 s1, s48, s34
	s_xor_b64 s[38:39], s[0:1], s[34:35]
	v_cvt_f32_u32_e32 v3, s38
	v_cvt_f32_u32_e32 v4, s39
	s_sub_u32 s15, 0, s38
	s_subb_u32 s17, 0, s39
	v_ashrrev_i32_e32 v7, 31, v1
	v_mac_f32_e32 v3, 0x4f800000, v4
	v_rcp_f32_e32 v3, v3
	v_mul_f32_e32 v3, 0x5f7ffffc, v3
	v_mul_f32_e32 v4, 0x2f800000, v3
	v_trunc_f32_e32 v4, v4
	v_mac_f32_e32 v3, 0xcf800000, v4
	v_cvt_u32_f32_e32 v4, v4
	v_cvt_u32_f32_e32 v3, v3
	v_readfirstlane_b32 s20, v4
	v_readfirstlane_b32 s0, v3
	s_mul_i32 s1, s15, s20
	s_mul_hi_u32 s40, s15, s0
	s_mul_i32 s35, s17, s0
	s_add_i32 s1, s40, s1
	s_add_i32 s1, s1, s35
	s_mul_i32 s41, s15, s0
	s_mul_i32 s40, s0, s1
	s_mul_hi_u32 s42, s0, s41
	s_mul_hi_u32 s35, s0, s1
	s_add_u32 s40, s42, s40
	s_addc_u32 s35, 0, s35
	s_mul_hi_u32 s43, s20, s41
	s_mul_i32 s41, s20, s41
	s_add_u32 s40, s40, s41
	s_mul_hi_u32 s42, s20, s1
	s_addc_u32 s35, s35, s43
	s_addc_u32 s40, s42, 0
	s_mul_i32 s1, s20, s1
	s_add_u32 s1, s35, s1
	s_addc_u32 s35, 0, s40
	s_add_u32 s40, s0, s1
	s_cselect_b64 s[0:1], -1, 0
	s_cmp_lg_u64 s[0:1], 0
	s_addc_u32 s20, s20, s35
	s_mul_i32 s0, s15, s20
	s_mul_hi_u32 s1, s15, s40
	s_add_i32 s0, s1, s0
	s_mul_i32 s17, s17, s40
	s_add_i32 s0, s0, s17
	s_mul_i32 s15, s15, s40
	s_mul_hi_u32 s17, s20, s15
	s_mul_i32 s35, s20, s15
	s_mul_i32 s42, s40, s0
	s_mul_hi_u32 s15, s40, s15
	s_mul_hi_u32 s41, s40, s0
	s_add_u32 s15, s15, s42
	s_addc_u32 s41, 0, s41
	s_add_u32 s15, s15, s35
	s_mul_hi_u32 s1, s20, s0
	s_addc_u32 s15, s41, s17
	s_addc_u32 s1, s1, 0
	s_mul_i32 s0, s20, s0
	s_add_u32 s0, s15, s0
	s_addc_u32 s15, 0, s1
	s_add_u32 s17, s40, s0
	s_cselect_b64 s[0:1], -1, 0
	s_cmp_lg_u64 s[0:1], 0
	v_add_co_u32_e32 v3, vcc, v0, v7
	s_addc_u32 s15, s20, s15
	v_xor_b32_e32 v8, v3, v7
	v_mad_u64_u32 v[3:4], s[0:1], v8, s15, 0
	v_mul_hi_u32 v6, v8, s17
	v_addc_co_u32_e32 v5, vcc, v1, v7, vcc
	v_xor_b32_e32 v9, v5, v7
	v_add_co_u32_e32 v10, vcc, v6, v3
	v_addc_co_u32_e32 v11, vcc, 0, v4, vcc
	v_mad_u64_u32 v[3:4], s[0:1], v9, s17, 0
	v_mad_u64_u32 v[5:6], s[0:1], v9, s15, 0
	v_add_co_u32_e32 v3, vcc, v10, v3
	v_addc_co_u32_e32 v3, vcc, v11, v4, vcc
	v_addc_co_u32_e32 v4, vcc, 0, v6, vcc
	v_add_co_u32_e32 v5, vcc, v3, v5
	v_addc_co_u32_e32 v6, vcc, 0, v4, vcc
	v_mul_lo_u32 v10, s39, v5
	v_mul_lo_u32 v11, s38, v6
	v_mad_u64_u32 v[3:4], s[0:1], s38, v5, 0
	v_add3_u32 v4, v4, v11, v10
	v_sub_u32_e32 v10, v9, v4
	v_mov_b32_e32 v11, s39
	v_sub_co_u32_e32 v3, vcc, v8, v3
	v_subb_co_u32_e64 v8, s[0:1], v10, v11, vcc
	v_subrev_co_u32_e64 v10, s[0:1], s38, v3
	v_subbrev_co_u32_e64 v8, s[0:1], 0, v8, s[0:1]
	v_cmp_le_u32_e64 s[0:1], s39, v8
	v_cndmask_b32_e64 v11, 0, -1, s[0:1]
	v_cmp_le_u32_e64 s[0:1], s38, v10
	v_cndmask_b32_e64 v10, 0, -1, s[0:1]
	v_cmp_eq_u32_e64 s[0:1], s39, v8
	v_cndmask_b32_e64 v8, v11, v10, s[0:1]
	v_add_co_u32_e64 v10, s[0:1], 2, v5
	v_subb_co_u32_e32 v4, vcc, v9, v4, vcc
	v_addc_co_u32_e64 v11, s[0:1], 0, v6, s[0:1]
	v_cmp_le_u32_e32 vcc, s39, v4
	v_add_co_u32_e64 v12, s[0:1], 1, v5
	v_cndmask_b32_e64 v9, 0, -1, vcc
	v_cmp_le_u32_e32 vcc, s38, v3
	v_addc_co_u32_e64 v13, s[0:1], 0, v6, s[0:1]
	v_cndmask_b32_e64 v3, 0, -1, vcc
	v_cmp_eq_u32_e32 vcc, s39, v4
	v_cmp_ne_u32_e64 s[0:1], 0, v8
	v_cndmask_b32_e32 v3, v9, v3, vcc
	v_cmp_ne_u32_e32 vcc, 0, v3
	v_cndmask_b32_e64 v4, v12, v10, s[0:1]
	v_cndmask_b32_e64 v8, v13, v11, s[0:1]
	v_cndmask_b32_e32 v4, v5, v4, vcc
	v_xor_b32_e32 v5, s34, v7
	v_cndmask_b32_e32 v3, v6, v8, vcc
	v_xor_b32_e32 v4, v4, v5
	v_xor_b32_e32 v3, v3, v5
	v_sub_co_u32_e32 v4, vcc, v4, v5
	v_subb_co_u32_e32 v5, vcc, v3, v5, vcc
.LBB77_5:                               ;   in Loop: Header=BB77_3 Depth=1
	s_andn2_saveexec_b64 s[0:1], s[36:37]
	s_cbranch_execz .LBB77_7
; %bb.6:                                ;   in Loop: Header=BB77_3 Depth=1
	v_cvt_f32_u32_e32 v3, s33
	s_sub_i32 s15, 0, s33
	v_rcp_iflag_f32_e32 v3, v3
	v_mul_f32_e32 v3, 0x4f7ffffe, v3
	v_cvt_u32_f32_e32 v3, v3
	v_mul_lo_u32 v4, s15, v3
	v_mul_hi_u32 v4, v3, v4
	v_add_u32_e32 v3, v3, v4
	v_mul_hi_u32 v3, v0, v3
	v_mul_lo_u32 v4, v3, s33
	v_add_u32_e32 v5, 1, v3
	v_sub_u32_e32 v4, v0, v4
	v_subrev_u32_e32 v6, s33, v4
	v_cmp_le_u32_e32 vcc, s33, v4
	v_cndmask_b32_e32 v4, v4, v6, vcc
	v_cndmask_b32_e32 v3, v3, v5, vcc
	v_add_u32_e32 v5, 1, v3
	v_cmp_le_u32_e32 vcc, s33, v4
	v_cndmask_b32_e32 v4, v3, v5, vcc
	v_mov_b32_e32 v5, v2
.LBB77_7:                               ;   in Loop: Header=BB77_3 Depth=1
	s_or_b64 exec, exec, s[0:1]
	v_or_b32_e32 v3, s49, v5
	v_cmp_ne_u64_e32 vcc, 0, v[2:3]
                                        ; implicit-def: $vgpr8_vgpr9
	s_and_saveexec_b64 s[0:1], vcc
	s_xor_b64 s[36:37], exec, s[0:1]
	s_cbranch_execz .LBB77_9
; %bb.8:                                ;   in Loop: Header=BB77_3 Depth=1
	s_ashr_i32 s38, s49, 31
	s_add_u32 s0, s6, s38
	s_mov_b32 s39, s38
	s_addc_u32 s1, s49, s38
	s_xor_b64 s[40:41], s[0:1], s[38:39]
	v_cvt_f32_u32_e32 v3, s40
	v_cvt_f32_u32_e32 v6, s41
	s_sub_u32 s15, 0, s40
	s_subb_u32 s17, 0, s41
	v_mac_f32_e32 v3, 0x4f800000, v6
	v_rcp_f32_e32 v3, v3
	v_mul_f32_e32 v3, 0x5f7ffffc, v3
	v_mul_f32_e32 v6, 0x2f800000, v3
	v_trunc_f32_e32 v6, v6
	v_mac_f32_e32 v3, 0xcf800000, v6
	v_cvt_u32_f32_e32 v6, v6
	v_cvt_u32_f32_e32 v3, v3
	v_readfirstlane_b32 s20, v6
	v_readfirstlane_b32 s0, v3
	s_mul_i32 s1, s15, s20
	s_mul_hi_u32 s39, s15, s0
	s_mul_i32 s35, s17, s0
	s_add_i32 s1, s39, s1
	s_add_i32 s1, s1, s35
	s_mul_i32 s42, s15, s0
	s_mul_i32 s39, s0, s1
	s_mul_hi_u32 s43, s0, s42
	s_mul_hi_u32 s35, s0, s1
	s_add_u32 s39, s43, s39
	s_addc_u32 s35, 0, s35
	s_mul_hi_u32 s44, s20, s42
	s_mul_i32 s42, s20, s42
	s_add_u32 s39, s39, s42
	s_mul_hi_u32 s43, s20, s1
	s_addc_u32 s35, s35, s44
	s_addc_u32 s39, s43, 0
	s_mul_i32 s1, s20, s1
	s_add_u32 s1, s35, s1
	s_addc_u32 s35, 0, s39
	s_add_u32 s39, s0, s1
	s_cselect_b64 s[0:1], -1, 0
	s_cmp_lg_u64 s[0:1], 0
	s_addc_u32 s20, s20, s35
	s_mul_i32 s0, s15, s20
	s_mul_hi_u32 s1, s15, s39
	s_add_i32 s0, s1, s0
	s_mul_i32 s17, s17, s39
	s_add_i32 s0, s0, s17
	s_mul_i32 s15, s15, s39
	s_mul_hi_u32 s17, s20, s15
	s_mul_i32 s35, s20, s15
	s_mul_i32 s43, s39, s0
	s_mul_hi_u32 s15, s39, s15
	s_mul_hi_u32 s42, s39, s0
	s_add_u32 s15, s15, s43
	s_addc_u32 s42, 0, s42
	s_add_u32 s15, s15, s35
	s_mul_hi_u32 s1, s20, s0
	s_addc_u32 s15, s42, s17
	s_addc_u32 s1, s1, 0
	s_mul_i32 s0, s20, s0
	s_add_u32 s0, s15, s0
	s_addc_u32 s15, 0, s1
	s_add_u32 s17, s39, s0
	s_cselect_b64 s[0:1], -1, 0
	v_ashrrev_i32_e32 v3, 31, v5
	s_cmp_lg_u64 s[0:1], 0
	v_add_co_u32_e32 v6, vcc, v4, v3
	s_addc_u32 s15, s20, s15
	v_xor_b32_e32 v9, v6, v3
	v_addc_co_u32_e32 v7, vcc, v5, v3, vcc
	v_mad_u64_u32 v[5:6], s[0:1], v9, s15, 0
	v_mul_hi_u32 v8, v9, s17
	v_xor_b32_e32 v10, v7, v3
	v_xor_b32_e32 v3, s38, v3
	v_add_co_u32_e32 v11, vcc, v8, v5
	v_addc_co_u32_e32 v12, vcc, 0, v6, vcc
	v_mad_u64_u32 v[5:6], s[0:1], v10, s17, 0
	v_mad_u64_u32 v[7:8], s[0:1], v10, s15, 0
	v_add_co_u32_e32 v5, vcc, v11, v5
	v_addc_co_u32_e32 v5, vcc, v12, v6, vcc
	v_addc_co_u32_e32 v6, vcc, 0, v8, vcc
	v_add_co_u32_e32 v7, vcc, v5, v7
	v_addc_co_u32_e32 v8, vcc, 0, v6, vcc
	v_mul_lo_u32 v11, s41, v7
	v_mul_lo_u32 v12, s40, v8
	v_mad_u64_u32 v[5:6], s[0:1], s40, v7, 0
	v_add3_u32 v6, v6, v12, v11
	v_sub_u32_e32 v11, v10, v6
	v_mov_b32_e32 v12, s41
	v_sub_co_u32_e32 v5, vcc, v9, v5
	v_subb_co_u32_e64 v9, s[0:1], v11, v12, vcc
	v_subrev_co_u32_e64 v11, s[0:1], s40, v5
	v_subbrev_co_u32_e64 v9, s[0:1], 0, v9, s[0:1]
	v_cmp_le_u32_e64 s[0:1], s41, v9
	v_cndmask_b32_e64 v12, 0, -1, s[0:1]
	v_cmp_le_u32_e64 s[0:1], s40, v11
	v_cndmask_b32_e64 v11, 0, -1, s[0:1]
	v_cmp_eq_u32_e64 s[0:1], s41, v9
	v_cndmask_b32_e64 v9, v12, v11, s[0:1]
	v_add_co_u32_e64 v11, s[0:1], 2, v7
	v_subb_co_u32_e32 v6, vcc, v10, v6, vcc
	v_addc_co_u32_e64 v12, s[0:1], 0, v8, s[0:1]
	v_cmp_le_u32_e32 vcc, s41, v6
	v_add_co_u32_e64 v13, s[0:1], 1, v7
	v_cndmask_b32_e64 v10, 0, -1, vcc
	v_cmp_le_u32_e32 vcc, s40, v5
	v_addc_co_u32_e64 v14, s[0:1], 0, v8, s[0:1]
	v_cndmask_b32_e64 v5, 0, -1, vcc
	v_cmp_eq_u32_e32 vcc, s41, v6
	v_cmp_ne_u32_e64 s[0:1], 0, v9
	v_cndmask_b32_e32 v5, v10, v5, vcc
	v_cmp_ne_u32_e32 vcc, 0, v5
	v_cndmask_b32_e64 v6, v13, v11, s[0:1]
	v_cndmask_b32_e64 v9, v14, v12, s[0:1]
	v_cndmask_b32_e32 v6, v7, v6, vcc
	v_cndmask_b32_e32 v5, v8, v9, vcc
	v_xor_b32_e32 v6, v6, v3
	v_xor_b32_e32 v5, v5, v3
	v_sub_co_u32_e32 v8, vcc, v6, v3
	v_subb_co_u32_e32 v9, vcc, v5, v3, vcc
.LBB77_9:                               ;   in Loop: Header=BB77_3 Depth=1
	s_andn2_saveexec_b64 s[0:1], s[36:37]
	s_cbranch_execz .LBB77_11
; %bb.10:                               ;   in Loop: Header=BB77_3 Depth=1
	v_cvt_f32_u32_e32 v3, s6
	s_sub_i32 s15, 0, s6
	v_mov_b32_e32 v9, v2
	v_rcp_iflag_f32_e32 v3, v3
	v_mul_f32_e32 v3, 0x4f7ffffe, v3
	v_cvt_u32_f32_e32 v3, v3
	v_mul_lo_u32 v5, s15, v3
	v_mul_hi_u32 v5, v3, v5
	v_add_u32_e32 v3, v3, v5
	v_mul_hi_u32 v3, v4, v3
	v_mul_lo_u32 v5, v3, s6
	v_add_u32_e32 v6, 1, v3
	v_sub_u32_e32 v5, v4, v5
	v_subrev_u32_e32 v7, s6, v5
	v_cmp_le_u32_e32 vcc, s6, v5
	v_cndmask_b32_e32 v5, v5, v7, vcc
	v_cndmask_b32_e32 v3, v3, v6, vcc
	v_add_u32_e32 v6, 1, v3
	v_cmp_le_u32_e32 vcc, s6, v5
	v_cndmask_b32_e32 v8, v3, v6, vcc
.LBB77_11:                              ;   in Loop: Header=BB77_3 Depth=1
	s_or_b64 exec, exec, s[0:1]
	v_mad_u64_u32 v[5:6], s[0:1], v4, s33, 0
	v_mad_u64_u32 v[6:7], s[0:1], v8, s6, 0
	v_sub_co_u32_e32 v18, vcc, v0, v5
	v_mul_lo_u32 v3, s26, v18
	v_sub_co_u32_e32 v19, vcc, v4, v6
	v_mul_lo_u32 v4, s28, v18
	s_andn2_b64 vcc, exec, s[12:13]
	v_mad_u64_u32 v[6:7], s[0:1], s14, v19, v[3:4]
	v_mad_u64_u32 v[4:5], s[0:1], s16, v19, v[4:5]
	s_cbranch_vccnz .LBB77_39
; %bb.12:                               ;   in Loop: Header=BB77_3 Depth=1
	s_mov_b32 s15, 1
	s_andn2_b64 vcc, exec, s[22:23]
	s_mov_b32 s20, s50
	s_mov_b32 s0, s50
	s_cbranch_vccnz .LBB77_20
.LBB77_13:                              ;   Parent Loop BB77_3 Depth=1
                                        ; =>  This Inner Loop Header: Depth=2
	s_lshl_b64 s[36:37], s[20:21], 2
	s_add_u32 s38, s46, s36
	s_addc_u32 s39, s47, s37
	s_load_dword s17, s[38:39], 0x8
                                        ; implicit-def: $vgpr10_vgpr11
	s_waitcnt lgkmcnt(0)
	s_ashr_i32 s0, s17, 31
	v_or_b32_e32 v3, s0, v9
	v_cmp_ne_u64_e32 vcc, 0, v[2:3]
	s_and_saveexec_b64 s[40:41], vcc
	s_xor_b64 s[40:41], exec, s[40:41]
	s_cbranch_execz .LBB77_15
; %bb.14:                               ;   in Loop: Header=BB77_13 Depth=2
	s_ashr_i32 s42, s0, 31
	s_add_u32 s44, s17, s42
	s_mov_b32 s43, s42
	s_addc_u32 s45, s0, s42
	s_xor_b64 s[44:45], s[44:45], s[42:43]
	v_cvt_f32_u32_e32 v3, s44
	v_cvt_f32_u32_e32 v5, s45
	s_sub_u32 s35, 0, s44
	s_subb_u32 s43, 0, s45
	v_mac_f32_e32 v3, 0x4f800000, v5
	v_rcp_f32_e32 v3, v3
	v_mul_f32_e32 v3, 0x5f7ffffc, v3
	v_mul_f32_e32 v5, 0x2f800000, v3
	v_trunc_f32_e32 v5, v5
	v_mac_f32_e32 v3, 0xcf800000, v5
	v_cvt_u32_f32_e32 v5, v5
	v_cvt_u32_f32_e32 v3, v3
	v_readfirstlane_b32 s53, v5
	v_readfirstlane_b32 s0, v3
	s_mul_i32 s1, s35, s53
	s_mul_hi_u32 s55, s35, s0
	s_mul_i32 s54, s43, s0
	s_add_i32 s1, s55, s1
	s_add_i32 s1, s1, s54
	s_mul_i32 s56, s35, s0
	s_mul_i32 s55, s0, s1
	s_mul_hi_u32 s57, s0, s56
	s_mul_hi_u32 s54, s0, s1
	s_add_u32 s55, s57, s55
	s_addc_u32 s54, 0, s54
	s_mul_hi_u32 s58, s53, s56
	s_mul_i32 s56, s53, s56
	s_add_u32 s55, s55, s56
	s_mul_hi_u32 s57, s53, s1
	s_addc_u32 s54, s54, s58
	s_addc_u32 s55, s57, 0
	s_mul_i32 s1, s53, s1
	s_add_u32 s1, s54, s1
	s_addc_u32 s54, 0, s55
	s_add_u32 s55, s0, s1
	s_cselect_b64 s[0:1], -1, 0
	s_cmp_lg_u64 s[0:1], 0
	s_addc_u32 s53, s53, s54
	s_mul_i32 s0, s35, s53
	s_mul_hi_u32 s1, s35, s55
	s_add_i32 s0, s1, s0
	s_mul_i32 s43, s43, s55
	s_add_i32 s0, s0, s43
	s_mul_i32 s35, s35, s55
	s_mul_hi_u32 s43, s53, s35
	s_mul_i32 s54, s53, s35
	s_mul_i32 s57, s55, s0
	s_mul_hi_u32 s35, s55, s35
	s_mul_hi_u32 s56, s55, s0
	s_add_u32 s35, s35, s57
	s_addc_u32 s56, 0, s56
	s_add_u32 s35, s35, s54
	s_mul_hi_u32 s1, s53, s0
	s_addc_u32 s35, s56, s43
	s_addc_u32 s1, s1, 0
	s_mul_i32 s0, s53, s0
	s_add_u32 s0, s35, s0
	s_addc_u32 s35, 0, s1
	s_add_u32 s43, s55, s0
	s_cselect_b64 s[0:1], -1, 0
	v_ashrrev_i32_e32 v3, 31, v9
	s_cmp_lg_u64 s[0:1], 0
	v_add_co_u32_e32 v5, vcc, v8, v3
	s_addc_u32 s35, s53, s35
	v_xor_b32_e32 v5, v5, v3
	v_addc_co_u32_e32 v7, vcc, v9, v3, vcc
	v_mad_u64_u32 v[9:10], s[0:1], v5, s35, 0
	v_mul_hi_u32 v11, v5, s43
	v_xor_b32_e32 v7, v7, v3
	v_xor_b32_e32 v3, s42, v3
	v_add_co_u32_e32 v13, vcc, v11, v9
	v_addc_co_u32_e32 v14, vcc, 0, v10, vcc
	v_mad_u64_u32 v[9:10], s[0:1], v7, s43, 0
	v_mad_u64_u32 v[11:12], s[0:1], v7, s35, 0
	v_add_co_u32_e32 v9, vcc, v13, v9
	v_addc_co_u32_e32 v9, vcc, v14, v10, vcc
	v_addc_co_u32_e32 v10, vcc, 0, v12, vcc
	v_add_co_u32_e32 v11, vcc, v9, v11
	v_addc_co_u32_e32 v12, vcc, 0, v10, vcc
	v_mul_lo_u32 v13, s45, v11
	v_mul_lo_u32 v14, s44, v12
	v_mad_u64_u32 v[9:10], s[0:1], s44, v11, 0
	v_add3_u32 v10, v10, v14, v13
	v_sub_u32_e32 v13, v7, v10
	v_mov_b32_e32 v14, s45
	v_sub_co_u32_e32 v5, vcc, v5, v9
	v_subb_co_u32_e64 v9, s[0:1], v13, v14, vcc
	v_subrev_co_u32_e64 v13, s[0:1], s44, v5
	v_subbrev_co_u32_e64 v9, s[0:1], 0, v9, s[0:1]
	v_cmp_le_u32_e64 s[0:1], s45, v9
	v_cndmask_b32_e64 v14, 0, -1, s[0:1]
	v_cmp_le_u32_e64 s[0:1], s44, v13
	v_cndmask_b32_e64 v13, 0, -1, s[0:1]
	v_cmp_eq_u32_e64 s[0:1], s45, v9
	v_cndmask_b32_e64 v9, v14, v13, s[0:1]
	v_add_co_u32_e64 v13, s[0:1], 2, v11
	v_subb_co_u32_e32 v7, vcc, v7, v10, vcc
	v_addc_co_u32_e64 v14, s[0:1], 0, v12, s[0:1]
	v_cmp_le_u32_e32 vcc, s45, v7
	v_add_co_u32_e64 v15, s[0:1], 1, v11
	v_cndmask_b32_e64 v10, 0, -1, vcc
	v_cmp_le_u32_e32 vcc, s44, v5
	v_addc_co_u32_e64 v16, s[0:1], 0, v12, s[0:1]
	v_cndmask_b32_e64 v5, 0, -1, vcc
	v_cmp_eq_u32_e32 vcc, s45, v7
	v_cmp_ne_u32_e64 s[0:1], 0, v9
	v_cndmask_b32_e32 v5, v10, v5, vcc
	v_cmp_ne_u32_e32 vcc, 0, v5
	v_cndmask_b32_e64 v7, v15, v13, s[0:1]
	v_cndmask_b32_e64 v9, v16, v14, s[0:1]
	v_cndmask_b32_e32 v7, v11, v7, vcc
	v_cndmask_b32_e32 v5, v12, v9, vcc
	v_xor_b32_e32 v7, v7, v3
	v_xor_b32_e32 v5, v5, v3
	v_sub_co_u32_e32 v10, vcc, v7, v3
	v_subb_co_u32_e32 v11, vcc, v5, v3, vcc
.LBB77_15:                              ;   in Loop: Header=BB77_13 Depth=2
	s_andn2_saveexec_b64 s[0:1], s[40:41]
	s_cbranch_execz .LBB77_17
; %bb.16:                               ;   in Loop: Header=BB77_13 Depth=2
	v_cvt_f32_u32_e32 v3, s17
	s_sub_i32 s35, 0, s17
	v_mov_b32_e32 v11, v2
	v_rcp_iflag_f32_e32 v3, v3
	v_mul_f32_e32 v3, 0x4f7ffffe, v3
	v_cvt_u32_f32_e32 v3, v3
	v_mul_lo_u32 v5, s35, v3
	v_mul_hi_u32 v5, v3, v5
	v_add_u32_e32 v3, v3, v5
	v_mul_hi_u32 v3, v8, v3
	v_mul_lo_u32 v5, v3, s17
	v_add_u32_e32 v7, 1, v3
	v_sub_u32_e32 v5, v8, v5
	v_subrev_u32_e32 v9, s17, v5
	v_cmp_le_u32_e32 vcc, s17, v5
	v_cndmask_b32_e32 v5, v5, v9, vcc
	v_cndmask_b32_e32 v3, v3, v7, vcc
	v_add_u32_e32 v7, 1, v3
	v_cmp_le_u32_e32 vcc, s17, v5
	v_cndmask_b32_e32 v10, v3, v7, vcc
.LBB77_17:                              ;   in Loop: Header=BB77_13 Depth=2
	s_or_b64 exec, exec, s[0:1]
	s_add_u32 s0, s4, s36
	s_addc_u32 s1, s5, s37
	v_mul_lo_u32 v3, v10, s17
	s_load_dword s17, s[38:39], 0x6c
	s_load_dword s35, s[0:1], 0x6c
	s_add_i32 s20, s20, -1
	v_sub_u32_e32 v3, v8, v3
	s_waitcnt lgkmcnt(0)
	v_mad_u64_u32 v[6:7], s[0:1], s17, v3, v[6:7]
	v_mad_u64_u32 v[4:5], s[0:1], s35, v3, v[4:5]
	s_xor_b32 s0, s52, s15
	s_add_i32 s15, s15, 1
	s_cmp_lg_u32 s0, 2
	s_cbranch_scc0 .LBB77_19
; %bb.18:                               ;   in Loop: Header=BB77_13 Depth=2
	v_mov_b32_e32 v8, v10
	v_mov_b32_e32 v9, v11
	s_branch .LBB77_13
.LBB77_19:                              ;   in Loop: Header=BB77_3 Depth=1
	v_mov_b32_e32 v8, v10
	s_mov_b32 s0, s20
	v_mov_b32_e32 v9, v11
.LBB77_20:                              ;   in Loop: Header=BB77_3 Depth=1
	s_and_b64 vcc, exec, s[24:25]
	s_mov_b32 s20, s0
	s_cbranch_vccz .LBB77_39
.LBB77_21:                              ;   Parent Loop BB77_3 Depth=1
                                        ; =>  This Inner Loop Header: Depth=2
	s_lshl_b64 s[36:37], s[20:21], 2
	s_add_u32 s38, s46, s36
	s_addc_u32 s39, s47, s37
	s_load_dword s15, s[38:39], 0x8
                                        ; implicit-def: $vgpr10_vgpr11
	s_waitcnt lgkmcnt(0)
	s_ashr_i32 s0, s15, 31
	v_or_b32_e32 v3, s0, v9
	v_cmp_ne_u64_e32 vcc, 0, v[2:3]
	s_and_saveexec_b64 s[40:41], vcc
	s_xor_b64 s[40:41], exec, s[40:41]
	s_cbranch_execz .LBB77_23
; %bb.22:                               ;   in Loop: Header=BB77_21 Depth=2
	s_ashr_i32 s42, s0, 31
	s_add_u32 s44, s15, s42
	s_mov_b32 s43, s42
	s_addc_u32 s45, s0, s42
	s_xor_b64 s[44:45], s[44:45], s[42:43]
	v_cvt_f32_u32_e32 v3, s44
	v_cvt_f32_u32_e32 v5, s45
	s_sub_u32 s17, 0, s44
	s_subb_u32 s35, 0, s45
	v_mac_f32_e32 v3, 0x4f800000, v5
	v_rcp_f32_e32 v3, v3
	v_mul_f32_e32 v3, 0x5f7ffffc, v3
	v_mul_f32_e32 v5, 0x2f800000, v3
	v_trunc_f32_e32 v5, v5
	v_mac_f32_e32 v3, 0xcf800000, v5
	v_cvt_u32_f32_e32 v5, v5
	v_cvt_u32_f32_e32 v3, v3
	v_readfirstlane_b32 s43, v5
	v_readfirstlane_b32 s0, v3
	s_mul_i32 s1, s17, s43
	s_mul_hi_u32 s54, s17, s0
	s_mul_i32 s53, s35, s0
	s_add_i32 s1, s54, s1
	s_add_i32 s1, s1, s53
	s_mul_i32 s55, s17, s0
	s_mul_i32 s54, s0, s1
	s_mul_hi_u32 s56, s0, s55
	s_mul_hi_u32 s53, s0, s1
	s_add_u32 s54, s56, s54
	s_addc_u32 s53, 0, s53
	s_mul_hi_u32 s57, s43, s55
	s_mul_i32 s55, s43, s55
	s_add_u32 s54, s54, s55
	s_mul_hi_u32 s56, s43, s1
	s_addc_u32 s53, s53, s57
	s_addc_u32 s54, s56, 0
	s_mul_i32 s1, s43, s1
	s_add_u32 s1, s53, s1
	s_addc_u32 s53, 0, s54
	s_add_u32 s54, s0, s1
	s_cselect_b64 s[0:1], -1, 0
	s_cmp_lg_u64 s[0:1], 0
	s_addc_u32 s43, s43, s53
	s_mul_i32 s0, s17, s43
	s_mul_hi_u32 s1, s17, s54
	s_add_i32 s0, s1, s0
	s_mul_i32 s35, s35, s54
	s_add_i32 s0, s0, s35
	s_mul_i32 s17, s17, s54
	s_mul_hi_u32 s35, s43, s17
	s_mul_i32 s53, s43, s17
	s_mul_i32 s56, s54, s0
	s_mul_hi_u32 s17, s54, s17
	s_mul_hi_u32 s55, s54, s0
	s_add_u32 s17, s17, s56
	s_addc_u32 s55, 0, s55
	s_add_u32 s17, s17, s53
	s_mul_hi_u32 s1, s43, s0
	s_addc_u32 s17, s55, s35
	s_addc_u32 s1, s1, 0
	s_mul_i32 s0, s43, s0
	s_add_u32 s0, s17, s0
	s_addc_u32 s17, 0, s1
	s_add_u32 s35, s54, s0
	s_cselect_b64 s[0:1], -1, 0
	v_ashrrev_i32_e32 v3, 31, v9
	s_cmp_lg_u64 s[0:1], 0
	v_add_co_u32_e32 v5, vcc, v8, v3
	s_addc_u32 s17, s43, s17
	v_xor_b32_e32 v5, v5, v3
	v_addc_co_u32_e32 v7, vcc, v9, v3, vcc
	v_mad_u64_u32 v[9:10], s[0:1], v5, s17, 0
	v_mul_hi_u32 v11, v5, s35
	v_xor_b32_e32 v7, v7, v3
	v_xor_b32_e32 v3, s42, v3
	v_add_co_u32_e32 v13, vcc, v11, v9
	v_addc_co_u32_e32 v14, vcc, 0, v10, vcc
	v_mad_u64_u32 v[9:10], s[0:1], v7, s35, 0
	v_mad_u64_u32 v[11:12], s[0:1], v7, s17, 0
	v_add_co_u32_e32 v9, vcc, v13, v9
	v_addc_co_u32_e32 v9, vcc, v14, v10, vcc
	v_addc_co_u32_e32 v10, vcc, 0, v12, vcc
	v_add_co_u32_e32 v11, vcc, v9, v11
	v_addc_co_u32_e32 v12, vcc, 0, v10, vcc
	v_mul_lo_u32 v13, s45, v11
	v_mul_lo_u32 v14, s44, v12
	v_mad_u64_u32 v[9:10], s[0:1], s44, v11, 0
	v_add3_u32 v10, v10, v14, v13
	v_sub_u32_e32 v13, v7, v10
	v_mov_b32_e32 v14, s45
	v_sub_co_u32_e32 v5, vcc, v5, v9
	v_subb_co_u32_e64 v9, s[0:1], v13, v14, vcc
	v_subrev_co_u32_e64 v13, s[0:1], s44, v5
	v_subbrev_co_u32_e64 v9, s[0:1], 0, v9, s[0:1]
	v_cmp_le_u32_e64 s[0:1], s45, v9
	v_cndmask_b32_e64 v14, 0, -1, s[0:1]
	v_cmp_le_u32_e64 s[0:1], s44, v13
	v_cndmask_b32_e64 v13, 0, -1, s[0:1]
	v_cmp_eq_u32_e64 s[0:1], s45, v9
	v_cndmask_b32_e64 v9, v14, v13, s[0:1]
	v_add_co_u32_e64 v13, s[0:1], 2, v11
	v_subb_co_u32_e32 v7, vcc, v7, v10, vcc
	v_addc_co_u32_e64 v14, s[0:1], 0, v12, s[0:1]
	v_cmp_le_u32_e32 vcc, s45, v7
	v_add_co_u32_e64 v15, s[0:1], 1, v11
	v_cndmask_b32_e64 v10, 0, -1, vcc
	v_cmp_le_u32_e32 vcc, s44, v5
	v_addc_co_u32_e64 v16, s[0:1], 0, v12, s[0:1]
	v_cndmask_b32_e64 v5, 0, -1, vcc
	v_cmp_eq_u32_e32 vcc, s45, v7
	v_cmp_ne_u32_e64 s[0:1], 0, v9
	v_cndmask_b32_e32 v5, v10, v5, vcc
	v_cmp_ne_u32_e32 vcc, 0, v5
	v_cndmask_b32_e64 v7, v15, v13, s[0:1]
	v_cndmask_b32_e64 v9, v16, v14, s[0:1]
	v_cndmask_b32_e32 v7, v11, v7, vcc
	v_cndmask_b32_e32 v5, v12, v9, vcc
	v_xor_b32_e32 v7, v7, v3
	v_xor_b32_e32 v5, v5, v3
	v_sub_co_u32_e32 v10, vcc, v7, v3
	v_subb_co_u32_e32 v11, vcc, v5, v3, vcc
.LBB77_23:                              ;   in Loop: Header=BB77_21 Depth=2
	s_andn2_saveexec_b64 s[0:1], s[40:41]
	s_cbranch_execz .LBB77_25
; %bb.24:                               ;   in Loop: Header=BB77_21 Depth=2
	v_cvt_f32_u32_e32 v3, s15
	s_sub_i32 s17, 0, s15
	v_mov_b32_e32 v11, v2
	v_rcp_iflag_f32_e32 v3, v3
	v_mul_f32_e32 v3, 0x4f7ffffe, v3
	v_cvt_u32_f32_e32 v3, v3
	v_mul_lo_u32 v5, s17, v3
	v_mul_hi_u32 v5, v3, v5
	v_add_u32_e32 v3, v3, v5
	v_mul_hi_u32 v3, v8, v3
	v_mul_lo_u32 v5, v3, s15
	v_add_u32_e32 v7, 1, v3
	v_sub_u32_e32 v5, v8, v5
	v_subrev_u32_e32 v9, s15, v5
	v_cmp_le_u32_e32 vcc, s15, v5
	v_cndmask_b32_e32 v5, v5, v9, vcc
	v_cndmask_b32_e32 v3, v3, v7, vcc
	v_add_u32_e32 v7, 1, v3
	v_cmp_le_u32_e32 vcc, s15, v5
	v_cndmask_b32_e32 v10, v3, v7, vcc
.LBB77_25:                              ;   in Loop: Header=BB77_21 Depth=2
	s_or_b64 exec, exec, s[0:1]
	s_add_u32 s0, s4, s36
	s_addc_u32 s1, s5, s37
	s_add_i32 s36, s20, -1
	s_mov_b32 s37, s21
	s_lshl_b64 s[40:41], s[36:37], 2
	s_add_u32 s36, s46, s40
	s_addc_u32 s37, s47, s41
	s_load_dword s53, s[36:37], 0x8
	s_load_dword s35, s[38:39], 0x6c
	;; [unrolled: 1-line block ×3, first 2 shown]
                                        ; implicit-def: $vgpr12_vgpr13
	s_waitcnt lgkmcnt(0)
	s_ashr_i32 s0, s53, 31
	v_or_b32_e32 v3, s0, v11
	v_cmp_ne_u64_e32 vcc, 0, v[2:3]
	s_and_saveexec_b64 s[38:39], vcc
	s_xor_b64 s[38:39], exec, s[38:39]
	s_cbranch_execz .LBB77_27
; %bb.26:                               ;   in Loop: Header=BB77_21 Depth=2
	s_ashr_i32 s42, s0, 31
	s_add_u32 s44, s53, s42
	s_mov_b32 s43, s42
	s_addc_u32 s45, s0, s42
	s_xor_b64 s[44:45], s[44:45], s[42:43]
	v_cvt_f32_u32_e32 v3, s44
	v_cvt_f32_u32_e32 v5, s45
	s_sub_u32 s43, 0, s44
	s_subb_u32 s54, 0, s45
	v_mac_f32_e32 v3, 0x4f800000, v5
	v_rcp_f32_e32 v3, v3
	v_mul_f32_e32 v3, 0x5f7ffffc, v3
	v_mul_f32_e32 v5, 0x2f800000, v3
	v_trunc_f32_e32 v5, v5
	v_mac_f32_e32 v3, 0xcf800000, v5
	v_cvt_u32_f32_e32 v5, v5
	v_cvt_u32_f32_e32 v3, v3
	v_readfirstlane_b32 s55, v5
	v_readfirstlane_b32 s0, v3
	s_mul_i32 s1, s43, s55
	s_mul_hi_u32 s57, s43, s0
	s_mul_i32 s56, s54, s0
	s_add_i32 s1, s57, s1
	s_add_i32 s1, s1, s56
	s_mul_i32 s58, s43, s0
	s_mul_i32 s57, s0, s1
	s_mul_hi_u32 s59, s0, s58
	s_mul_hi_u32 s56, s0, s1
	s_add_u32 s57, s59, s57
	s_addc_u32 s56, 0, s56
	s_mul_hi_u32 s60, s55, s58
	s_mul_i32 s58, s55, s58
	s_add_u32 s57, s57, s58
	s_mul_hi_u32 s59, s55, s1
	s_addc_u32 s56, s56, s60
	s_addc_u32 s57, s59, 0
	s_mul_i32 s1, s55, s1
	s_add_u32 s1, s56, s1
	s_addc_u32 s56, 0, s57
	s_add_u32 s57, s0, s1
	s_cselect_b64 s[0:1], -1, 0
	s_cmp_lg_u64 s[0:1], 0
	s_addc_u32 s55, s55, s56
	s_mul_i32 s0, s43, s55
	s_mul_hi_u32 s1, s43, s57
	s_add_i32 s0, s1, s0
	s_mul_i32 s54, s54, s57
	s_add_i32 s0, s0, s54
	s_mul_i32 s43, s43, s57
	s_mul_hi_u32 s54, s55, s43
	s_mul_i32 s56, s55, s43
	s_mul_i32 s59, s57, s0
	s_mul_hi_u32 s43, s57, s43
	s_mul_hi_u32 s58, s57, s0
	s_add_u32 s43, s43, s59
	s_addc_u32 s58, 0, s58
	s_add_u32 s43, s43, s56
	s_mul_hi_u32 s1, s55, s0
	s_addc_u32 s43, s58, s54
	s_addc_u32 s1, s1, 0
	s_mul_i32 s0, s55, s0
	s_add_u32 s0, s43, s0
	s_addc_u32 s43, 0, s1
	s_add_u32 s54, s57, s0
	s_cselect_b64 s[0:1], -1, 0
	v_ashrrev_i32_e32 v3, 31, v11
	s_cmp_lg_u64 s[0:1], 0
	v_add_co_u32_e32 v5, vcc, v10, v3
	s_addc_u32 s43, s55, s43
	v_xor_b32_e32 v5, v5, v3
	v_addc_co_u32_e32 v7, vcc, v11, v3, vcc
	v_mad_u64_u32 v[11:12], s[0:1], v5, s43, 0
	v_mul_hi_u32 v9, v5, s54
	v_xor_b32_e32 v7, v7, v3
	v_mad_u64_u32 v[13:14], s[0:1], v7, s43, 0
	v_add_co_u32_e32 v9, vcc, v9, v11
	v_addc_co_u32_e32 v15, vcc, 0, v12, vcc
	v_mad_u64_u32 v[11:12], s[0:1], v7, s54, 0
	v_xor_b32_e32 v3, s42, v3
	v_add_co_u32_e32 v9, vcc, v9, v11
	v_addc_co_u32_e32 v9, vcc, v15, v12, vcc
	v_addc_co_u32_e32 v11, vcc, 0, v14, vcc
	v_add_co_u32_e32 v9, vcc, v9, v13
	v_addc_co_u32_e32 v13, vcc, 0, v11, vcc
	v_mul_lo_u32 v14, s45, v9
	v_mul_lo_u32 v15, s44, v13
	v_mad_u64_u32 v[11:12], s[0:1], s44, v9, 0
	v_add3_u32 v12, v12, v15, v14
	v_sub_u32_e32 v14, v7, v12
	v_mov_b32_e32 v15, s45
	v_sub_co_u32_e32 v5, vcc, v5, v11
	v_subb_co_u32_e64 v11, s[0:1], v14, v15, vcc
	v_subrev_co_u32_e64 v14, s[0:1], s44, v5
	v_subbrev_co_u32_e64 v11, s[0:1], 0, v11, s[0:1]
	v_cmp_le_u32_e64 s[0:1], s45, v11
	v_cndmask_b32_e64 v15, 0, -1, s[0:1]
	v_cmp_le_u32_e64 s[0:1], s44, v14
	v_cndmask_b32_e64 v14, 0, -1, s[0:1]
	v_cmp_eq_u32_e64 s[0:1], s45, v11
	v_cndmask_b32_e64 v11, v15, v14, s[0:1]
	v_add_co_u32_e64 v14, s[0:1], 2, v9
	v_subb_co_u32_e32 v7, vcc, v7, v12, vcc
	v_addc_co_u32_e64 v15, s[0:1], 0, v13, s[0:1]
	v_cmp_le_u32_e32 vcc, s45, v7
	v_add_co_u32_e64 v16, s[0:1], 1, v9
	v_cndmask_b32_e64 v12, 0, -1, vcc
	v_cmp_le_u32_e32 vcc, s44, v5
	v_addc_co_u32_e64 v17, s[0:1], 0, v13, s[0:1]
	v_cndmask_b32_e64 v5, 0, -1, vcc
	v_cmp_eq_u32_e32 vcc, s45, v7
	v_cmp_ne_u32_e64 s[0:1], 0, v11
	v_cndmask_b32_e32 v5, v12, v5, vcc
	v_cmp_ne_u32_e32 vcc, 0, v5
	v_cndmask_b32_e64 v7, v16, v14, s[0:1]
	v_cndmask_b32_e64 v11, v17, v15, s[0:1]
	v_cndmask_b32_e32 v7, v9, v7, vcc
	v_cndmask_b32_e32 v5, v13, v11, vcc
	v_xor_b32_e32 v7, v7, v3
	v_xor_b32_e32 v5, v5, v3
	v_sub_co_u32_e32 v12, vcc, v7, v3
	v_subb_co_u32_e32 v13, vcc, v5, v3, vcc
.LBB77_27:                              ;   in Loop: Header=BB77_21 Depth=2
	s_andn2_saveexec_b64 s[0:1], s[38:39]
	s_cbranch_execz .LBB77_29
; %bb.28:                               ;   in Loop: Header=BB77_21 Depth=2
	v_cvt_f32_u32_e32 v3, s53
	s_sub_i32 s38, 0, s53
	v_mov_b32_e32 v13, v2
	v_rcp_iflag_f32_e32 v3, v3
	v_mul_f32_e32 v3, 0x4f7ffffe, v3
	v_cvt_u32_f32_e32 v3, v3
	v_mul_lo_u32 v5, s38, v3
	v_mul_hi_u32 v5, v3, v5
	v_add_u32_e32 v3, v3, v5
	v_mul_hi_u32 v3, v10, v3
	v_mul_lo_u32 v5, v3, s53
	v_add_u32_e32 v7, 1, v3
	v_sub_u32_e32 v5, v10, v5
	v_subrev_u32_e32 v9, s53, v5
	v_cmp_le_u32_e32 vcc, s53, v5
	v_cndmask_b32_e32 v5, v5, v9, vcc
	v_cndmask_b32_e32 v3, v3, v7, vcc
	v_add_u32_e32 v7, 1, v3
	v_cmp_le_u32_e32 vcc, s53, v5
	v_cndmask_b32_e32 v12, v3, v7, vcc
.LBB77_29:                              ;   in Loop: Header=BB77_21 Depth=2
	s_or_b64 exec, exec, s[0:1]
	s_add_u32 s0, s4, s40
	s_addc_u32 s1, s5, s41
	s_add_i32 s38, s20, -2
	s_mov_b32 s39, s21
	s_lshl_b64 s[38:39], s[38:39], 2
	s_add_u32 s40, s46, s38
	s_addc_u32 s41, s47, s39
	s_load_dword s55, s[40:41], 0x8
	s_load_dword s56, s[36:37], 0x6c
	;; [unrolled: 1-line block ×3, first 2 shown]
                                        ; implicit-def: $vgpr14_vgpr15
	s_waitcnt lgkmcnt(0)
	s_ashr_i32 s0, s55, 31
	v_or_b32_e32 v3, s0, v13
	v_cmp_ne_u64_e32 vcc, 0, v[2:3]
	s_and_saveexec_b64 s[36:37], vcc
	s_xor_b64 s[36:37], exec, s[36:37]
	s_cbranch_execz .LBB77_31
; %bb.30:                               ;   in Loop: Header=BB77_21 Depth=2
	s_ashr_i32 s42, s0, 31
	s_add_u32 s44, s55, s42
	s_mov_b32 s43, s42
	s_addc_u32 s45, s0, s42
	s_xor_b64 s[44:45], s[44:45], s[42:43]
	v_cvt_f32_u32_e32 v3, s44
	v_cvt_f32_u32_e32 v5, s45
	s_sub_u32 s43, 0, s44
	s_subb_u32 s57, 0, s45
	v_mac_f32_e32 v3, 0x4f800000, v5
	v_rcp_f32_e32 v3, v3
	v_mul_f32_e32 v3, 0x5f7ffffc, v3
	v_mul_f32_e32 v5, 0x2f800000, v3
	v_trunc_f32_e32 v5, v5
	v_mac_f32_e32 v3, 0xcf800000, v5
	v_cvt_u32_f32_e32 v5, v5
	v_cvt_u32_f32_e32 v3, v3
	v_readfirstlane_b32 s58, v5
	v_readfirstlane_b32 s0, v3
	s_mul_i32 s1, s43, s58
	s_mul_hi_u32 s60, s43, s0
	s_mul_i32 s59, s57, s0
	s_add_i32 s1, s60, s1
	s_add_i32 s1, s1, s59
	s_mul_i32 s61, s43, s0
	s_mul_i32 s60, s0, s1
	s_mul_hi_u32 s62, s0, s61
	s_mul_hi_u32 s59, s0, s1
	s_add_u32 s60, s62, s60
	s_addc_u32 s59, 0, s59
	s_mul_hi_u32 s63, s58, s61
	s_mul_i32 s61, s58, s61
	s_add_u32 s60, s60, s61
	s_mul_hi_u32 s62, s58, s1
	s_addc_u32 s59, s59, s63
	s_addc_u32 s60, s62, 0
	s_mul_i32 s1, s58, s1
	s_add_u32 s1, s59, s1
	s_addc_u32 s59, 0, s60
	s_add_u32 s60, s0, s1
	s_cselect_b64 s[0:1], -1, 0
	s_cmp_lg_u64 s[0:1], 0
	s_addc_u32 s58, s58, s59
	s_mul_i32 s0, s43, s58
	s_mul_hi_u32 s1, s43, s60
	s_add_i32 s0, s1, s0
	s_mul_i32 s57, s57, s60
	s_add_i32 s0, s0, s57
	s_mul_i32 s43, s43, s60
	s_mul_hi_u32 s57, s58, s43
	s_mul_i32 s59, s58, s43
	s_mul_i32 s62, s60, s0
	s_mul_hi_u32 s43, s60, s43
	s_mul_hi_u32 s61, s60, s0
	s_add_u32 s43, s43, s62
	s_addc_u32 s61, 0, s61
	s_add_u32 s43, s43, s59
	s_mul_hi_u32 s1, s58, s0
	s_addc_u32 s43, s61, s57
	s_addc_u32 s1, s1, 0
	s_mul_i32 s0, s58, s0
	s_add_u32 s0, s43, s0
	s_addc_u32 s43, 0, s1
	s_add_u32 s57, s60, s0
	s_cselect_b64 s[0:1], -1, 0
	v_ashrrev_i32_e32 v3, 31, v13
	s_cmp_lg_u64 s[0:1], 0
	v_add_co_u32_e32 v5, vcc, v12, v3
	s_addc_u32 s43, s58, s43
	v_xor_b32_e32 v5, v5, v3
	v_addc_co_u32_e32 v7, vcc, v13, v3, vcc
	v_mad_u64_u32 v[13:14], s[0:1], v5, s43, 0
	v_mul_hi_u32 v9, v5, s57
	v_xor_b32_e32 v7, v7, v3
	v_mad_u64_u32 v[15:16], s[0:1], v7, s43, 0
	v_add_co_u32_e32 v9, vcc, v9, v13
	v_addc_co_u32_e32 v11, vcc, 0, v14, vcc
	v_mad_u64_u32 v[13:14], s[0:1], v7, s57, 0
	v_xor_b32_e32 v3, s42, v3
	v_add_co_u32_e32 v9, vcc, v9, v13
	v_addc_co_u32_e32 v9, vcc, v11, v14, vcc
	v_addc_co_u32_e32 v11, vcc, 0, v16, vcc
	v_add_co_u32_e32 v9, vcc, v9, v15
	v_addc_co_u32_e32 v11, vcc, 0, v11, vcc
	v_mul_lo_u32 v15, s45, v9
	v_mul_lo_u32 v16, s44, v11
	v_mad_u64_u32 v[13:14], s[0:1], s44, v9, 0
	v_add3_u32 v14, v14, v16, v15
	v_sub_u32_e32 v15, v7, v14
	v_mov_b32_e32 v16, s45
	v_sub_co_u32_e32 v5, vcc, v5, v13
	v_subb_co_u32_e64 v13, s[0:1], v15, v16, vcc
	v_subrev_co_u32_e64 v15, s[0:1], s44, v5
	v_subbrev_co_u32_e64 v13, s[0:1], 0, v13, s[0:1]
	v_cmp_le_u32_e64 s[0:1], s45, v13
	v_cndmask_b32_e64 v16, 0, -1, s[0:1]
	v_cmp_le_u32_e64 s[0:1], s44, v15
	v_cndmask_b32_e64 v15, 0, -1, s[0:1]
	v_cmp_eq_u32_e64 s[0:1], s45, v13
	v_cndmask_b32_e64 v13, v16, v15, s[0:1]
	v_add_co_u32_e64 v15, s[0:1], 2, v9
	v_subb_co_u32_e32 v7, vcc, v7, v14, vcc
	v_addc_co_u32_e64 v16, s[0:1], 0, v11, s[0:1]
	v_cmp_le_u32_e32 vcc, s45, v7
	v_add_co_u32_e64 v17, s[0:1], 1, v9
	v_cndmask_b32_e64 v14, 0, -1, vcc
	v_cmp_le_u32_e32 vcc, s44, v5
	v_addc_co_u32_e64 v20, s[0:1], 0, v11, s[0:1]
	v_cndmask_b32_e64 v5, 0, -1, vcc
	v_cmp_eq_u32_e32 vcc, s45, v7
	v_cmp_ne_u32_e64 s[0:1], 0, v13
	v_cndmask_b32_e32 v5, v14, v5, vcc
	v_cmp_ne_u32_e32 vcc, 0, v5
	v_cndmask_b32_e64 v7, v17, v15, s[0:1]
	v_cndmask_b32_e64 v13, v20, v16, s[0:1]
	v_cndmask_b32_e32 v7, v9, v7, vcc
	v_cndmask_b32_e32 v5, v11, v13, vcc
	v_xor_b32_e32 v7, v7, v3
	v_xor_b32_e32 v5, v5, v3
	v_sub_co_u32_e32 v14, vcc, v7, v3
	v_subb_co_u32_e32 v15, vcc, v5, v3, vcc
.LBB77_31:                              ;   in Loop: Header=BB77_21 Depth=2
	s_andn2_saveexec_b64 s[0:1], s[36:37]
	s_cbranch_execz .LBB77_33
; %bb.32:                               ;   in Loop: Header=BB77_21 Depth=2
	v_cvt_f32_u32_e32 v3, s55
	s_sub_i32 s36, 0, s55
	v_mov_b32_e32 v15, v2
	v_rcp_iflag_f32_e32 v3, v3
	v_mul_f32_e32 v3, 0x4f7ffffe, v3
	v_cvt_u32_f32_e32 v3, v3
	v_mul_lo_u32 v5, s36, v3
	v_mul_hi_u32 v5, v3, v5
	v_add_u32_e32 v3, v3, v5
	v_mul_hi_u32 v3, v12, v3
	v_mul_lo_u32 v5, v3, s55
	v_add_u32_e32 v7, 1, v3
	v_sub_u32_e32 v5, v12, v5
	v_subrev_u32_e32 v9, s55, v5
	v_cmp_le_u32_e32 vcc, s55, v5
	v_cndmask_b32_e32 v5, v5, v9, vcc
	v_cndmask_b32_e32 v3, v3, v7, vcc
	v_add_u32_e32 v7, 1, v3
	v_cmp_le_u32_e32 vcc, s55, v5
	v_cndmask_b32_e32 v14, v3, v7, vcc
.LBB77_33:                              ;   in Loop: Header=BB77_21 Depth=2
	s_or_b64 exec, exec, s[0:1]
	s_add_u32 s0, s4, s38
	s_addc_u32 s1, s5, s39
	s_add_i32 s36, s20, -3
	s_mov_b32 s37, s21
	s_lshl_b64 s[36:37], s[36:37], 2
	s_add_u32 s38, s46, s36
	s_addc_u32 s39, s47, s37
	s_load_dword s58, s[38:39], 0x8
	s_load_dword s59, s[40:41], 0x6c
	;; [unrolled: 1-line block ×3, first 2 shown]
                                        ; implicit-def: $vgpr16_vgpr17
	s_waitcnt lgkmcnt(0)
	s_ashr_i32 s0, s58, 31
	v_or_b32_e32 v3, s0, v15
	v_cmp_ne_u64_e32 vcc, 0, v[2:3]
	s_and_saveexec_b64 s[40:41], vcc
	s_xor_b64 s[40:41], exec, s[40:41]
	s_cbranch_execz .LBB77_35
; %bb.34:                               ;   in Loop: Header=BB77_21 Depth=2
	s_ashr_i32 s42, s0, 31
	s_add_u32 s44, s58, s42
	s_mov_b32 s43, s42
	s_addc_u32 s45, s0, s42
	s_xor_b64 s[44:45], s[44:45], s[42:43]
	v_cvt_f32_u32_e32 v3, s44
	v_cvt_f32_u32_e32 v5, s45
	s_sub_u32 s43, 0, s44
	s_subb_u32 s60, 0, s45
	v_mac_f32_e32 v3, 0x4f800000, v5
	v_rcp_f32_e32 v3, v3
	v_mul_f32_e32 v3, 0x5f7ffffc, v3
	v_mul_f32_e32 v5, 0x2f800000, v3
	v_trunc_f32_e32 v5, v5
	v_mac_f32_e32 v3, 0xcf800000, v5
	v_cvt_u32_f32_e32 v5, v5
	v_cvt_u32_f32_e32 v3, v3
	v_readfirstlane_b32 s61, v5
	v_readfirstlane_b32 s0, v3
	s_mul_i32 s1, s43, s61
	s_mul_hi_u32 s63, s43, s0
	s_mul_i32 s62, s60, s0
	s_add_i32 s1, s63, s1
	s_add_i32 s1, s1, s62
	s_mul_i32 s64, s43, s0
	s_mul_i32 s63, s0, s1
	s_mul_hi_u32 s65, s0, s64
	s_mul_hi_u32 s62, s0, s1
	s_add_u32 s63, s65, s63
	s_addc_u32 s62, 0, s62
	s_mul_hi_u32 s66, s61, s64
	s_mul_i32 s64, s61, s64
	s_add_u32 s63, s63, s64
	s_mul_hi_u32 s65, s61, s1
	s_addc_u32 s62, s62, s66
	s_addc_u32 s63, s65, 0
	s_mul_i32 s1, s61, s1
	s_add_u32 s1, s62, s1
	s_addc_u32 s62, 0, s63
	s_add_u32 s63, s0, s1
	s_cselect_b64 s[0:1], -1, 0
	s_cmp_lg_u64 s[0:1], 0
	s_addc_u32 s61, s61, s62
	s_mul_i32 s0, s43, s61
	s_mul_hi_u32 s1, s43, s63
	s_add_i32 s0, s1, s0
	s_mul_i32 s60, s60, s63
	s_add_i32 s0, s0, s60
	s_mul_i32 s43, s43, s63
	s_mul_hi_u32 s60, s61, s43
	s_mul_i32 s62, s61, s43
	s_mul_i32 s65, s63, s0
	s_mul_hi_u32 s43, s63, s43
	s_mul_hi_u32 s64, s63, s0
	s_add_u32 s43, s43, s65
	s_addc_u32 s64, 0, s64
	s_add_u32 s43, s43, s62
	s_mul_hi_u32 s1, s61, s0
	s_addc_u32 s43, s64, s60
	s_addc_u32 s1, s1, 0
	s_mul_i32 s0, s61, s0
	s_add_u32 s0, s43, s0
	s_addc_u32 s43, 0, s1
	s_add_u32 s60, s63, s0
	s_cselect_b64 s[0:1], -1, 0
	v_ashrrev_i32_e32 v3, 31, v15
	s_cmp_lg_u64 s[0:1], 0
	v_add_co_u32_e32 v5, vcc, v14, v3
	s_addc_u32 s43, s61, s43
	v_xor_b32_e32 v5, v5, v3
	v_addc_co_u32_e32 v7, vcc, v15, v3, vcc
	v_mad_u64_u32 v[15:16], s[0:1], v5, s43, 0
	v_mul_hi_u32 v9, v5, s60
	v_xor_b32_e32 v7, v7, v3
	v_mad_u64_u32 v[20:21], s[0:1], v7, s43, 0
	v_add_co_u32_e32 v9, vcc, v9, v15
	v_addc_co_u32_e32 v11, vcc, 0, v16, vcc
	v_mad_u64_u32 v[15:16], s[0:1], v7, s60, 0
	v_xor_b32_e32 v3, s42, v3
	v_add_co_u32_e32 v9, vcc, v9, v15
	v_addc_co_u32_e32 v9, vcc, v11, v16, vcc
	v_addc_co_u32_e32 v11, vcc, 0, v21, vcc
	v_add_co_u32_e32 v9, vcc, v9, v20
	v_addc_co_u32_e32 v11, vcc, 0, v11, vcc
	v_mul_lo_u32 v13, s45, v9
	v_mul_lo_u32 v17, s44, v11
	v_mad_u64_u32 v[15:16], s[0:1], s44, v9, 0
	v_add3_u32 v13, v16, v17, v13
	v_sub_u32_e32 v16, v7, v13
	v_mov_b32_e32 v17, s45
	v_sub_co_u32_e32 v5, vcc, v5, v15
	v_subb_co_u32_e64 v15, s[0:1], v16, v17, vcc
	v_subrev_co_u32_e64 v16, s[0:1], s44, v5
	v_subbrev_co_u32_e64 v15, s[0:1], 0, v15, s[0:1]
	v_cmp_le_u32_e64 s[0:1], s45, v15
	v_cndmask_b32_e64 v17, 0, -1, s[0:1]
	v_cmp_le_u32_e64 s[0:1], s44, v16
	v_cndmask_b32_e64 v16, 0, -1, s[0:1]
	v_cmp_eq_u32_e64 s[0:1], s45, v15
	v_cndmask_b32_e64 v15, v17, v16, s[0:1]
	v_add_co_u32_e64 v16, s[0:1], 2, v9
	v_subb_co_u32_e32 v7, vcc, v7, v13, vcc
	v_addc_co_u32_e64 v17, s[0:1], 0, v11, s[0:1]
	v_cmp_le_u32_e32 vcc, s45, v7
	v_add_co_u32_e64 v20, s[0:1], 1, v9
	v_cndmask_b32_e64 v13, 0, -1, vcc
	v_cmp_le_u32_e32 vcc, s44, v5
	v_addc_co_u32_e64 v21, s[0:1], 0, v11, s[0:1]
	v_cndmask_b32_e64 v5, 0, -1, vcc
	v_cmp_eq_u32_e32 vcc, s45, v7
	v_cmp_ne_u32_e64 s[0:1], 0, v15
	v_cndmask_b32_e32 v5, v13, v5, vcc
	v_cmp_ne_u32_e32 vcc, 0, v5
	v_cndmask_b32_e64 v7, v20, v16, s[0:1]
	v_cndmask_b32_e64 v15, v21, v17, s[0:1]
	v_cndmask_b32_e32 v7, v9, v7, vcc
	v_cndmask_b32_e32 v5, v11, v15, vcc
	v_xor_b32_e32 v7, v7, v3
	v_xor_b32_e32 v5, v5, v3
	v_sub_co_u32_e32 v16, vcc, v7, v3
	v_subb_co_u32_e32 v17, vcc, v5, v3, vcc
.LBB77_35:                              ;   in Loop: Header=BB77_21 Depth=2
	s_andn2_saveexec_b64 s[0:1], s[40:41]
	s_cbranch_execz .LBB77_37
; %bb.36:                               ;   in Loop: Header=BB77_21 Depth=2
	v_cvt_f32_u32_e32 v3, s58
	s_sub_i32 s40, 0, s58
	v_mov_b32_e32 v17, v2
	v_rcp_iflag_f32_e32 v3, v3
	v_mul_f32_e32 v3, 0x4f7ffffe, v3
	v_cvt_u32_f32_e32 v3, v3
	v_mul_lo_u32 v5, s40, v3
	v_mul_hi_u32 v5, v3, v5
	v_add_u32_e32 v3, v3, v5
	v_mul_hi_u32 v3, v14, v3
	v_mul_lo_u32 v5, v3, s58
	v_add_u32_e32 v7, 1, v3
	v_sub_u32_e32 v5, v14, v5
	v_subrev_u32_e32 v9, s58, v5
	v_cmp_le_u32_e32 vcc, s58, v5
	v_cndmask_b32_e32 v5, v5, v9, vcc
	v_cndmask_b32_e32 v3, v3, v7, vcc
	v_add_u32_e32 v7, 1, v3
	v_cmp_le_u32_e32 vcc, s58, v5
	v_cndmask_b32_e32 v16, v3, v7, vcc
.LBB77_37:                              ;   in Loop: Header=BB77_21 Depth=2
	s_or_b64 exec, exec, s[0:1]
	v_mul_lo_u32 v3, v10, s15
	v_mul_lo_u32 v5, v12, s53
	v_mul_lo_u32 v9, v14, s55
	s_add_u32 s0, s4, s36
	v_sub_u32_e32 v3, v8, v3
	v_sub_u32_e32 v5, v10, v5
	v_mul_lo_u32 v7, s35, v3
	v_mul_lo_u32 v8, s56, v5
	s_addc_u32 s1, s5, s37
	s_load_dword s15, s[38:39], 0x6c
	v_mul_lo_u32 v3, s17, v3
	v_add3_u32 v6, v7, v6, v8
	v_sub_u32_e32 v7, v12, v9
	v_mul_lo_u32 v9, v16, s58
	s_load_dword s0, s[0:1], 0x6c
	v_mul_lo_u32 v5, s54, v5
	v_mul_lo_u32 v8, s59, v7
	v_sub_u32_e32 v9, v14, v9
	s_waitcnt lgkmcnt(0)
	v_mul_lo_u32 v10, s15, v9
	v_add3_u32 v3, v3, v4, v5
	v_mul_lo_u32 v4, s57, v7
	v_mul_lo_u32 v5, s0, v9
	s_add_i32 s20, s20, -4
	v_add3_u32 v6, v8, v6, v10
	s_cmp_eq_u32 s20, -1
	v_add3_u32 v4, v4, v3, v5
	s_cbranch_scc1 .LBB77_39
; %bb.38:                               ;   in Loop: Header=BB77_21 Depth=2
	v_mov_b32_e32 v8, v16
	v_mov_b32_e32 v9, v17
	s_branch .LBB77_21
.LBB77_39:                              ;   in Loop: Header=BB77_3 Depth=1
	v_sub_u32_e32 v5, v18, v19
	v_add_u32_e32 v7, 2, v5
	v_ashrrev_i32_e32 v8, 31, v7
	v_cmp_le_i64_e32 vcc, s[8:9], v[7:8]
	v_mov_b32_e32 v7, 0
	v_mov_b32_e32 v8, 0
	s_and_saveexec_b64 s[0:1], vcc
	s_cbranch_execz .LBB77_45
; %bb.40:                               ;   in Loop: Header=BB77_3 Depth=1
	v_cmp_gt_i32_e32 vcc, s7, v18
	v_mov_b32_e32 v3, 0
	v_mov_b32_e32 v9, 0
	s_and_saveexec_b64 s[36:37], vcc
	s_cbranch_execz .LBB77_44
; %bb.41:                               ;   in Loop: Header=BB77_3 Depth=1
	v_ashrrev_i32_e32 v7, 31, v6
	v_lshlrev_b64 v[6:7], 2, v[6:7]
	v_mov_b32_e32 v3, s3
	v_add_co_u32_e32 v6, vcc, s2, v6
	v_addc_co_u32_e32 v7, vcc, v3, v7, vcc
	global_load_dword v3, v[6:7], off
	v_add_u32_e32 v8, 1, v18
	v_cmp_gt_i32_e32 vcc, s7, v8
	v_mov_b32_e32 v9, 0
	s_and_saveexec_b64 s[38:39], vcc
	s_xor_b64 s[38:39], exec, s[38:39]
	s_cbranch_execz .LBB77_43
; %bb.42:                               ;   in Loop: Header=BB77_3 Depth=1
	s_lshl_b64 s[40:41], s[26:27], 2
	v_mov_b32_e32 v8, s41
	v_add_co_u32_e32 v6, vcc, s40, v6
	v_addc_co_u32_e32 v7, vcc, v7, v8, vcc
	global_load_dword v9, v[6:7], off
.LBB77_43:                              ;   in Loop: Header=BB77_3 Depth=1
	s_or_b64 exec, exec, s[38:39]
.LBB77_44:                              ;   in Loop: Header=BB77_3 Depth=1
	s_or_b64 exec, exec, s[36:37]
	v_ashrrev_i32_e32 v6, 31, v5
	v_cmp_le_i64_e32 vcc, s[8:9], v[5:6]
	v_add_u32_e32 v5, 1, v5
	v_ashrrev_i32_e32 v6, 31, v5
	s_waitcnt vmcnt(0)
	v_cndmask_b32_e32 v8, 0, v3, vcc
	v_cmp_le_i64_e32 vcc, s[8:9], v[5:6]
	v_cndmask_b32_e32 v7, 0, v9, vcc
.LBB77_45:                              ;   in Loop: Header=BB77_3 Depth=1
	s_or_b64 exec, exec, s[0:1]
	v_cmp_gt_i32_e32 vcc, s7, v18
	s_and_saveexec_b64 s[0:1], vcc
	s_cbranch_execz .LBB77_2
; %bb.46:                               ;   in Loop: Header=BB77_3 Depth=1
	v_ashrrev_i32_e32 v5, 31, v4
	v_lshlrev_b64 v[3:4], 2, v[4:5]
	v_mov_b32_e32 v5, s19
	v_add_co_u32_e32 v3, vcc, s18, v3
	v_addc_co_u32_e32 v4, vcc, v5, v4, vcc
	v_add_u32_e32 v5, 1, v18
	v_cmp_gt_i32_e32 vcc, s7, v5
	global_store_dword v[3:4], v8, off
	s_and_saveexec_b64 s[36:37], vcc
	s_xor_b64 s[36:37], exec, s[36:37]
	s_cbranch_execz .LBB77_2
; %bb.47:                               ;   in Loop: Header=BB77_3 Depth=1
	s_lshl_b64 s[36:37], s[28:29], 2
	v_mov_b32_e32 v5, s37
	v_add_co_u32_e32 v3, vcc, s36, v3
	v_addc_co_u32_e32 v4, vcc, v4, v5, vcc
	global_store_dword v[3:4], v7, off
	s_branch .LBB77_2
.LBB77_48:
	s_endpgm
	.section	.rodata,"a",@progbits
	.p2align	6, 0x0
	.amdhsa_kernel _ZN2at6native16triu_tril_kernelIfiLb1ELi2ELb0EEEvNS_4cuda6detail10TensorInfoIT_T0_EENS4_IKS5_S6_EEllS6_
		.amdhsa_group_segment_fixed_size 0
		.amdhsa_private_segment_fixed_size 0
		.amdhsa_kernarg_size 712
		.amdhsa_user_sgpr_count 6
		.amdhsa_user_sgpr_private_segment_buffer 1
		.amdhsa_user_sgpr_dispatch_ptr 0
		.amdhsa_user_sgpr_queue_ptr 0
		.amdhsa_user_sgpr_kernarg_segment_ptr 1
		.amdhsa_user_sgpr_dispatch_id 0
		.amdhsa_user_sgpr_flat_scratch_init 0
		.amdhsa_user_sgpr_private_segment_size 0
		.amdhsa_uses_dynamic_stack 0
		.amdhsa_system_sgpr_private_segment_wavefront_offset 0
		.amdhsa_system_sgpr_workgroup_id_x 1
		.amdhsa_system_sgpr_workgroup_id_y 0
		.amdhsa_system_sgpr_workgroup_id_z 0
		.amdhsa_system_sgpr_workgroup_info 0
		.amdhsa_system_vgpr_workitem_id 0
		.amdhsa_next_free_vgpr 22
		.amdhsa_next_free_sgpr 67
		.amdhsa_reserve_vcc 1
		.amdhsa_reserve_flat_scratch 0
		.amdhsa_float_round_mode_32 0
		.amdhsa_float_round_mode_16_64 0
		.amdhsa_float_denorm_mode_32 3
		.amdhsa_float_denorm_mode_16_64 3
		.amdhsa_dx10_clamp 1
		.amdhsa_ieee_mode 1
		.amdhsa_fp16_overflow 0
		.amdhsa_exception_fp_ieee_invalid_op 0
		.amdhsa_exception_fp_denorm_src 0
		.amdhsa_exception_fp_ieee_div_zero 0
		.amdhsa_exception_fp_ieee_overflow 0
		.amdhsa_exception_fp_ieee_underflow 0
		.amdhsa_exception_fp_ieee_inexact 0
		.amdhsa_exception_int_div_zero 0
	.end_amdhsa_kernel
	.section	.text._ZN2at6native16triu_tril_kernelIfiLb1ELi2ELb0EEEvNS_4cuda6detail10TensorInfoIT_T0_EENS4_IKS5_S6_EEllS6_,"axG",@progbits,_ZN2at6native16triu_tril_kernelIfiLb1ELi2ELb0EEEvNS_4cuda6detail10TensorInfoIT_T0_EENS4_IKS5_S6_EEllS6_,comdat
.Lfunc_end77:
	.size	_ZN2at6native16triu_tril_kernelIfiLb1ELi2ELb0EEEvNS_4cuda6detail10TensorInfoIT_T0_EENS4_IKS5_S6_EEllS6_, .Lfunc_end77-_ZN2at6native16triu_tril_kernelIfiLb1ELi2ELb0EEEvNS_4cuda6detail10TensorInfoIT_T0_EENS4_IKS5_S6_EEllS6_
                                        ; -- End function
	.set _ZN2at6native16triu_tril_kernelIfiLb1ELi2ELb0EEEvNS_4cuda6detail10TensorInfoIT_T0_EENS4_IKS5_S6_EEllS6_.num_vgpr, 22
	.set _ZN2at6native16triu_tril_kernelIfiLb1ELi2ELb0EEEvNS_4cuda6detail10TensorInfoIT_T0_EENS4_IKS5_S6_EEllS6_.num_agpr, 0
	.set _ZN2at6native16triu_tril_kernelIfiLb1ELi2ELb0EEEvNS_4cuda6detail10TensorInfoIT_T0_EENS4_IKS5_S6_EEllS6_.numbered_sgpr, 67
	.set _ZN2at6native16triu_tril_kernelIfiLb1ELi2ELb0EEEvNS_4cuda6detail10TensorInfoIT_T0_EENS4_IKS5_S6_EEllS6_.num_named_barrier, 0
	.set _ZN2at6native16triu_tril_kernelIfiLb1ELi2ELb0EEEvNS_4cuda6detail10TensorInfoIT_T0_EENS4_IKS5_S6_EEllS6_.private_seg_size, 0
	.set _ZN2at6native16triu_tril_kernelIfiLb1ELi2ELb0EEEvNS_4cuda6detail10TensorInfoIT_T0_EENS4_IKS5_S6_EEllS6_.uses_vcc, 1
	.set _ZN2at6native16triu_tril_kernelIfiLb1ELi2ELb0EEEvNS_4cuda6detail10TensorInfoIT_T0_EENS4_IKS5_S6_EEllS6_.uses_flat_scratch, 0
	.set _ZN2at6native16triu_tril_kernelIfiLb1ELi2ELb0EEEvNS_4cuda6detail10TensorInfoIT_T0_EENS4_IKS5_S6_EEllS6_.has_dyn_sized_stack, 0
	.set _ZN2at6native16triu_tril_kernelIfiLb1ELi2ELb0EEEvNS_4cuda6detail10TensorInfoIT_T0_EENS4_IKS5_S6_EEllS6_.has_recursion, 0
	.set _ZN2at6native16triu_tril_kernelIfiLb1ELi2ELb0EEEvNS_4cuda6detail10TensorInfoIT_T0_EENS4_IKS5_S6_EEllS6_.has_indirect_call, 0
	.section	.AMDGPU.csdata,"",@progbits
; Kernel info:
; codeLenInByte = 6348
; TotalNumSgprs: 71
; NumVgprs: 22
; ScratchSize: 0
; MemoryBound: 0
; FloatMode: 240
; IeeeMode: 1
; LDSByteSize: 0 bytes/workgroup (compile time only)
; SGPRBlocks: 8
; VGPRBlocks: 5
; NumSGPRsForWavesPerEU: 71
; NumVGPRsForWavesPerEU: 22
; Occupancy: 10
; WaveLimiterHint : 1
; COMPUTE_PGM_RSRC2:SCRATCH_EN: 0
; COMPUTE_PGM_RSRC2:USER_SGPR: 6
; COMPUTE_PGM_RSRC2:TRAP_HANDLER: 0
; COMPUTE_PGM_RSRC2:TGID_X_EN: 1
; COMPUTE_PGM_RSRC2:TGID_Y_EN: 0
; COMPUTE_PGM_RSRC2:TGID_Z_EN: 0
; COMPUTE_PGM_RSRC2:TIDIG_COMP_CNT: 0
	.section	.text._ZN2at6native16triu_tril_kernelIflLb1ELi2ELb1EEEvNS_4cuda6detail10TensorInfoIT_T0_EENS4_IKS5_S6_EEllS6_,"axG",@progbits,_ZN2at6native16triu_tril_kernelIflLb1ELi2ELb1EEEvNS_4cuda6detail10TensorInfoIT_T0_EENS4_IKS5_S6_EEllS6_,comdat
	.protected	_ZN2at6native16triu_tril_kernelIflLb1ELi2ELb1EEEvNS_4cuda6detail10TensorInfoIT_T0_EENS4_IKS5_S6_EEllS6_ ; -- Begin function _ZN2at6native16triu_tril_kernelIflLb1ELi2ELb1EEEvNS_4cuda6detail10TensorInfoIT_T0_EENS4_IKS5_S6_EEllS6_
	.globl	_ZN2at6native16triu_tril_kernelIflLb1ELi2ELb1EEEvNS_4cuda6detail10TensorInfoIT_T0_EENS4_IKS5_S6_EEllS6_
	.p2align	8
	.type	_ZN2at6native16triu_tril_kernelIflLb1ELi2ELb1EEEvNS_4cuda6detail10TensorInfoIT_T0_EENS4_IKS5_S6_EEllS6_,@function
_ZN2at6native16triu_tril_kernelIflLb1ELi2ELb1EEEvNS_4cuda6detail10TensorInfoIT_T0_EENS4_IKS5_S6_EEllS6_: ; @_ZN2at6native16triu_tril_kernelIflLb1ELi2ELb1EEEvNS_4cuda6detail10TensorInfoIT_T0_EENS4_IKS5_S6_EEllS6_
; %bb.0:
	s_load_dword s2, s[4:5], 0x364
	s_load_dwordx4 s[8:11], s[4:5], 0x340
	s_add_u32 s0, s4, 0x358
	v_mov_b32_e32 v2, 0
	s_addc_u32 s1, s5, 0
	s_waitcnt lgkmcnt(0)
	s_and_b32 s2, s2, 0xffff
	v_mov_b32_e32 v1, v2
	v_mov_b32_e32 v3, s6
	v_mad_u64_u32 v[0:1], s[6:7], s2, v3, v[0:1]
	v_lshlrev_b64 v[0:1], 1, v[0:1]
	v_cmp_gt_i64_e32 vcc, s[10:11], v[0:1]
	s_and_saveexec_b64 s[6:7], vcc
	s_cbranch_execz .LBB78_41
; %bb.1:
	s_load_dword s1, s[0:1], 0x0
	s_add_u32 s34, s4, 0x1a0
	s_load_dword s0, s[4:5], 0x338
	s_addc_u32 s35, s5, 0
	s_load_dwordx2 s[6:7], s[4:5], 0x350
	s_load_dwordx2 s[12:13], s[4:5], 0x0
	s_waitcnt lgkmcnt(0)
	s_mul_i32 s24, s1, s2
	s_mov_b32 s25, 0
	s_add_i32 s2, s0, -2
	s_ashr_i32 s3, s2, 31
	s_ashr_i32 s1, s0, 31
	s_lshl_b64 s[16:17], s[2:3], 3
	s_add_u32 s16, s34, s16
	s_addc_u32 s17, s35, s17
	s_lshl_b64 s[22:23], s[0:1], 3
	s_add_u32 s18, s4, s22
	s_addc_u32 s19, s5, s23
	s_add_i32 s20, s0, -3
	s_ashr_i32 s21, s20, 31
	s_add_u32 s22, s34, s22
	v_cmp_gt_i64_e64 s[14:15], s[0:1], 2
	s_addc_u32 s23, s35, s23
	s_lshl_b32 s33, s24, 1
	s_and_b32 s24, s2, 3
	s_and_b32 s0, s20, 3
	s_cmp_lg_u32 s0, 3
	s_cselect_b64 s[26:27], -1, 0
	s_cmp_gt_u32 s20, 2
	s_cselect_b64 s[28:29], -1, 0
	s_lshl_b64 s[0:1], s[20:21], 3
	s_add_u32 s2, s4, s0
	s_addc_u32 s3, s5, s1
	s_add_u32 s30, s2, 0xd0
	s_addc_u32 s31, s3, 0
	s_add_u32 s0, s34, s0
	s_addc_u32 s1, s35, s1
	s_add_u32 s34, s0, 8
	s_load_dwordx2 s[16:17], s[16:17], 0x8
	s_addc_u32 s35, s1, 0
	s_add_u32 s64, s4, 0xb8
	s_addc_u32 s65, s5, 0
	s_add_u32 s66, s4, 0x190
	s_addc_u32 s67, s5, 0
	s_mov_b64 s[4:5], 0
	s_branch .LBB78_3
.LBB78_2:                               ;   in Loop: Header=BB78_3 Depth=1
	s_or_b64 exec, exec, s[36:37]
	v_add_co_u32_e32 v0, vcc, s33, v0
	v_addc_co_u32_e32 v1, vcc, 0, v1, vcc
	v_cmp_le_i64_e32 vcc, s[10:11], v[0:1]
	s_or_b64 s[4:5], vcc, s[4:5]
	s_andn2_b64 exec, exec, s[4:5]
	s_cbranch_execz .LBB78_41
.LBB78_3:                               ; =>This Loop Header: Depth=1
                                        ;     Child Loop BB78_17 Depth 2
                                        ;     Child Loop BB78_22 Depth 2
	v_or_b32_e32 v3, s7, v1
	v_cmp_ne_u64_e32 vcc, 0, v[2:3]
                                        ; implicit-def: $vgpr6_vgpr7
	s_and_saveexec_b64 s[0:1], vcc
	s_xor_b64 s[2:3], exec, s[0:1]
	s_cbranch_execz .LBB78_5
; %bb.4:                                ;   in Loop: Header=BB78_3 Depth=1
	s_ashr_i32 s36, s7, 31
	s_add_u32 s0, s6, s36
	s_mov_b32 s37, s36
	s_addc_u32 s1, s7, s36
	s_xor_b64 s[38:39], s[0:1], s[36:37]
	v_cvt_f32_u32_e32 v3, s38
	v_cvt_f32_u32_e32 v4, s39
	s_sub_u32 s37, 0, s38
	s_subb_u32 s40, 0, s39
	v_ashrrev_i32_e32 v7, 31, v1
	v_mac_f32_e32 v3, 0x4f800000, v4
	v_rcp_f32_e32 v3, v3
	v_mul_f32_e32 v3, 0x5f7ffffc, v3
	v_mul_f32_e32 v4, 0x2f800000, v3
	v_trunc_f32_e32 v4, v4
	v_mac_f32_e32 v3, 0xcf800000, v4
	v_cvt_u32_f32_e32 v4, v4
	v_cvt_u32_f32_e32 v3, v3
	v_readfirstlane_b32 s41, v4
	v_readfirstlane_b32 s0, v3
	s_mul_i32 s1, s37, s41
	s_mul_hi_u32 s43, s37, s0
	s_mul_i32 s42, s40, s0
	s_add_i32 s1, s43, s1
	s_add_i32 s1, s1, s42
	s_mul_i32 s44, s37, s0
	s_mul_i32 s43, s0, s1
	s_mul_hi_u32 s45, s0, s44
	s_mul_hi_u32 s42, s0, s1
	s_add_u32 s43, s45, s43
	s_addc_u32 s42, 0, s42
	s_mul_hi_u32 s46, s41, s44
	s_mul_i32 s44, s41, s44
	s_add_u32 s43, s43, s44
	s_mul_hi_u32 s45, s41, s1
	s_addc_u32 s42, s42, s46
	s_addc_u32 s43, s45, 0
	s_mul_i32 s1, s41, s1
	s_add_u32 s1, s42, s1
	s_addc_u32 s42, 0, s43
	s_add_u32 s43, s0, s1
	s_cselect_b64 s[0:1], -1, 0
	s_cmp_lg_u64 s[0:1], 0
	s_addc_u32 s41, s41, s42
	s_mul_i32 s0, s37, s41
	s_mul_hi_u32 s1, s37, s43
	s_add_i32 s0, s1, s0
	s_mul_i32 s40, s40, s43
	s_add_i32 s0, s0, s40
	s_mul_i32 s37, s37, s43
	s_mul_hi_u32 s40, s41, s37
	s_mul_i32 s42, s41, s37
	s_mul_i32 s45, s43, s0
	s_mul_hi_u32 s37, s43, s37
	s_mul_hi_u32 s44, s43, s0
	s_add_u32 s37, s37, s45
	s_addc_u32 s44, 0, s44
	s_add_u32 s37, s37, s42
	s_mul_hi_u32 s1, s41, s0
	s_addc_u32 s37, s44, s40
	s_addc_u32 s1, s1, 0
	s_mul_i32 s0, s41, s0
	s_add_u32 s0, s37, s0
	s_addc_u32 s37, 0, s1
	s_add_u32 s40, s43, s0
	s_cselect_b64 s[0:1], -1, 0
	s_cmp_lg_u64 s[0:1], 0
	v_add_co_u32_e32 v3, vcc, v0, v7
	s_addc_u32 s37, s41, s37
	v_xor_b32_e32 v8, v3, v7
	v_mad_u64_u32 v[3:4], s[0:1], v8, s37, 0
	v_mul_hi_u32 v6, v8, s40
	v_addc_co_u32_e32 v5, vcc, v1, v7, vcc
	v_xor_b32_e32 v9, v5, v7
	v_add_co_u32_e32 v10, vcc, v6, v3
	v_addc_co_u32_e32 v11, vcc, 0, v4, vcc
	v_mad_u64_u32 v[3:4], s[0:1], v9, s40, 0
	v_mad_u64_u32 v[5:6], s[0:1], v9, s37, 0
	v_add_co_u32_e32 v3, vcc, v10, v3
	v_addc_co_u32_e32 v3, vcc, v11, v4, vcc
	v_addc_co_u32_e32 v4, vcc, 0, v6, vcc
	v_add_co_u32_e32 v5, vcc, v3, v5
	v_addc_co_u32_e32 v6, vcc, 0, v4, vcc
	v_mul_lo_u32 v10, s39, v5
	v_mul_lo_u32 v11, s38, v6
	v_mad_u64_u32 v[3:4], s[0:1], s38, v5, 0
	v_add3_u32 v4, v4, v11, v10
	v_sub_u32_e32 v10, v9, v4
	v_mov_b32_e32 v11, s39
	v_sub_co_u32_e32 v3, vcc, v8, v3
	v_subb_co_u32_e64 v8, s[0:1], v10, v11, vcc
	v_subrev_co_u32_e64 v10, s[0:1], s38, v3
	v_subbrev_co_u32_e64 v8, s[0:1], 0, v8, s[0:1]
	v_cmp_le_u32_e64 s[0:1], s39, v8
	v_cndmask_b32_e64 v11, 0, -1, s[0:1]
	v_cmp_le_u32_e64 s[0:1], s38, v10
	v_cndmask_b32_e64 v10, 0, -1, s[0:1]
	v_cmp_eq_u32_e64 s[0:1], s39, v8
	v_cndmask_b32_e64 v8, v11, v10, s[0:1]
	v_add_co_u32_e64 v10, s[0:1], 2, v5
	v_subb_co_u32_e32 v4, vcc, v9, v4, vcc
	v_addc_co_u32_e64 v11, s[0:1], 0, v6, s[0:1]
	v_cmp_le_u32_e32 vcc, s39, v4
	v_add_co_u32_e64 v12, s[0:1], 1, v5
	v_cndmask_b32_e64 v9, 0, -1, vcc
	v_cmp_le_u32_e32 vcc, s38, v3
	v_addc_co_u32_e64 v13, s[0:1], 0, v6, s[0:1]
	v_cndmask_b32_e64 v3, 0, -1, vcc
	v_cmp_eq_u32_e32 vcc, s39, v4
	v_cmp_ne_u32_e64 s[0:1], 0, v8
	v_cndmask_b32_e32 v3, v9, v3, vcc
	v_cmp_ne_u32_e32 vcc, 0, v3
	v_cndmask_b32_e64 v4, v12, v10, s[0:1]
	v_cndmask_b32_e64 v8, v13, v11, s[0:1]
	v_cndmask_b32_e32 v4, v5, v4, vcc
	v_xor_b32_e32 v5, s36, v7
	v_cndmask_b32_e32 v3, v6, v8, vcc
	v_xor_b32_e32 v4, v4, v5
	v_xor_b32_e32 v3, v3, v5
	v_sub_co_u32_e32 v6, vcc, v4, v5
	v_subb_co_u32_e32 v7, vcc, v3, v5, vcc
.LBB78_5:                               ;   in Loop: Header=BB78_3 Depth=1
	s_andn2_saveexec_b64 s[0:1], s[2:3]
	s_cbranch_execz .LBB78_7
; %bb.6:                                ;   in Loop: Header=BB78_3 Depth=1
	v_cvt_f32_u32_e32 v3, s6
	s_sub_i32 s2, 0, s6
	v_mov_b32_e32 v7, v2
	v_rcp_iflag_f32_e32 v3, v3
	v_mul_f32_e32 v3, 0x4f7ffffe, v3
	v_cvt_u32_f32_e32 v3, v3
	v_mul_lo_u32 v4, s2, v3
	v_mul_hi_u32 v4, v3, v4
	v_add_u32_e32 v3, v3, v4
	v_mul_hi_u32 v3, v0, v3
	v_mul_lo_u32 v4, v3, s6
	v_add_u32_e32 v5, 1, v3
	v_sub_u32_e32 v4, v0, v4
	v_subrev_u32_e32 v6, s6, v4
	v_cmp_le_u32_e32 vcc, s6, v4
	v_cndmask_b32_e32 v4, v4, v6, vcc
	v_cndmask_b32_e32 v3, v3, v5, vcc
	v_add_u32_e32 v5, 1, v3
	v_cmp_le_u32_e32 vcc, s6, v4
	v_cndmask_b32_e32 v6, v3, v5, vcc
.LBB78_7:                               ;   in Loop: Header=BB78_3 Depth=1
	s_or_b64 exec, exec, s[0:1]
	s_waitcnt lgkmcnt(0)
	v_or_b32_e32 v3, s17, v7
	v_cmp_ne_u64_e32 vcc, 0, v[2:3]
                                        ; implicit-def: $vgpr8_vgpr9
	s_and_saveexec_b64 s[0:1], vcc
	s_xor_b64 s[2:3], exec, s[0:1]
	s_cbranch_execz .LBB78_9
; %bb.8:                                ;   in Loop: Header=BB78_3 Depth=1
	s_ashr_i32 s36, s17, 31
	s_add_u32 s0, s16, s36
	s_mov_b32 s37, s36
	s_addc_u32 s1, s17, s36
	s_xor_b64 s[38:39], s[0:1], s[36:37]
	v_cvt_f32_u32_e32 v3, s38
	v_cvt_f32_u32_e32 v4, s39
	s_sub_u32 s37, 0, s38
	s_subb_u32 s40, 0, s39
	v_ashrrev_i32_e32 v5, 31, v7
	v_mac_f32_e32 v3, 0x4f800000, v4
	v_rcp_f32_e32 v3, v3
	v_mul_f32_e32 v3, 0x5f7ffffc, v3
	v_mul_f32_e32 v4, 0x2f800000, v3
	v_trunc_f32_e32 v4, v4
	v_mac_f32_e32 v3, 0xcf800000, v4
	v_cvt_u32_f32_e32 v4, v4
	v_cvt_u32_f32_e32 v3, v3
	v_readfirstlane_b32 s41, v4
	v_readfirstlane_b32 s0, v3
	s_mul_i32 s1, s37, s41
	s_mul_hi_u32 s43, s37, s0
	s_mul_i32 s42, s40, s0
	s_add_i32 s1, s43, s1
	s_add_i32 s1, s1, s42
	s_mul_i32 s44, s37, s0
	s_mul_i32 s43, s0, s1
	s_mul_hi_u32 s45, s0, s44
	s_mul_hi_u32 s42, s0, s1
	s_add_u32 s43, s45, s43
	s_addc_u32 s42, 0, s42
	s_mul_hi_u32 s46, s41, s44
	s_mul_i32 s44, s41, s44
	s_add_u32 s43, s43, s44
	s_mul_hi_u32 s45, s41, s1
	s_addc_u32 s42, s42, s46
	s_addc_u32 s43, s45, 0
	s_mul_i32 s1, s41, s1
	s_add_u32 s1, s42, s1
	s_addc_u32 s42, 0, s43
	s_add_u32 s43, s0, s1
	s_cselect_b64 s[0:1], -1, 0
	s_cmp_lg_u64 s[0:1], 0
	s_addc_u32 s41, s41, s42
	s_mul_i32 s0, s37, s41
	s_mul_hi_u32 s1, s37, s43
	s_add_i32 s0, s1, s0
	s_mul_i32 s40, s40, s43
	s_add_i32 s0, s0, s40
	s_mul_i32 s37, s37, s43
	s_mul_hi_u32 s40, s41, s37
	s_mul_i32 s42, s41, s37
	s_mul_i32 s45, s43, s0
	s_mul_hi_u32 s37, s43, s37
	s_mul_hi_u32 s44, s43, s0
	s_add_u32 s37, s37, s45
	s_addc_u32 s44, 0, s44
	s_add_u32 s37, s37, s42
	s_mul_hi_u32 s1, s41, s0
	s_addc_u32 s37, s44, s40
	s_addc_u32 s1, s1, 0
	s_mul_i32 s0, s41, s0
	s_add_u32 s0, s37, s0
	s_addc_u32 s37, 0, s1
	s_add_u32 s40, s43, s0
	s_cselect_b64 s[0:1], -1, 0
	s_cmp_lg_u64 s[0:1], 0
	v_add_co_u32_e32 v3, vcc, v6, v5
	s_addc_u32 s37, s41, s37
	v_xor_b32_e32 v10, v3, v5
	v_mad_u64_u32 v[3:4], s[0:1], v10, s37, 0
	v_mul_hi_u32 v9, v10, s40
	v_addc_co_u32_e32 v8, vcc, v7, v5, vcc
	v_xor_b32_e32 v11, v8, v5
	v_add_co_u32_e32 v12, vcc, v9, v3
	v_addc_co_u32_e32 v13, vcc, 0, v4, vcc
	v_mad_u64_u32 v[3:4], s[0:1], v11, s40, 0
	v_mad_u64_u32 v[8:9], s[0:1], v11, s37, 0
	v_add_co_u32_e32 v3, vcc, v12, v3
	v_addc_co_u32_e32 v3, vcc, v13, v4, vcc
	v_addc_co_u32_e32 v4, vcc, 0, v9, vcc
	v_add_co_u32_e32 v8, vcc, v3, v8
	v_addc_co_u32_e32 v9, vcc, 0, v4, vcc
	v_mul_lo_u32 v12, s39, v8
	v_mul_lo_u32 v13, s38, v9
	v_mad_u64_u32 v[3:4], s[0:1], s38, v8, 0
	v_xor_b32_e32 v5, s36, v5
	v_add3_u32 v4, v4, v13, v12
	v_sub_u32_e32 v12, v11, v4
	v_mov_b32_e32 v13, s39
	v_sub_co_u32_e32 v3, vcc, v10, v3
	v_subb_co_u32_e64 v10, s[0:1], v12, v13, vcc
	v_subrev_co_u32_e64 v12, s[0:1], s38, v3
	v_subbrev_co_u32_e64 v10, s[0:1], 0, v10, s[0:1]
	v_cmp_le_u32_e64 s[0:1], s39, v10
	v_cndmask_b32_e64 v13, 0, -1, s[0:1]
	v_cmp_le_u32_e64 s[0:1], s38, v12
	v_cndmask_b32_e64 v12, 0, -1, s[0:1]
	v_cmp_eq_u32_e64 s[0:1], s39, v10
	v_cndmask_b32_e64 v10, v13, v12, s[0:1]
	v_add_co_u32_e64 v12, s[0:1], 2, v8
	v_subb_co_u32_e32 v4, vcc, v11, v4, vcc
	v_addc_co_u32_e64 v13, s[0:1], 0, v9, s[0:1]
	v_cmp_le_u32_e32 vcc, s39, v4
	v_add_co_u32_e64 v14, s[0:1], 1, v8
	v_cndmask_b32_e64 v11, 0, -1, vcc
	v_cmp_le_u32_e32 vcc, s38, v3
	v_addc_co_u32_e64 v15, s[0:1], 0, v9, s[0:1]
	v_cndmask_b32_e64 v3, 0, -1, vcc
	v_cmp_eq_u32_e32 vcc, s39, v4
	v_cmp_ne_u32_e64 s[0:1], 0, v10
	v_cndmask_b32_e32 v3, v11, v3, vcc
	v_cmp_ne_u32_e32 vcc, 0, v3
	v_cndmask_b32_e64 v4, v14, v12, s[0:1]
	v_cndmask_b32_e64 v10, v15, v13, s[0:1]
	v_cndmask_b32_e32 v4, v8, v4, vcc
	v_cndmask_b32_e32 v3, v9, v10, vcc
	v_xor_b32_e32 v4, v4, v5
	v_xor_b32_e32 v3, v3, v5
	v_sub_co_u32_e32 v8, vcc, v4, v5
	v_subb_co_u32_e32 v9, vcc, v3, v5, vcc
.LBB78_9:                               ;   in Loop: Header=BB78_3 Depth=1
	s_andn2_saveexec_b64 s[0:1], s[2:3]
	s_cbranch_execz .LBB78_11
; %bb.10:                               ;   in Loop: Header=BB78_3 Depth=1
	v_cvt_f32_u32_e32 v3, s16
	s_sub_i32 s2, 0, s16
	v_mov_b32_e32 v9, v2
	v_rcp_iflag_f32_e32 v3, v3
	v_mul_f32_e32 v3, 0x4f7ffffe, v3
	v_cvt_u32_f32_e32 v3, v3
	v_mul_lo_u32 v4, s2, v3
	v_mul_hi_u32 v4, v3, v4
	v_add_u32_e32 v3, v3, v4
	v_mul_hi_u32 v3, v6, v3
	v_mul_lo_u32 v4, v3, s16
	v_add_u32_e32 v5, 1, v3
	v_sub_u32_e32 v4, v6, v4
	v_subrev_u32_e32 v8, s16, v4
	v_cmp_le_u32_e32 vcc, s16, v4
	v_cndmask_b32_e32 v4, v4, v8, vcc
	v_cndmask_b32_e32 v3, v3, v5, vcc
	v_add_u32_e32 v5, 1, v3
	v_cmp_le_u32_e32 vcc, s16, v4
	v_cndmask_b32_e32 v8, v3, v5, vcc
.LBB78_11:                              ;   in Loop: Header=BB78_3 Depth=1
	s_or_b64 exec, exec, s[0:1]
	v_mul_lo_u32 v5, v7, s6
	v_mul_lo_u32 v10, v6, s7
	v_mad_u64_u32 v[3:4], s[0:1], v6, s6, 0
	v_mul_lo_u32 v12, v9, s16
	v_mul_lo_u32 v13, v8, s17
	v_add3_u32 v5, v4, v10, v5
	v_mad_u64_u32 v[10:11], s[0:1], v8, s16, 0
	v_sub_co_u32_e32 v4, vcc, v0, v3
	v_subb_co_u32_e32 v5, vcc, v1, v5, vcc
	v_add3_u32 v3, v11, v13, v12
	v_sub_co_u32_e32 v18, vcc, v6, v10
	v_subb_co_u32_e32 v19, vcc, v7, v3, vcc
	v_sub_co_u32_e32 v6, vcc, v4, v18
	v_subb_co_u32_e32 v7, vcc, v5, v19, vcc
	v_cmp_gt_i64_e32 vcc, s[8:9], v[6:7]
	s_and_saveexec_b64 s[36:37], vcc
	s_cbranch_execz .LBB78_2
; %bb.12:                               ;   in Loop: Header=BB78_3 Depth=1
	s_load_dwordx4 s[0:3], s[18:19], 0xc0
	s_andn2_b64 vcc, exec, s[14:15]
	s_waitcnt lgkmcnt(0)
	v_mul_lo_u32 v3, s3, v4
	v_mul_lo_u32 v10, s2, v5
	v_mad_u64_u32 v[6:7], s[38:39], s2, v4, 0
	v_mul_lo_u32 v11, s0, v19
	v_add3_u32 v7, v7, v10, v3
	v_mad_u64_u32 v[6:7], s[38:39], s0, v18, v[6:7]
	v_mul_lo_u32 v3, s1, v18
	v_add3_u32 v7, v3, v7, v11
	s_cbranch_vccnz .LBB78_38
; %bb.13:                               ;   in Loop: Header=BB78_3 Depth=1
	s_andn2_b64 vcc, exec, s[26:27]
	s_mov_b64 s[38:39], s[24:25]
	s_mov_b64 s[40:41], s[34:35]
	;; [unrolled: 1-line block ×4, first 2 shown]
	s_cbranch_vccz .LBB78_17
.LBB78_14:                              ;   in Loop: Header=BB78_3 Depth=1
	s_andn2_b64 vcc, exec, s[28:29]
	s_cbranch_vccnz .LBB78_38
; %bb.15:                               ;   in Loop: Header=BB78_3 Depth=1
	s_lshl_b64 s[0:1], s[42:43], 3
	s_add_u32 s38, s64, s0
	s_addc_u32 s39, s65, s1
	s_add_u32 s40, s66, s0
	s_addc_u32 s41, s67, s1
	;; [unrolled: 2-line block ×3, first 2 shown]
	s_branch .LBB78_22
.LBB78_16:                              ;   in Loop: Header=BB78_17 Depth=2
	s_or_b64 exec, exec, s[0:1]
	v_mul_lo_u32 v3, v11, s46
	v_mul_lo_u32 v14, v10, s47
	v_mad_u64_u32 v[12:13], s[0:1], v10, s46, 0
	s_load_dwordx2 s[0:1], s[44:45], 0x0
	s_add_u32 s42, s42, -1
	v_add3_u32 v3, v13, v14, v3
	v_sub_co_u32_e32 v8, vcc, v8, v12
	s_addc_u32 s43, s43, -1
	v_subb_co_u32_e32 v3, vcc, v9, v3, vcc
	s_add_u32 s44, s44, -8
	s_waitcnt lgkmcnt(0)
	v_mul_lo_u32 v3, s0, v3
	v_mul_lo_u32 v9, s1, v8
	v_mad_u64_u32 v[6:7], s[0:1], s0, v8, v[6:7]
	s_addc_u32 s45, s45, -1
	s_add_u32 s40, s40, -8
	s_addc_u32 s41, s41, -1
	s_add_u32 s38, s38, -1
	s_addc_u32 s39, s39, -1
	v_add3_u32 v7, v9, v7, v3
	v_mov_b32_e32 v8, v10
	s_cmp_lg_u64 s[38:39], 0
	v_mov_b32_e32 v9, v11
	s_cbranch_scc0 .LBB78_14
.LBB78_17:                              ;   Parent Loop BB78_3 Depth=1
                                        ; =>  This Inner Loop Header: Depth=2
	s_load_dwordx2 s[46:47], s[40:41], 0x0
                                        ; implicit-def: $vgpr10_vgpr11
	s_waitcnt lgkmcnt(0)
	v_or_b32_e32 v3, s47, v9
	v_cmp_ne_u64_e32 vcc, 0, v[2:3]
	s_and_saveexec_b64 s[0:1], vcc
	s_xor_b64 s[48:49], exec, s[0:1]
	s_cbranch_execz .LBB78_19
; %bb.18:                               ;   in Loop: Header=BB78_17 Depth=2
	s_ashr_i32 s50, s47, 31
	s_add_u32 s0, s46, s50
	s_mov_b32 s51, s50
	s_addc_u32 s1, s47, s50
	s_xor_b64 s[52:53], s[0:1], s[50:51]
	v_cvt_f32_u32_e32 v3, s52
	v_cvt_f32_u32_e32 v10, s53
	s_sub_u32 s51, 0, s52
	s_subb_u32 s54, 0, s53
	v_mac_f32_e32 v3, 0x4f800000, v10
	v_rcp_f32_e32 v3, v3
	v_mul_f32_e32 v3, 0x5f7ffffc, v3
	v_mul_f32_e32 v10, 0x2f800000, v3
	v_trunc_f32_e32 v10, v10
	v_mac_f32_e32 v3, 0xcf800000, v10
	v_cvt_u32_f32_e32 v10, v10
	v_cvt_u32_f32_e32 v3, v3
	v_readfirstlane_b32 s55, v10
	v_readfirstlane_b32 s0, v3
	s_mul_i32 s1, s51, s55
	s_mul_hi_u32 s57, s51, s0
	s_mul_i32 s56, s54, s0
	s_add_i32 s1, s57, s1
	s_add_i32 s1, s1, s56
	s_mul_i32 s58, s51, s0
	s_mul_i32 s57, s0, s1
	s_mul_hi_u32 s59, s0, s58
	s_mul_hi_u32 s56, s0, s1
	s_add_u32 s57, s59, s57
	s_addc_u32 s56, 0, s56
	s_mul_hi_u32 s60, s55, s58
	s_mul_i32 s58, s55, s58
	s_add_u32 s57, s57, s58
	s_mul_hi_u32 s59, s55, s1
	s_addc_u32 s56, s56, s60
	s_addc_u32 s57, s59, 0
	s_mul_i32 s1, s55, s1
	s_add_u32 s1, s56, s1
	s_addc_u32 s56, 0, s57
	s_add_u32 s57, s0, s1
	s_cselect_b64 s[0:1], -1, 0
	s_cmp_lg_u64 s[0:1], 0
	s_addc_u32 s55, s55, s56
	s_mul_i32 s0, s51, s55
	s_mul_hi_u32 s1, s51, s57
	s_add_i32 s0, s1, s0
	s_mul_i32 s54, s54, s57
	s_add_i32 s0, s0, s54
	s_mul_i32 s51, s51, s57
	s_mul_hi_u32 s54, s55, s51
	s_mul_i32 s56, s55, s51
	s_mul_i32 s59, s57, s0
	s_mul_hi_u32 s51, s57, s51
	s_mul_hi_u32 s58, s57, s0
	s_add_u32 s51, s51, s59
	s_addc_u32 s58, 0, s58
	s_add_u32 s51, s51, s56
	s_mul_hi_u32 s1, s55, s0
	s_addc_u32 s51, s58, s54
	s_addc_u32 s1, s1, 0
	s_mul_i32 s0, s55, s0
	s_add_u32 s0, s51, s0
	s_addc_u32 s51, 0, s1
	s_add_u32 s54, s57, s0
	s_cselect_b64 s[0:1], -1, 0
	v_ashrrev_i32_e32 v3, 31, v9
	s_cmp_lg_u64 s[0:1], 0
	v_add_co_u32_e32 v10, vcc, v8, v3
	s_addc_u32 s51, s55, s51
	v_xor_b32_e32 v14, v10, v3
	v_mad_u64_u32 v[10:11], s[0:1], v14, s51, 0
	v_mul_hi_u32 v13, v14, s54
	v_addc_co_u32_e32 v12, vcc, v9, v3, vcc
	v_xor_b32_e32 v15, v12, v3
	v_add_co_u32_e32 v16, vcc, v13, v10
	v_addc_co_u32_e32 v17, vcc, 0, v11, vcc
	v_mad_u64_u32 v[10:11], s[0:1], v15, s54, 0
	v_mad_u64_u32 v[12:13], s[0:1], v15, s51, 0
	v_add_co_u32_e32 v10, vcc, v16, v10
	v_addc_co_u32_e32 v10, vcc, v17, v11, vcc
	v_addc_co_u32_e32 v11, vcc, 0, v13, vcc
	v_add_co_u32_e32 v12, vcc, v10, v12
	v_addc_co_u32_e32 v13, vcc, 0, v11, vcc
	v_mul_lo_u32 v16, s53, v12
	v_mul_lo_u32 v17, s52, v13
	v_mad_u64_u32 v[10:11], s[0:1], s52, v12, 0
	v_xor_b32_e32 v3, s50, v3
	v_add3_u32 v11, v11, v17, v16
	v_sub_u32_e32 v16, v15, v11
	v_mov_b32_e32 v17, s53
	v_sub_co_u32_e32 v10, vcc, v14, v10
	v_subb_co_u32_e64 v14, s[0:1], v16, v17, vcc
	v_subrev_co_u32_e64 v16, s[0:1], s52, v10
	v_subbrev_co_u32_e64 v14, s[0:1], 0, v14, s[0:1]
	v_cmp_le_u32_e64 s[0:1], s53, v14
	v_cndmask_b32_e64 v17, 0, -1, s[0:1]
	v_cmp_le_u32_e64 s[0:1], s52, v16
	v_cndmask_b32_e64 v16, 0, -1, s[0:1]
	v_cmp_eq_u32_e64 s[0:1], s53, v14
	v_cndmask_b32_e64 v14, v17, v16, s[0:1]
	v_add_co_u32_e64 v16, s[0:1], 2, v12
	v_subb_co_u32_e32 v11, vcc, v15, v11, vcc
	v_addc_co_u32_e64 v17, s[0:1], 0, v13, s[0:1]
	v_cmp_le_u32_e32 vcc, s53, v11
	v_add_co_u32_e64 v20, s[0:1], 1, v12
	v_cndmask_b32_e64 v15, 0, -1, vcc
	v_cmp_le_u32_e32 vcc, s52, v10
	v_addc_co_u32_e64 v21, s[0:1], 0, v13, s[0:1]
	v_cndmask_b32_e64 v10, 0, -1, vcc
	v_cmp_eq_u32_e32 vcc, s53, v11
	v_cmp_ne_u32_e64 s[0:1], 0, v14
	v_cndmask_b32_e32 v10, v15, v10, vcc
	v_cndmask_b32_e64 v14, v21, v17, s[0:1]
	v_cmp_ne_u32_e32 vcc, 0, v10
	v_cndmask_b32_e64 v11, v20, v16, s[0:1]
	v_cndmask_b32_e32 v10, v13, v14, vcc
	v_cndmask_b32_e32 v11, v12, v11, vcc
	v_xor_b32_e32 v12, v10, v3
	v_xor_b32_e32 v10, v11, v3
	v_sub_co_u32_e32 v10, vcc, v10, v3
	v_subb_co_u32_e32 v11, vcc, v12, v3, vcc
.LBB78_19:                              ;   in Loop: Header=BB78_17 Depth=2
	s_andn2_saveexec_b64 s[0:1], s[48:49]
	s_cbranch_execz .LBB78_16
; %bb.20:                               ;   in Loop: Header=BB78_17 Depth=2
	v_cvt_f32_u32_e32 v3, s46
	s_sub_i32 s48, 0, s46
	v_rcp_iflag_f32_e32 v3, v3
	v_mul_f32_e32 v3, 0x4f7ffffe, v3
	v_cvt_u32_f32_e32 v3, v3
	v_mul_lo_u32 v10, s48, v3
	v_mul_hi_u32 v10, v3, v10
	v_add_u32_e32 v3, v3, v10
	v_mul_hi_u32 v3, v8, v3
	v_mul_lo_u32 v10, v3, s46
	v_add_u32_e32 v11, 1, v3
	v_sub_u32_e32 v10, v8, v10
	v_subrev_u32_e32 v12, s46, v10
	v_cmp_le_u32_e32 vcc, s46, v10
	v_cndmask_b32_e32 v10, v10, v12, vcc
	v_cndmask_b32_e32 v3, v3, v11, vcc
	v_add_u32_e32 v11, 1, v3
	v_cmp_le_u32_e32 vcc, s46, v10
	v_cndmask_b32_e32 v10, v3, v11, vcc
	v_mov_b32_e32 v11, v2
	s_branch .LBB78_16
.LBB78_21:                              ;   in Loop: Header=BB78_22 Depth=2
	s_or_b64 exec, exec, s[0:1]
	v_mul_lo_u32 v3, v11, s44
	v_mul_lo_u32 v22, v10, s45
	v_mad_u64_u32 v[20:21], s[0:1], v10, s44, 0
	v_add3_u32 v3, v21, v22, v3
	v_sub_co_u32_e32 v8, vcc, v8, v20
	v_subb_co_u32_e32 v3, vcc, v9, v3, vcc
	v_mul_lo_u32 v3, s48, v3
	v_mul_lo_u32 v20, s49, v8
	v_mad_u64_u32 v[6:7], s[0:1], s48, v8, v[6:7]
	v_mul_lo_u32 v21, v13, s46
	v_mul_lo_u32 v22, v12, s47
	v_mad_u64_u32 v[8:9], s[0:1], v12, s46, 0
	v_add3_u32 v7, v20, v7, v3
	v_mul_lo_u32 v20, v14, s51
	v_add3_u32 v3, v9, v22, v21
	v_sub_co_u32_e32 v8, vcc, v10, v8
	v_subb_co_u32_e32 v3, vcc, v11, v3, vcc
	v_mad_u64_u32 v[6:7], s[0:1], s52, v8, v[6:7]
	v_mul_lo_u32 v3, s52, v3
	v_mul_lo_u32 v10, s53, v8
	;; [unrolled: 1-line block ×3, first 2 shown]
	v_mad_u64_u32 v[8:9], s[0:1], v14, s50, 0
	v_add3_u32 v7, v10, v7, v3
	v_add3_u32 v3, v9, v20, v11
	v_sub_co_u32_e32 v8, vcc, v12, v8
	v_subb_co_u32_e32 v3, vcc, v13, v3, vcc
	v_mad_u64_u32 v[6:7], s[0:1], s56, v8, v[6:7]
	v_mul_lo_u32 v3, s56, v3
	v_mul_lo_u32 v10, s57, v8
	;; [unrolled: 1-line block ×4, first 2 shown]
	v_mad_u64_u32 v[8:9], s[0:1], v16, s54, 0
	s_load_dwordx2 s[0:1], s[38:39], 0x0
	v_add3_u32 v7, v10, v7, v3
	v_add3_u32 v3, v9, v12, v11
	v_sub_co_u32_e32 v8, vcc, v14, v8
	v_subb_co_u32_e32 v3, vcc, v15, v3, vcc
	s_add_u32 s38, s38, 0xffffffe0
	s_waitcnt lgkmcnt(0)
	v_mad_u64_u32 v[6:7], s[44:45], s0, v8, v[6:7]
	v_mul_lo_u32 v3, s0, v3
	v_mul_lo_u32 v8, s1, v8
	s_addc_u32 s39, s39, -1
	s_add_u32 s40, s40, 0xffffffe0
	s_addc_u32 s41, s41, -1
	s_add_u32 s42, s42, -4
	v_add3_u32 v7, v8, v7, v3
	s_addc_u32 s43, s43, -1
	v_mov_b32_e32 v8, v16
	s_cmp_eq_u64 s[42:43], 0
	v_mov_b32_e32 v9, v17
	s_cbranch_scc1 .LBB78_38
.LBB78_22:                              ;   Parent Loop BB78_3 Depth=1
                                        ; =>  This Inner Loop Header: Depth=2
	s_load_dwordx2 s[44:45], s[40:41], 0x18
                                        ; implicit-def: $vgpr10_vgpr11
	s_waitcnt lgkmcnt(0)
	v_or_b32_e32 v3, s45, v9
	v_cmp_ne_u64_e32 vcc, 0, v[2:3]
	s_and_saveexec_b64 s[0:1], vcc
	s_xor_b64 s[46:47], exec, s[0:1]
	s_cbranch_execz .LBB78_24
; %bb.23:                               ;   in Loop: Header=BB78_22 Depth=2
	s_ashr_i32 s48, s45, 31
	s_add_u32 s0, s44, s48
	s_mov_b32 s49, s48
	s_addc_u32 s1, s45, s48
	s_xor_b64 s[50:51], s[0:1], s[48:49]
	v_cvt_f32_u32_e32 v3, s50
	v_cvt_f32_u32_e32 v10, s51
	s_sub_u32 s49, 0, s50
	s_subb_u32 s52, 0, s51
	v_mac_f32_e32 v3, 0x4f800000, v10
	v_rcp_f32_e32 v3, v3
	v_mul_f32_e32 v3, 0x5f7ffffc, v3
	v_mul_f32_e32 v10, 0x2f800000, v3
	v_trunc_f32_e32 v10, v10
	v_mac_f32_e32 v3, 0xcf800000, v10
	v_cvt_u32_f32_e32 v10, v10
	v_cvt_u32_f32_e32 v3, v3
	v_readfirstlane_b32 s53, v10
	v_readfirstlane_b32 s0, v3
	s_mul_i32 s1, s49, s53
	s_mul_hi_u32 s55, s49, s0
	s_mul_i32 s54, s52, s0
	s_add_i32 s1, s55, s1
	s_add_i32 s1, s1, s54
	s_mul_i32 s56, s49, s0
	s_mul_i32 s55, s0, s1
	s_mul_hi_u32 s57, s0, s56
	s_mul_hi_u32 s54, s0, s1
	s_add_u32 s55, s57, s55
	s_addc_u32 s54, 0, s54
	s_mul_hi_u32 s58, s53, s56
	s_mul_i32 s56, s53, s56
	s_add_u32 s55, s55, s56
	s_mul_hi_u32 s57, s53, s1
	s_addc_u32 s54, s54, s58
	s_addc_u32 s55, s57, 0
	s_mul_i32 s1, s53, s1
	s_add_u32 s1, s54, s1
	s_addc_u32 s54, 0, s55
	s_add_u32 s55, s0, s1
	s_cselect_b64 s[0:1], -1, 0
	s_cmp_lg_u64 s[0:1], 0
	s_addc_u32 s53, s53, s54
	s_mul_i32 s0, s49, s53
	s_mul_hi_u32 s1, s49, s55
	s_add_i32 s0, s1, s0
	s_mul_i32 s52, s52, s55
	s_add_i32 s0, s0, s52
	s_mul_i32 s49, s49, s55
	s_mul_hi_u32 s52, s53, s49
	s_mul_i32 s54, s53, s49
	s_mul_i32 s57, s55, s0
	s_mul_hi_u32 s49, s55, s49
	s_mul_hi_u32 s56, s55, s0
	s_add_u32 s49, s49, s57
	s_addc_u32 s56, 0, s56
	s_add_u32 s49, s49, s54
	s_mul_hi_u32 s1, s53, s0
	s_addc_u32 s49, s56, s52
	s_addc_u32 s1, s1, 0
	s_mul_i32 s0, s53, s0
	s_add_u32 s0, s49, s0
	s_addc_u32 s49, 0, s1
	s_add_u32 s52, s55, s0
	s_cselect_b64 s[0:1], -1, 0
	v_ashrrev_i32_e32 v3, 31, v9
	s_cmp_lg_u64 s[0:1], 0
	v_add_co_u32_e32 v10, vcc, v8, v3
	s_addc_u32 s49, s53, s49
	v_xor_b32_e32 v14, v10, v3
	v_mad_u64_u32 v[10:11], s[0:1], v14, s49, 0
	v_mul_hi_u32 v13, v14, s52
	v_addc_co_u32_e32 v12, vcc, v9, v3, vcc
	v_xor_b32_e32 v15, v12, v3
	v_add_co_u32_e32 v16, vcc, v13, v10
	v_addc_co_u32_e32 v17, vcc, 0, v11, vcc
	v_mad_u64_u32 v[10:11], s[0:1], v15, s52, 0
	v_mad_u64_u32 v[12:13], s[0:1], v15, s49, 0
	v_add_co_u32_e32 v10, vcc, v16, v10
	v_addc_co_u32_e32 v10, vcc, v17, v11, vcc
	v_addc_co_u32_e32 v11, vcc, 0, v13, vcc
	v_add_co_u32_e32 v12, vcc, v10, v12
	v_addc_co_u32_e32 v13, vcc, 0, v11, vcc
	v_mul_lo_u32 v16, s51, v12
	v_mul_lo_u32 v17, s50, v13
	v_mad_u64_u32 v[10:11], s[0:1], s50, v12, 0
	v_xor_b32_e32 v3, s48, v3
	v_add3_u32 v11, v11, v17, v16
	v_sub_u32_e32 v16, v15, v11
	v_mov_b32_e32 v17, s51
	v_sub_co_u32_e32 v10, vcc, v14, v10
	v_subb_co_u32_e64 v14, s[0:1], v16, v17, vcc
	v_subrev_co_u32_e64 v16, s[0:1], s50, v10
	v_subbrev_co_u32_e64 v14, s[0:1], 0, v14, s[0:1]
	v_cmp_le_u32_e64 s[0:1], s51, v14
	v_cndmask_b32_e64 v17, 0, -1, s[0:1]
	v_cmp_le_u32_e64 s[0:1], s50, v16
	v_cndmask_b32_e64 v16, 0, -1, s[0:1]
	v_cmp_eq_u32_e64 s[0:1], s51, v14
	v_cndmask_b32_e64 v14, v17, v16, s[0:1]
	v_add_co_u32_e64 v16, s[0:1], 2, v12
	v_subb_co_u32_e32 v11, vcc, v15, v11, vcc
	v_addc_co_u32_e64 v17, s[0:1], 0, v13, s[0:1]
	v_cmp_le_u32_e32 vcc, s51, v11
	v_add_co_u32_e64 v20, s[0:1], 1, v12
	v_cndmask_b32_e64 v15, 0, -1, vcc
	v_cmp_le_u32_e32 vcc, s50, v10
	v_addc_co_u32_e64 v21, s[0:1], 0, v13, s[0:1]
	v_cndmask_b32_e64 v10, 0, -1, vcc
	v_cmp_eq_u32_e32 vcc, s51, v11
	v_cmp_ne_u32_e64 s[0:1], 0, v14
	v_cndmask_b32_e32 v10, v15, v10, vcc
	v_cndmask_b32_e64 v14, v21, v17, s[0:1]
	v_cmp_ne_u32_e32 vcc, 0, v10
	v_cndmask_b32_e64 v11, v20, v16, s[0:1]
	v_cndmask_b32_e32 v10, v13, v14, vcc
	v_cndmask_b32_e32 v11, v12, v11, vcc
	v_xor_b32_e32 v12, v10, v3
	v_xor_b32_e32 v10, v11, v3
	v_sub_co_u32_e32 v10, vcc, v10, v3
	v_subb_co_u32_e32 v11, vcc, v12, v3, vcc
.LBB78_24:                              ;   in Loop: Header=BB78_22 Depth=2
	s_andn2_saveexec_b64 s[0:1], s[46:47]
	s_cbranch_execz .LBB78_26
; %bb.25:                               ;   in Loop: Header=BB78_22 Depth=2
	v_cvt_f32_u32_e32 v3, s44
	s_sub_i32 s46, 0, s44
	v_rcp_iflag_f32_e32 v3, v3
	v_mul_f32_e32 v3, 0x4f7ffffe, v3
	v_cvt_u32_f32_e32 v3, v3
	v_mul_lo_u32 v10, s46, v3
	v_mul_hi_u32 v10, v3, v10
	v_add_u32_e32 v3, v3, v10
	v_mul_hi_u32 v3, v8, v3
	v_mul_lo_u32 v10, v3, s44
	v_add_u32_e32 v11, 1, v3
	v_sub_u32_e32 v10, v8, v10
	v_subrev_u32_e32 v12, s44, v10
	v_cmp_le_u32_e32 vcc, s44, v10
	v_cndmask_b32_e32 v10, v10, v12, vcc
	v_cndmask_b32_e32 v3, v3, v11, vcc
	v_add_u32_e32 v11, 1, v3
	v_cmp_le_u32_e32 vcc, s44, v10
	v_cndmask_b32_e32 v10, v3, v11, vcc
	v_mov_b32_e32 v11, v2
.LBB78_26:                              ;   in Loop: Header=BB78_22 Depth=2
	s_or_b64 exec, exec, s[0:1]
	s_load_dwordx2 s[46:47], s[40:41], 0x10
	s_load_dwordx2 s[48:49], s[38:39], 0x18
                                        ; implicit-def: $vgpr12_vgpr13
	s_waitcnt lgkmcnt(0)
	v_or_b32_e32 v3, s47, v11
	v_cmp_ne_u64_e32 vcc, 0, v[2:3]
	s_and_saveexec_b64 s[0:1], vcc
	s_xor_b64 s[50:51], exec, s[0:1]
	s_cbranch_execz .LBB78_28
; %bb.27:                               ;   in Loop: Header=BB78_22 Depth=2
	s_ashr_i32 s52, s47, 31
	s_add_u32 s0, s46, s52
	s_mov_b32 s53, s52
	s_addc_u32 s1, s47, s52
	s_xor_b64 s[54:55], s[0:1], s[52:53]
	v_cvt_f32_u32_e32 v3, s54
	v_cvt_f32_u32_e32 v12, s55
	s_sub_u32 s53, 0, s54
	s_subb_u32 s56, 0, s55
	v_mac_f32_e32 v3, 0x4f800000, v12
	v_rcp_f32_e32 v3, v3
	v_mul_f32_e32 v3, 0x5f7ffffc, v3
	v_mul_f32_e32 v12, 0x2f800000, v3
	v_trunc_f32_e32 v12, v12
	v_mac_f32_e32 v3, 0xcf800000, v12
	v_cvt_u32_f32_e32 v12, v12
	v_cvt_u32_f32_e32 v3, v3
	v_readfirstlane_b32 s57, v12
	v_readfirstlane_b32 s0, v3
	s_mul_i32 s1, s53, s57
	s_mul_hi_u32 s59, s53, s0
	s_mul_i32 s58, s56, s0
	s_add_i32 s1, s59, s1
	s_add_i32 s1, s1, s58
	s_mul_i32 s60, s53, s0
	s_mul_i32 s59, s0, s1
	s_mul_hi_u32 s61, s0, s60
	s_mul_hi_u32 s58, s0, s1
	s_add_u32 s59, s61, s59
	s_addc_u32 s58, 0, s58
	s_mul_hi_u32 s62, s57, s60
	s_mul_i32 s60, s57, s60
	s_add_u32 s59, s59, s60
	s_mul_hi_u32 s61, s57, s1
	s_addc_u32 s58, s58, s62
	s_addc_u32 s59, s61, 0
	s_mul_i32 s1, s57, s1
	s_add_u32 s1, s58, s1
	s_addc_u32 s58, 0, s59
	s_add_u32 s59, s0, s1
	s_cselect_b64 s[0:1], -1, 0
	s_cmp_lg_u64 s[0:1], 0
	s_addc_u32 s57, s57, s58
	s_mul_i32 s0, s53, s57
	s_mul_hi_u32 s1, s53, s59
	s_add_i32 s0, s1, s0
	s_mul_i32 s56, s56, s59
	s_add_i32 s0, s0, s56
	s_mul_i32 s53, s53, s59
	s_mul_hi_u32 s56, s57, s53
	s_mul_i32 s58, s57, s53
	s_mul_i32 s61, s59, s0
	s_mul_hi_u32 s53, s59, s53
	s_mul_hi_u32 s60, s59, s0
	s_add_u32 s53, s53, s61
	s_addc_u32 s60, 0, s60
	s_add_u32 s53, s53, s58
	s_mul_hi_u32 s1, s57, s0
	s_addc_u32 s53, s60, s56
	s_addc_u32 s1, s1, 0
	s_mul_i32 s0, s57, s0
	s_add_u32 s0, s53, s0
	s_addc_u32 s53, 0, s1
	s_add_u32 s56, s59, s0
	s_cselect_b64 s[0:1], -1, 0
	v_ashrrev_i32_e32 v3, 31, v11
	s_cmp_lg_u64 s[0:1], 0
	v_add_co_u32_e32 v12, vcc, v10, v3
	s_addc_u32 s53, s57, s53
	v_xor_b32_e32 v16, v12, v3
	v_mad_u64_u32 v[12:13], s[0:1], v16, s53, 0
	v_mul_hi_u32 v15, v16, s56
	v_addc_co_u32_e32 v14, vcc, v11, v3, vcc
	v_xor_b32_e32 v17, v14, v3
	v_add_co_u32_e32 v20, vcc, v15, v12
	v_addc_co_u32_e32 v21, vcc, 0, v13, vcc
	v_mad_u64_u32 v[12:13], s[0:1], v17, s56, 0
	v_mad_u64_u32 v[14:15], s[0:1], v17, s53, 0
	v_add_co_u32_e32 v12, vcc, v20, v12
	v_addc_co_u32_e32 v12, vcc, v21, v13, vcc
	v_addc_co_u32_e32 v13, vcc, 0, v15, vcc
	v_add_co_u32_e32 v14, vcc, v12, v14
	v_addc_co_u32_e32 v15, vcc, 0, v13, vcc
	v_mul_lo_u32 v20, s55, v14
	v_mul_lo_u32 v21, s54, v15
	v_mad_u64_u32 v[12:13], s[0:1], s54, v14, 0
	v_xor_b32_e32 v3, s52, v3
	v_add3_u32 v13, v13, v21, v20
	v_sub_u32_e32 v20, v17, v13
	v_mov_b32_e32 v21, s55
	v_sub_co_u32_e32 v12, vcc, v16, v12
	v_subb_co_u32_e64 v16, s[0:1], v20, v21, vcc
	v_subrev_co_u32_e64 v20, s[0:1], s54, v12
	v_subbrev_co_u32_e64 v16, s[0:1], 0, v16, s[0:1]
	v_cmp_le_u32_e64 s[0:1], s55, v16
	v_cndmask_b32_e64 v21, 0, -1, s[0:1]
	v_cmp_le_u32_e64 s[0:1], s54, v20
	v_cndmask_b32_e64 v20, 0, -1, s[0:1]
	v_cmp_eq_u32_e64 s[0:1], s55, v16
	v_cndmask_b32_e64 v16, v21, v20, s[0:1]
	v_add_co_u32_e64 v20, s[0:1], 2, v14
	v_subb_co_u32_e32 v13, vcc, v17, v13, vcc
	v_addc_co_u32_e64 v21, s[0:1], 0, v15, s[0:1]
	v_cmp_le_u32_e32 vcc, s55, v13
	v_add_co_u32_e64 v22, s[0:1], 1, v14
	v_cndmask_b32_e64 v17, 0, -1, vcc
	v_cmp_le_u32_e32 vcc, s54, v12
	v_addc_co_u32_e64 v23, s[0:1], 0, v15, s[0:1]
	v_cndmask_b32_e64 v12, 0, -1, vcc
	v_cmp_eq_u32_e32 vcc, s55, v13
	v_cmp_ne_u32_e64 s[0:1], 0, v16
	v_cndmask_b32_e32 v12, v17, v12, vcc
	v_cndmask_b32_e64 v16, v23, v21, s[0:1]
	v_cmp_ne_u32_e32 vcc, 0, v12
	v_cndmask_b32_e64 v13, v22, v20, s[0:1]
	v_cndmask_b32_e32 v12, v15, v16, vcc
	v_cndmask_b32_e32 v13, v14, v13, vcc
	v_xor_b32_e32 v14, v12, v3
	v_xor_b32_e32 v12, v13, v3
	v_sub_co_u32_e32 v12, vcc, v12, v3
	v_subb_co_u32_e32 v13, vcc, v14, v3, vcc
.LBB78_28:                              ;   in Loop: Header=BB78_22 Depth=2
	s_andn2_saveexec_b64 s[0:1], s[50:51]
	s_cbranch_execz .LBB78_30
; %bb.29:                               ;   in Loop: Header=BB78_22 Depth=2
	v_cvt_f32_u32_e32 v3, s46
	s_sub_i32 s50, 0, s46
	v_rcp_iflag_f32_e32 v3, v3
	v_mul_f32_e32 v3, 0x4f7ffffe, v3
	v_cvt_u32_f32_e32 v3, v3
	v_mul_lo_u32 v12, s50, v3
	v_mul_hi_u32 v12, v3, v12
	v_add_u32_e32 v3, v3, v12
	v_mul_hi_u32 v3, v10, v3
	v_mul_lo_u32 v12, v3, s46
	v_add_u32_e32 v13, 1, v3
	v_sub_u32_e32 v12, v10, v12
	v_subrev_u32_e32 v14, s46, v12
	v_cmp_le_u32_e32 vcc, s46, v12
	v_cndmask_b32_e32 v12, v12, v14, vcc
	v_cndmask_b32_e32 v3, v3, v13, vcc
	v_add_u32_e32 v13, 1, v3
	v_cmp_le_u32_e32 vcc, s46, v12
	v_cndmask_b32_e32 v12, v3, v13, vcc
	v_mov_b32_e32 v13, v2
.LBB78_30:                              ;   in Loop: Header=BB78_22 Depth=2
	s_or_b64 exec, exec, s[0:1]
	s_load_dwordx2 s[50:51], s[40:41], 0x8
	s_load_dwordx2 s[52:53], s[38:39], 0x10
                                        ; implicit-def: $vgpr14_vgpr15
	s_waitcnt lgkmcnt(0)
	v_or_b32_e32 v3, s51, v13
	v_cmp_ne_u64_e32 vcc, 0, v[2:3]
	s_and_saveexec_b64 s[0:1], vcc
	s_xor_b64 s[54:55], exec, s[0:1]
	s_cbranch_execz .LBB78_32
; %bb.31:                               ;   in Loop: Header=BB78_22 Depth=2
	s_ashr_i32 s56, s51, 31
	s_add_u32 s0, s50, s56
	s_mov_b32 s57, s56
	s_addc_u32 s1, s51, s56
	s_xor_b64 s[58:59], s[0:1], s[56:57]
	v_cvt_f32_u32_e32 v3, s58
	v_cvt_f32_u32_e32 v14, s59
	s_sub_u32 s57, 0, s58
	s_subb_u32 s60, 0, s59
	v_mac_f32_e32 v3, 0x4f800000, v14
	v_rcp_f32_e32 v3, v3
	v_mul_f32_e32 v3, 0x5f7ffffc, v3
	v_mul_f32_e32 v14, 0x2f800000, v3
	v_trunc_f32_e32 v14, v14
	v_mac_f32_e32 v3, 0xcf800000, v14
	v_cvt_u32_f32_e32 v14, v14
	v_cvt_u32_f32_e32 v3, v3
	v_readfirstlane_b32 s61, v14
	v_readfirstlane_b32 s0, v3
	s_mul_i32 s1, s57, s61
	s_mul_hi_u32 s63, s57, s0
	s_mul_i32 s62, s60, s0
	s_add_i32 s1, s63, s1
	s_add_i32 s1, s1, s62
	s_mul_i32 s68, s57, s0
	s_mul_i32 s63, s0, s1
	s_mul_hi_u32 s69, s0, s68
	s_mul_hi_u32 s62, s0, s1
	s_add_u32 s63, s69, s63
	s_addc_u32 s62, 0, s62
	s_mul_hi_u32 s70, s61, s68
	s_mul_i32 s68, s61, s68
	s_add_u32 s63, s63, s68
	s_mul_hi_u32 s69, s61, s1
	s_addc_u32 s62, s62, s70
	s_addc_u32 s63, s69, 0
	s_mul_i32 s1, s61, s1
	s_add_u32 s1, s62, s1
	s_addc_u32 s62, 0, s63
	s_add_u32 s63, s0, s1
	s_cselect_b64 s[0:1], -1, 0
	s_cmp_lg_u64 s[0:1], 0
	s_addc_u32 s61, s61, s62
	s_mul_i32 s0, s57, s61
	s_mul_hi_u32 s1, s57, s63
	s_add_i32 s0, s1, s0
	s_mul_i32 s60, s60, s63
	s_add_i32 s0, s0, s60
	s_mul_i32 s57, s57, s63
	s_mul_hi_u32 s60, s61, s57
	s_mul_i32 s62, s61, s57
	s_mul_i32 s69, s63, s0
	s_mul_hi_u32 s57, s63, s57
	s_mul_hi_u32 s68, s63, s0
	s_add_u32 s57, s57, s69
	s_addc_u32 s68, 0, s68
	s_add_u32 s57, s57, s62
	s_mul_hi_u32 s1, s61, s0
	s_addc_u32 s57, s68, s60
	s_addc_u32 s1, s1, 0
	s_mul_i32 s0, s61, s0
	s_add_u32 s0, s57, s0
	s_addc_u32 s57, 0, s1
	s_add_u32 s60, s63, s0
	s_cselect_b64 s[0:1], -1, 0
	v_ashrrev_i32_e32 v3, 31, v13
	s_cmp_lg_u64 s[0:1], 0
	v_add_co_u32_e32 v14, vcc, v12, v3
	s_addc_u32 s57, s61, s57
	v_xor_b32_e32 v20, v14, v3
	v_mad_u64_u32 v[14:15], s[0:1], v20, s57, 0
	v_mul_hi_u32 v17, v20, s60
	v_addc_co_u32_e32 v16, vcc, v13, v3, vcc
	v_xor_b32_e32 v21, v16, v3
	v_add_co_u32_e32 v22, vcc, v17, v14
	v_addc_co_u32_e32 v23, vcc, 0, v15, vcc
	v_mad_u64_u32 v[14:15], s[0:1], v21, s60, 0
	v_mad_u64_u32 v[16:17], s[0:1], v21, s57, 0
	v_add_co_u32_e32 v14, vcc, v22, v14
	v_addc_co_u32_e32 v14, vcc, v23, v15, vcc
	v_addc_co_u32_e32 v15, vcc, 0, v17, vcc
	v_add_co_u32_e32 v16, vcc, v14, v16
	v_addc_co_u32_e32 v17, vcc, 0, v15, vcc
	v_mul_lo_u32 v22, s59, v16
	v_mul_lo_u32 v23, s58, v17
	v_mad_u64_u32 v[14:15], s[0:1], s58, v16, 0
	v_xor_b32_e32 v3, s56, v3
	v_add3_u32 v15, v15, v23, v22
	v_sub_u32_e32 v22, v21, v15
	v_mov_b32_e32 v23, s59
	v_sub_co_u32_e32 v14, vcc, v20, v14
	v_subb_co_u32_e64 v20, s[0:1], v22, v23, vcc
	v_subrev_co_u32_e64 v22, s[0:1], s58, v14
	v_subbrev_co_u32_e64 v20, s[0:1], 0, v20, s[0:1]
	v_cmp_le_u32_e64 s[0:1], s59, v20
	v_cndmask_b32_e64 v23, 0, -1, s[0:1]
	v_cmp_le_u32_e64 s[0:1], s58, v22
	v_cndmask_b32_e64 v22, 0, -1, s[0:1]
	v_cmp_eq_u32_e64 s[0:1], s59, v20
	v_cndmask_b32_e64 v20, v23, v22, s[0:1]
	v_add_co_u32_e64 v22, s[0:1], 2, v16
	v_subb_co_u32_e32 v15, vcc, v21, v15, vcc
	v_addc_co_u32_e64 v23, s[0:1], 0, v17, s[0:1]
	v_cmp_le_u32_e32 vcc, s59, v15
	v_add_co_u32_e64 v24, s[0:1], 1, v16
	v_cndmask_b32_e64 v21, 0, -1, vcc
	v_cmp_le_u32_e32 vcc, s58, v14
	v_addc_co_u32_e64 v25, s[0:1], 0, v17, s[0:1]
	v_cndmask_b32_e64 v14, 0, -1, vcc
	v_cmp_eq_u32_e32 vcc, s59, v15
	v_cmp_ne_u32_e64 s[0:1], 0, v20
	v_cndmask_b32_e32 v14, v21, v14, vcc
	v_cndmask_b32_e64 v20, v25, v23, s[0:1]
	v_cmp_ne_u32_e32 vcc, 0, v14
	v_cndmask_b32_e64 v15, v24, v22, s[0:1]
	v_cndmask_b32_e32 v14, v17, v20, vcc
	v_cndmask_b32_e32 v15, v16, v15, vcc
	v_xor_b32_e32 v16, v14, v3
	v_xor_b32_e32 v14, v15, v3
	v_sub_co_u32_e32 v14, vcc, v14, v3
	v_subb_co_u32_e32 v15, vcc, v16, v3, vcc
.LBB78_32:                              ;   in Loop: Header=BB78_22 Depth=2
	s_andn2_saveexec_b64 s[0:1], s[54:55]
	s_cbranch_execz .LBB78_34
; %bb.33:                               ;   in Loop: Header=BB78_22 Depth=2
	v_cvt_f32_u32_e32 v3, s50
	s_sub_i32 s54, 0, s50
	v_rcp_iflag_f32_e32 v3, v3
	v_mul_f32_e32 v3, 0x4f7ffffe, v3
	v_cvt_u32_f32_e32 v3, v3
	v_mul_lo_u32 v14, s54, v3
	v_mul_hi_u32 v14, v3, v14
	v_add_u32_e32 v3, v3, v14
	v_mul_hi_u32 v3, v12, v3
	v_mul_lo_u32 v14, v3, s50
	v_add_u32_e32 v15, 1, v3
	v_sub_u32_e32 v14, v12, v14
	v_subrev_u32_e32 v16, s50, v14
	v_cmp_le_u32_e32 vcc, s50, v14
	v_cndmask_b32_e32 v14, v14, v16, vcc
	v_cndmask_b32_e32 v3, v3, v15, vcc
	v_add_u32_e32 v15, 1, v3
	v_cmp_le_u32_e32 vcc, s50, v14
	v_cndmask_b32_e32 v14, v3, v15, vcc
	v_mov_b32_e32 v15, v2
.LBB78_34:                              ;   in Loop: Header=BB78_22 Depth=2
	s_or_b64 exec, exec, s[0:1]
	s_load_dwordx2 s[54:55], s[40:41], 0x0
	s_load_dwordx2 s[56:57], s[38:39], 0x8
                                        ; implicit-def: $vgpr16_vgpr17
	s_waitcnt lgkmcnt(0)
	v_or_b32_e32 v3, s55, v15
	v_cmp_ne_u64_e32 vcc, 0, v[2:3]
	s_and_saveexec_b64 s[0:1], vcc
	s_xor_b64 s[58:59], exec, s[0:1]
	s_cbranch_execz .LBB78_36
; %bb.35:                               ;   in Loop: Header=BB78_22 Depth=2
	s_ashr_i32 s60, s55, 31
	s_add_u32 s0, s54, s60
	s_mov_b32 s61, s60
	s_addc_u32 s1, s55, s60
	s_xor_b64 s[62:63], s[0:1], s[60:61]
	v_cvt_f32_u32_e32 v3, s62
	v_cvt_f32_u32_e32 v16, s63
	s_sub_u32 s61, 0, s62
	s_subb_u32 s68, 0, s63
	v_mac_f32_e32 v3, 0x4f800000, v16
	v_rcp_f32_e32 v3, v3
	v_mul_f32_e32 v3, 0x5f7ffffc, v3
	v_mul_f32_e32 v16, 0x2f800000, v3
	v_trunc_f32_e32 v16, v16
	v_mac_f32_e32 v3, 0xcf800000, v16
	v_cvt_u32_f32_e32 v16, v16
	v_cvt_u32_f32_e32 v3, v3
	v_readfirstlane_b32 s69, v16
	v_readfirstlane_b32 s0, v3
	s_mul_i32 s1, s61, s69
	s_mul_hi_u32 s71, s61, s0
	s_mul_i32 s70, s68, s0
	s_add_i32 s1, s71, s1
	s_add_i32 s1, s1, s70
	s_mul_i32 s72, s61, s0
	s_mul_i32 s71, s0, s1
	s_mul_hi_u32 s73, s0, s72
	s_mul_hi_u32 s70, s0, s1
	s_add_u32 s71, s73, s71
	s_addc_u32 s70, 0, s70
	s_mul_hi_u32 s74, s69, s72
	s_mul_i32 s72, s69, s72
	s_add_u32 s71, s71, s72
	s_mul_hi_u32 s73, s69, s1
	s_addc_u32 s70, s70, s74
	s_addc_u32 s71, s73, 0
	s_mul_i32 s1, s69, s1
	s_add_u32 s1, s70, s1
	s_addc_u32 s70, 0, s71
	s_add_u32 s71, s0, s1
	s_cselect_b64 s[0:1], -1, 0
	s_cmp_lg_u64 s[0:1], 0
	s_addc_u32 s69, s69, s70
	s_mul_i32 s0, s61, s69
	s_mul_hi_u32 s1, s61, s71
	s_add_i32 s0, s1, s0
	s_mul_i32 s68, s68, s71
	s_add_i32 s0, s0, s68
	s_mul_i32 s61, s61, s71
	s_mul_hi_u32 s68, s69, s61
	s_mul_i32 s70, s69, s61
	s_mul_i32 s73, s71, s0
	s_mul_hi_u32 s61, s71, s61
	s_mul_hi_u32 s72, s71, s0
	s_add_u32 s61, s61, s73
	s_addc_u32 s72, 0, s72
	s_add_u32 s61, s61, s70
	s_mul_hi_u32 s1, s69, s0
	s_addc_u32 s61, s72, s68
	s_addc_u32 s1, s1, 0
	s_mul_i32 s0, s69, s0
	s_add_u32 s0, s61, s0
	s_addc_u32 s61, 0, s1
	s_add_u32 s68, s71, s0
	s_cselect_b64 s[0:1], -1, 0
	v_ashrrev_i32_e32 v3, 31, v15
	s_cmp_lg_u64 s[0:1], 0
	v_add_co_u32_e32 v16, vcc, v14, v3
	s_addc_u32 s61, s69, s61
	v_xor_b32_e32 v22, v16, v3
	v_mad_u64_u32 v[16:17], s[0:1], v22, s61, 0
	v_mul_hi_u32 v21, v22, s68
	v_addc_co_u32_e32 v20, vcc, v15, v3, vcc
	v_xor_b32_e32 v23, v20, v3
	v_add_co_u32_e32 v24, vcc, v21, v16
	v_addc_co_u32_e32 v25, vcc, 0, v17, vcc
	v_mad_u64_u32 v[16:17], s[0:1], v23, s68, 0
	v_mad_u64_u32 v[20:21], s[0:1], v23, s61, 0
	v_add_co_u32_e32 v16, vcc, v24, v16
	v_addc_co_u32_e32 v16, vcc, v25, v17, vcc
	v_addc_co_u32_e32 v17, vcc, 0, v21, vcc
	v_add_co_u32_e32 v20, vcc, v16, v20
	v_addc_co_u32_e32 v21, vcc, 0, v17, vcc
	v_mul_lo_u32 v24, s63, v20
	v_mul_lo_u32 v25, s62, v21
	v_mad_u64_u32 v[16:17], s[0:1], s62, v20, 0
	v_xor_b32_e32 v3, s60, v3
	v_add3_u32 v17, v17, v25, v24
	v_sub_u32_e32 v24, v23, v17
	v_mov_b32_e32 v25, s63
	v_sub_co_u32_e32 v16, vcc, v22, v16
	v_subb_co_u32_e64 v22, s[0:1], v24, v25, vcc
	v_subrev_co_u32_e64 v24, s[0:1], s62, v16
	v_subbrev_co_u32_e64 v22, s[0:1], 0, v22, s[0:1]
	v_cmp_le_u32_e64 s[0:1], s63, v22
	v_cndmask_b32_e64 v25, 0, -1, s[0:1]
	v_cmp_le_u32_e64 s[0:1], s62, v24
	v_cndmask_b32_e64 v24, 0, -1, s[0:1]
	v_cmp_eq_u32_e64 s[0:1], s63, v22
	v_cndmask_b32_e64 v22, v25, v24, s[0:1]
	v_add_co_u32_e64 v24, s[0:1], 2, v20
	v_subb_co_u32_e32 v17, vcc, v23, v17, vcc
	v_addc_co_u32_e64 v25, s[0:1], 0, v21, s[0:1]
	v_cmp_le_u32_e32 vcc, s63, v17
	v_add_co_u32_e64 v26, s[0:1], 1, v20
	v_cndmask_b32_e64 v23, 0, -1, vcc
	v_cmp_le_u32_e32 vcc, s62, v16
	v_addc_co_u32_e64 v27, s[0:1], 0, v21, s[0:1]
	v_cndmask_b32_e64 v16, 0, -1, vcc
	v_cmp_eq_u32_e32 vcc, s63, v17
	v_cmp_ne_u32_e64 s[0:1], 0, v22
	v_cndmask_b32_e32 v16, v23, v16, vcc
	v_cndmask_b32_e64 v22, v27, v25, s[0:1]
	v_cmp_ne_u32_e32 vcc, 0, v16
	v_cndmask_b32_e64 v17, v26, v24, s[0:1]
	v_cndmask_b32_e32 v16, v21, v22, vcc
	v_cndmask_b32_e32 v17, v20, v17, vcc
	v_xor_b32_e32 v20, v16, v3
	v_xor_b32_e32 v16, v17, v3
	v_sub_co_u32_e32 v16, vcc, v16, v3
	v_subb_co_u32_e32 v17, vcc, v20, v3, vcc
.LBB78_36:                              ;   in Loop: Header=BB78_22 Depth=2
	s_andn2_saveexec_b64 s[0:1], s[58:59]
	s_cbranch_execz .LBB78_21
; %bb.37:                               ;   in Loop: Header=BB78_22 Depth=2
	v_cvt_f32_u32_e32 v3, s54
	s_sub_i32 s58, 0, s54
	v_rcp_iflag_f32_e32 v3, v3
	v_mul_f32_e32 v3, 0x4f7ffffe, v3
	v_cvt_u32_f32_e32 v3, v3
	v_mul_lo_u32 v16, s58, v3
	v_mul_hi_u32 v16, v3, v16
	v_add_u32_e32 v3, v3, v16
	v_mul_hi_u32 v3, v14, v3
	v_mul_lo_u32 v16, v3, s54
	v_add_u32_e32 v17, 1, v3
	v_sub_u32_e32 v16, v14, v16
	v_subrev_u32_e32 v20, s54, v16
	v_cmp_le_u32_e32 vcc, s54, v16
	v_cndmask_b32_e32 v16, v16, v20, vcc
	v_cndmask_b32_e32 v3, v3, v17, vcc
	v_add_u32_e32 v17, 1, v3
	v_cmp_le_u32_e32 vcc, s54, v16
	v_cndmask_b32_e32 v16, v3, v17, vcc
	v_mov_b32_e32 v17, v2
	s_branch .LBB78_21
.LBB78_38:                              ;   in Loop: Header=BB78_3 Depth=1
	s_load_dwordx2 s[0:1], s[22:23], 0x0
	s_waitcnt lgkmcnt(0)
	v_cmp_gt_i64_e32 vcc, s[0:1], v[4:5]
	s_and_b64 exec, exec, vcc
	s_cbranch_execz .LBB78_2
; %bb.39:                               ;   in Loop: Header=BB78_3 Depth=1
	v_lshlrev_b64 v[6:7], 2, v[6:7]
	v_mov_b32_e32 v3, s13
	v_add_co_u32_e32 v6, vcc, s12, v6
	v_addc_co_u32_e32 v7, vcc, v3, v7, vcc
	v_add_co_u32_e32 v3, vcc, 1, v4
	v_addc_co_u32_e32 v4, vcc, 0, v5, vcc
	v_cmp_gt_i64_e32 vcc, s[0:1], v[3:4]
	v_sub_co_u32_e64 v3, s[0:1], v3, v18
	v_subb_co_u32_e64 v4, s[0:1], v4, v19, s[0:1]
	v_cmp_gt_i64_e64 s[0:1], s[8:9], v[3:4]
	global_store_dword v[6:7], v2, off
	s_and_b64 s[0:1], vcc, s[0:1]
	s_and_b64 exec, exec, s[0:1]
	s_cbranch_execz .LBB78_2
; %bb.40:                               ;   in Loop: Header=BB78_3 Depth=1
	s_lshl_b64 s[0:1], s[2:3], 2
	v_mov_b32_e32 v4, s1
	v_add_co_u32_e32 v3, vcc, s0, v6
	v_addc_co_u32_e32 v4, vcc, v7, v4, vcc
	global_store_dword v[3:4], v2, off
	s_branch .LBB78_2
.LBB78_41:
	s_endpgm
	.section	.rodata,"a",@progbits
	.p2align	6, 0x0
	.amdhsa_kernel _ZN2at6native16triu_tril_kernelIflLb1ELi2ELb1EEEvNS_4cuda6detail10TensorInfoIT_T0_EENS4_IKS5_S6_EEllS6_
		.amdhsa_group_segment_fixed_size 0
		.amdhsa_private_segment_fixed_size 0
		.amdhsa_kernarg_size 1112
		.amdhsa_user_sgpr_count 6
		.amdhsa_user_sgpr_private_segment_buffer 1
		.amdhsa_user_sgpr_dispatch_ptr 0
		.amdhsa_user_sgpr_queue_ptr 0
		.amdhsa_user_sgpr_kernarg_segment_ptr 1
		.amdhsa_user_sgpr_dispatch_id 0
		.amdhsa_user_sgpr_flat_scratch_init 0
		.amdhsa_user_sgpr_private_segment_size 0
		.amdhsa_uses_dynamic_stack 0
		.amdhsa_system_sgpr_private_segment_wavefront_offset 0
		.amdhsa_system_sgpr_workgroup_id_x 1
		.amdhsa_system_sgpr_workgroup_id_y 0
		.amdhsa_system_sgpr_workgroup_id_z 0
		.amdhsa_system_sgpr_workgroup_info 0
		.amdhsa_system_vgpr_workitem_id 0
		.amdhsa_next_free_vgpr 28
		.amdhsa_next_free_sgpr 75
		.amdhsa_reserve_vcc 1
		.amdhsa_reserve_flat_scratch 0
		.amdhsa_float_round_mode_32 0
		.amdhsa_float_round_mode_16_64 0
		.amdhsa_float_denorm_mode_32 3
		.amdhsa_float_denorm_mode_16_64 3
		.amdhsa_dx10_clamp 1
		.amdhsa_ieee_mode 1
		.amdhsa_fp16_overflow 0
		.amdhsa_exception_fp_ieee_invalid_op 0
		.amdhsa_exception_fp_denorm_src 0
		.amdhsa_exception_fp_ieee_div_zero 0
		.amdhsa_exception_fp_ieee_overflow 0
		.amdhsa_exception_fp_ieee_underflow 0
		.amdhsa_exception_fp_ieee_inexact 0
		.amdhsa_exception_int_div_zero 0
	.end_amdhsa_kernel
	.section	.text._ZN2at6native16triu_tril_kernelIflLb1ELi2ELb1EEEvNS_4cuda6detail10TensorInfoIT_T0_EENS4_IKS5_S6_EEllS6_,"axG",@progbits,_ZN2at6native16triu_tril_kernelIflLb1ELi2ELb1EEEvNS_4cuda6detail10TensorInfoIT_T0_EENS4_IKS5_S6_EEllS6_,comdat
.Lfunc_end78:
	.size	_ZN2at6native16triu_tril_kernelIflLb1ELi2ELb1EEEvNS_4cuda6detail10TensorInfoIT_T0_EENS4_IKS5_S6_EEllS6_, .Lfunc_end78-_ZN2at6native16triu_tril_kernelIflLb1ELi2ELb1EEEvNS_4cuda6detail10TensorInfoIT_T0_EENS4_IKS5_S6_EEllS6_
                                        ; -- End function
	.set _ZN2at6native16triu_tril_kernelIflLb1ELi2ELb1EEEvNS_4cuda6detail10TensorInfoIT_T0_EENS4_IKS5_S6_EEllS6_.num_vgpr, 28
	.set _ZN2at6native16triu_tril_kernelIflLb1ELi2ELb1EEEvNS_4cuda6detail10TensorInfoIT_T0_EENS4_IKS5_S6_EEllS6_.num_agpr, 0
	.set _ZN2at6native16triu_tril_kernelIflLb1ELi2ELb1EEEvNS_4cuda6detail10TensorInfoIT_T0_EENS4_IKS5_S6_EEllS6_.numbered_sgpr, 75
	.set _ZN2at6native16triu_tril_kernelIflLb1ELi2ELb1EEEvNS_4cuda6detail10TensorInfoIT_T0_EENS4_IKS5_S6_EEllS6_.num_named_barrier, 0
	.set _ZN2at6native16triu_tril_kernelIflLb1ELi2ELb1EEEvNS_4cuda6detail10TensorInfoIT_T0_EENS4_IKS5_S6_EEllS6_.private_seg_size, 0
	.set _ZN2at6native16triu_tril_kernelIflLb1ELi2ELb1EEEvNS_4cuda6detail10TensorInfoIT_T0_EENS4_IKS5_S6_EEllS6_.uses_vcc, 1
	.set _ZN2at6native16triu_tril_kernelIflLb1ELi2ELb1EEEvNS_4cuda6detail10TensorInfoIT_T0_EENS4_IKS5_S6_EEllS6_.uses_flat_scratch, 0
	.set _ZN2at6native16triu_tril_kernelIflLb1ELi2ELb1EEEvNS_4cuda6detail10TensorInfoIT_T0_EENS4_IKS5_S6_EEllS6_.has_dyn_sized_stack, 0
	.set _ZN2at6native16triu_tril_kernelIflLb1ELi2ELb1EEEvNS_4cuda6detail10TensorInfoIT_T0_EENS4_IKS5_S6_EEllS6_.has_recursion, 0
	.set _ZN2at6native16triu_tril_kernelIflLb1ELi2ELb1EEEvNS_4cuda6detail10TensorInfoIT_T0_EENS4_IKS5_S6_EEllS6_.has_indirect_call, 0
	.section	.AMDGPU.csdata,"",@progbits
; Kernel info:
; codeLenInByte = 6440
; TotalNumSgprs: 79
; NumVgprs: 28
; ScratchSize: 0
; MemoryBound: 0
; FloatMode: 240
; IeeeMode: 1
; LDSByteSize: 0 bytes/workgroup (compile time only)
; SGPRBlocks: 9
; VGPRBlocks: 6
; NumSGPRsForWavesPerEU: 79
; NumVGPRsForWavesPerEU: 28
; Occupancy: 9
; WaveLimiterHint : 0
; COMPUTE_PGM_RSRC2:SCRATCH_EN: 0
; COMPUTE_PGM_RSRC2:USER_SGPR: 6
; COMPUTE_PGM_RSRC2:TRAP_HANDLER: 0
; COMPUTE_PGM_RSRC2:TGID_X_EN: 1
; COMPUTE_PGM_RSRC2:TGID_Y_EN: 0
; COMPUTE_PGM_RSRC2:TGID_Z_EN: 0
; COMPUTE_PGM_RSRC2:TIDIG_COMP_CNT: 0
	.section	.text._ZN2at6native16triu_tril_kernelIflLb1ELi2ELb0EEEvNS_4cuda6detail10TensorInfoIT_T0_EENS4_IKS5_S6_EEllS6_,"axG",@progbits,_ZN2at6native16triu_tril_kernelIflLb1ELi2ELb0EEEvNS_4cuda6detail10TensorInfoIT_T0_EENS4_IKS5_S6_EEllS6_,comdat
	.protected	_ZN2at6native16triu_tril_kernelIflLb1ELi2ELb0EEEvNS_4cuda6detail10TensorInfoIT_T0_EENS4_IKS5_S6_EEllS6_ ; -- Begin function _ZN2at6native16triu_tril_kernelIflLb1ELi2ELb0EEEvNS_4cuda6detail10TensorInfoIT_T0_EENS4_IKS5_S6_EEllS6_
	.globl	_ZN2at6native16triu_tril_kernelIflLb1ELi2ELb0EEEvNS_4cuda6detail10TensorInfoIT_T0_EENS4_IKS5_S6_EEllS6_
	.p2align	8
	.type	_ZN2at6native16triu_tril_kernelIflLb1ELi2ELb0EEEvNS_4cuda6detail10TensorInfoIT_T0_EENS4_IKS5_S6_EEllS6_,@function
_ZN2at6native16triu_tril_kernelIflLb1ELi2ELb0EEEvNS_4cuda6detail10TensorInfoIT_T0_EENS4_IKS5_S6_EEllS6_: ; @_ZN2at6native16triu_tril_kernelIflLb1ELi2ELb0EEEvNS_4cuda6detail10TensorInfoIT_T0_EENS4_IKS5_S6_EEllS6_
; %bb.0:
	s_load_dword s2, s[4:5], 0x364
	s_load_dwordx4 s[8:11], s[4:5], 0x340
	s_add_u32 s0, s4, 0x358
	v_mov_b32_e32 v2, 0
	s_addc_u32 s1, s5, 0
	s_waitcnt lgkmcnt(0)
	s_and_b32 s7, s2, 0xffff
	v_mov_b32_e32 v1, v2
	v_mov_b32_e32 v3, s6
	v_mad_u64_u32 v[0:1], s[2:3], s7, v3, v[0:1]
	v_lshlrev_b64 v[0:1], 1, v[0:1]
	v_cmp_gt_i64_e32 vcc, s[10:11], v[0:1]
	s_and_saveexec_b64 s[2:3], vcc
	s_cbranch_execz .LBB79_38
; %bb.1:
	s_load_dword s6, s[0:1], 0x0
	s_load_dword s24, s[4:5], 0x338
	s_add_u32 s33, s4, 0x1a0
	s_addc_u32 s62, s5, 0
	s_load_dwordx2 s[2:3], s[4:5], 0x1a0
	s_waitcnt lgkmcnt(0)
	s_mul_i32 s30, s6, s7
	s_ashr_i32 s25, s24, 31
	s_lshl_b64 s[0:1], s[24:25], 3
	s_add_u32 s20, s33, s0
	s_addc_u32 s21, s62, s1
	s_add_u32 s22, s20, -8
	s_addc_u32 s23, s21, -1
	s_add_u32 s0, s4, s0
	v_cmp_gt_i64_e64 s[6:7], s[24:25], 2
	s_addc_u32 s1, s5, s1
	s_add_i32 s24, s24, -3
	s_ashr_i32 s25, s24, 31
	s_lshl_b32 s63, s30, 1
	s_bitcmp0_b32 s24, 0
	s_load_dwordx4 s[12:15], s[22:23], 0x0
	s_load_dwordx4 s[16:19], s[20:21], 0xc0
	s_cselect_b64 s[30:31], -1, 0
	s_load_dwordx4 s[20:23], s[0:1], 0xc0
	s_lshl_b64 s[0:1], s[24:25], 3
	s_add_u32 s34, s33, s0
	s_addc_u32 s35, s62, s1
	s_add_u32 s36, s4, s0
	s_addc_u32 s37, s5, s1
	s_load_dwordx2 s[26:27], s[4:5], 0x350
	s_load_dwordx2 s[28:29], s[4:5], 0x0
	s_add_u32 s38, s24, -1
	s_addc_u32 s39, s25, -1
	s_cmp_lg_u32 s24, 0
	s_cselect_b64 s[40:41], -1, 0
	s_add_u32 s64, s4, 0xc8
	s_addc_u32 s65, s5, 0
	s_mov_b64 s[4:5], 0
	s_branch .LBB79_3
.LBB79_2:                               ;   in Loop: Header=BB79_3 Depth=1
	s_or_b64 exec, exec, s[0:1]
	v_add_co_u32_e32 v0, vcc, s63, v0
	v_addc_co_u32_e32 v1, vcc, 0, v1, vcc
	v_cmp_le_i64_e32 vcc, s[10:11], v[0:1]
	s_or_b64 s[4:5], vcc, s[4:5]
	s_andn2_b64 exec, exec, s[4:5]
	s_cbranch_execz .LBB79_38
.LBB79_3:                               ; =>This Loop Header: Depth=1
                                        ;     Child Loop BB79_21 Depth 2
	s_waitcnt lgkmcnt(0)
	v_or_b32_e32 v3, s27, v1
	v_cmp_ne_u64_e32 vcc, 0, v[2:3]
                                        ; implicit-def: $vgpr6_vgpr7
	s_and_saveexec_b64 s[0:1], vcc
	s_xor_b64 s[42:43], exec, s[0:1]
	s_cbranch_execz .LBB79_5
; %bb.4:                                ;   in Loop: Header=BB79_3 Depth=1
	s_ashr_i32 s44, s27, 31
	s_add_u32 s0, s26, s44
	s_mov_b32 s45, s44
	s_addc_u32 s1, s27, s44
	s_xor_b64 s[46:47], s[0:1], s[44:45]
	v_cvt_f32_u32_e32 v3, s46
	v_cvt_f32_u32_e32 v4, s47
	s_sub_u32 s45, 0, s46
	s_subb_u32 s48, 0, s47
	v_ashrrev_i32_e32 v7, 31, v1
	v_mac_f32_e32 v3, 0x4f800000, v4
	v_rcp_f32_e32 v3, v3
	v_mul_f32_e32 v3, 0x5f7ffffc, v3
	v_mul_f32_e32 v4, 0x2f800000, v3
	v_trunc_f32_e32 v4, v4
	v_mac_f32_e32 v3, 0xcf800000, v4
	v_cvt_u32_f32_e32 v4, v4
	v_cvt_u32_f32_e32 v3, v3
	v_readfirstlane_b32 s49, v4
	v_readfirstlane_b32 s0, v3
	s_mul_i32 s1, s45, s49
	s_mul_hi_u32 s51, s45, s0
	s_mul_i32 s50, s48, s0
	s_add_i32 s1, s51, s1
	s_add_i32 s1, s1, s50
	s_mul_i32 s52, s45, s0
	s_mul_i32 s51, s0, s1
	s_mul_hi_u32 s53, s0, s52
	s_mul_hi_u32 s50, s0, s1
	s_add_u32 s51, s53, s51
	s_addc_u32 s50, 0, s50
	s_mul_hi_u32 s54, s49, s52
	s_mul_i32 s52, s49, s52
	s_add_u32 s51, s51, s52
	s_mul_hi_u32 s53, s49, s1
	s_addc_u32 s50, s50, s54
	s_addc_u32 s51, s53, 0
	s_mul_i32 s1, s49, s1
	s_add_u32 s1, s50, s1
	s_addc_u32 s50, 0, s51
	s_add_u32 s51, s0, s1
	s_cselect_b64 s[0:1], -1, 0
	s_cmp_lg_u64 s[0:1], 0
	s_addc_u32 s49, s49, s50
	s_mul_i32 s0, s45, s49
	s_mul_hi_u32 s1, s45, s51
	s_add_i32 s0, s1, s0
	s_mul_i32 s48, s48, s51
	s_add_i32 s0, s0, s48
	s_mul_i32 s45, s45, s51
	s_mul_hi_u32 s48, s49, s45
	s_mul_i32 s50, s49, s45
	s_mul_i32 s53, s51, s0
	s_mul_hi_u32 s45, s51, s45
	s_mul_hi_u32 s52, s51, s0
	s_add_u32 s45, s45, s53
	s_addc_u32 s52, 0, s52
	s_add_u32 s45, s45, s50
	s_mul_hi_u32 s1, s49, s0
	s_addc_u32 s45, s52, s48
	s_addc_u32 s1, s1, 0
	s_mul_i32 s0, s49, s0
	s_add_u32 s0, s45, s0
	s_addc_u32 s45, 0, s1
	s_add_u32 s48, s51, s0
	s_cselect_b64 s[0:1], -1, 0
	s_cmp_lg_u64 s[0:1], 0
	v_add_co_u32_e32 v3, vcc, v0, v7
	s_addc_u32 s45, s49, s45
	v_xor_b32_e32 v8, v3, v7
	v_mad_u64_u32 v[3:4], s[0:1], v8, s45, 0
	v_mul_hi_u32 v6, v8, s48
	v_addc_co_u32_e32 v5, vcc, v1, v7, vcc
	v_xor_b32_e32 v9, v5, v7
	v_add_co_u32_e32 v10, vcc, v6, v3
	v_addc_co_u32_e32 v11, vcc, 0, v4, vcc
	v_mad_u64_u32 v[3:4], s[0:1], v9, s48, 0
	v_mad_u64_u32 v[5:6], s[0:1], v9, s45, 0
	v_add_co_u32_e32 v3, vcc, v10, v3
	v_addc_co_u32_e32 v3, vcc, v11, v4, vcc
	v_addc_co_u32_e32 v4, vcc, 0, v6, vcc
	v_add_co_u32_e32 v5, vcc, v3, v5
	v_addc_co_u32_e32 v6, vcc, 0, v4, vcc
	v_mul_lo_u32 v10, s47, v5
	v_mul_lo_u32 v11, s46, v6
	v_mad_u64_u32 v[3:4], s[0:1], s46, v5, 0
	v_add3_u32 v4, v4, v11, v10
	v_sub_u32_e32 v10, v9, v4
	v_mov_b32_e32 v11, s47
	v_sub_co_u32_e32 v3, vcc, v8, v3
	v_subb_co_u32_e64 v8, s[0:1], v10, v11, vcc
	v_subrev_co_u32_e64 v10, s[0:1], s46, v3
	v_subbrev_co_u32_e64 v8, s[0:1], 0, v8, s[0:1]
	v_cmp_le_u32_e64 s[0:1], s47, v8
	v_cndmask_b32_e64 v11, 0, -1, s[0:1]
	v_cmp_le_u32_e64 s[0:1], s46, v10
	v_cndmask_b32_e64 v10, 0, -1, s[0:1]
	v_cmp_eq_u32_e64 s[0:1], s47, v8
	v_cndmask_b32_e64 v8, v11, v10, s[0:1]
	v_add_co_u32_e64 v10, s[0:1], 2, v5
	v_subb_co_u32_e32 v4, vcc, v9, v4, vcc
	v_addc_co_u32_e64 v11, s[0:1], 0, v6, s[0:1]
	v_cmp_le_u32_e32 vcc, s47, v4
	v_add_co_u32_e64 v12, s[0:1], 1, v5
	v_cndmask_b32_e64 v9, 0, -1, vcc
	v_cmp_le_u32_e32 vcc, s46, v3
	v_addc_co_u32_e64 v13, s[0:1], 0, v6, s[0:1]
	v_cndmask_b32_e64 v3, 0, -1, vcc
	v_cmp_eq_u32_e32 vcc, s47, v4
	v_cmp_ne_u32_e64 s[0:1], 0, v8
	v_cndmask_b32_e32 v3, v9, v3, vcc
	v_cmp_ne_u32_e32 vcc, 0, v3
	v_cndmask_b32_e64 v4, v12, v10, s[0:1]
	v_cndmask_b32_e64 v8, v13, v11, s[0:1]
	v_cndmask_b32_e32 v4, v5, v4, vcc
	v_xor_b32_e32 v5, s44, v7
	v_cndmask_b32_e32 v3, v6, v8, vcc
	v_xor_b32_e32 v4, v4, v5
	v_xor_b32_e32 v3, v3, v5
	v_sub_co_u32_e32 v6, vcc, v4, v5
	v_subb_co_u32_e32 v7, vcc, v3, v5, vcc
.LBB79_5:                               ;   in Loop: Header=BB79_3 Depth=1
	s_andn2_saveexec_b64 s[0:1], s[42:43]
	s_cbranch_execz .LBB79_7
; %bb.6:                                ;   in Loop: Header=BB79_3 Depth=1
	v_cvt_f32_u32_e32 v3, s26
	s_sub_i32 s42, 0, s26
	v_mov_b32_e32 v7, v2
	v_rcp_iflag_f32_e32 v3, v3
	v_mul_f32_e32 v3, 0x4f7ffffe, v3
	v_cvt_u32_f32_e32 v3, v3
	v_mul_lo_u32 v4, s42, v3
	v_mul_hi_u32 v4, v3, v4
	v_add_u32_e32 v3, v3, v4
	v_mul_hi_u32 v3, v0, v3
	v_mul_lo_u32 v4, v3, s26
	v_add_u32_e32 v5, 1, v3
	v_sub_u32_e32 v4, v0, v4
	v_subrev_u32_e32 v6, s26, v4
	v_cmp_le_u32_e32 vcc, s26, v4
	v_cndmask_b32_e32 v4, v4, v6, vcc
	v_cndmask_b32_e32 v3, v3, v5, vcc
	v_add_u32_e32 v5, 1, v3
	v_cmp_le_u32_e32 vcc, s26, v4
	v_cndmask_b32_e32 v6, v3, v5, vcc
.LBB79_7:                               ;   in Loop: Header=BB79_3 Depth=1
	s_or_b64 exec, exec, s[0:1]
	v_or_b32_e32 v3, s13, v7
	v_cmp_ne_u64_e32 vcc, 0, v[2:3]
                                        ; implicit-def: $vgpr10_vgpr11
	s_and_saveexec_b64 s[0:1], vcc
	s_xor_b64 s[42:43], exec, s[0:1]
	s_cbranch_execz .LBB79_9
; %bb.8:                                ;   in Loop: Header=BB79_3 Depth=1
	s_ashr_i32 s44, s13, 31
	s_add_u32 s0, s12, s44
	s_mov_b32 s45, s44
	s_addc_u32 s1, s13, s44
	s_xor_b64 s[46:47], s[0:1], s[44:45]
	v_cvt_f32_u32_e32 v3, s46
	v_cvt_f32_u32_e32 v4, s47
	s_sub_u32 s45, 0, s46
	s_subb_u32 s48, 0, s47
	v_ashrrev_i32_e32 v5, 31, v7
	v_mac_f32_e32 v3, 0x4f800000, v4
	v_rcp_f32_e32 v3, v3
	v_mul_f32_e32 v3, 0x5f7ffffc, v3
	v_mul_f32_e32 v4, 0x2f800000, v3
	v_trunc_f32_e32 v4, v4
	v_mac_f32_e32 v3, 0xcf800000, v4
	v_cvt_u32_f32_e32 v4, v4
	v_cvt_u32_f32_e32 v3, v3
	v_readfirstlane_b32 s49, v4
	v_readfirstlane_b32 s0, v3
	s_mul_i32 s1, s45, s49
	s_mul_hi_u32 s51, s45, s0
	s_mul_i32 s50, s48, s0
	s_add_i32 s1, s51, s1
	s_add_i32 s1, s1, s50
	s_mul_i32 s52, s45, s0
	s_mul_i32 s51, s0, s1
	s_mul_hi_u32 s53, s0, s52
	s_mul_hi_u32 s50, s0, s1
	s_add_u32 s51, s53, s51
	s_addc_u32 s50, 0, s50
	s_mul_hi_u32 s54, s49, s52
	s_mul_i32 s52, s49, s52
	s_add_u32 s51, s51, s52
	s_mul_hi_u32 s53, s49, s1
	s_addc_u32 s50, s50, s54
	s_addc_u32 s51, s53, 0
	s_mul_i32 s1, s49, s1
	s_add_u32 s1, s50, s1
	s_addc_u32 s50, 0, s51
	s_add_u32 s51, s0, s1
	s_cselect_b64 s[0:1], -1, 0
	s_cmp_lg_u64 s[0:1], 0
	s_addc_u32 s49, s49, s50
	s_mul_i32 s0, s45, s49
	s_mul_hi_u32 s1, s45, s51
	s_add_i32 s0, s1, s0
	s_mul_i32 s48, s48, s51
	s_add_i32 s0, s0, s48
	s_mul_i32 s45, s45, s51
	s_mul_hi_u32 s48, s49, s45
	s_mul_i32 s50, s49, s45
	s_mul_i32 s53, s51, s0
	s_mul_hi_u32 s45, s51, s45
	s_mul_hi_u32 s52, s51, s0
	s_add_u32 s45, s45, s53
	s_addc_u32 s52, 0, s52
	s_add_u32 s45, s45, s50
	s_mul_hi_u32 s1, s49, s0
	s_addc_u32 s45, s52, s48
	s_addc_u32 s1, s1, 0
	s_mul_i32 s0, s49, s0
	s_add_u32 s0, s45, s0
	s_addc_u32 s45, 0, s1
	s_add_u32 s48, s51, s0
	s_cselect_b64 s[0:1], -1, 0
	s_cmp_lg_u64 s[0:1], 0
	v_add_co_u32_e32 v3, vcc, v6, v5
	s_addc_u32 s45, s49, s45
	v_xor_b32_e32 v10, v3, v5
	v_mad_u64_u32 v[3:4], s[0:1], v10, s45, 0
	v_mul_hi_u32 v9, v10, s48
	v_addc_co_u32_e32 v8, vcc, v7, v5, vcc
	v_xor_b32_e32 v11, v8, v5
	v_add_co_u32_e32 v12, vcc, v9, v3
	v_addc_co_u32_e32 v13, vcc, 0, v4, vcc
	v_mad_u64_u32 v[3:4], s[0:1], v11, s48, 0
	v_mad_u64_u32 v[8:9], s[0:1], v11, s45, 0
	v_add_co_u32_e32 v3, vcc, v12, v3
	v_addc_co_u32_e32 v3, vcc, v13, v4, vcc
	v_addc_co_u32_e32 v4, vcc, 0, v9, vcc
	v_add_co_u32_e32 v8, vcc, v3, v8
	v_addc_co_u32_e32 v9, vcc, 0, v4, vcc
	v_mul_lo_u32 v12, s47, v8
	v_mul_lo_u32 v13, s46, v9
	v_mad_u64_u32 v[3:4], s[0:1], s46, v8, 0
	v_xor_b32_e32 v5, s44, v5
	v_add3_u32 v4, v4, v13, v12
	v_sub_u32_e32 v12, v11, v4
	v_mov_b32_e32 v13, s47
	v_sub_co_u32_e32 v3, vcc, v10, v3
	v_subb_co_u32_e64 v10, s[0:1], v12, v13, vcc
	v_subrev_co_u32_e64 v12, s[0:1], s46, v3
	v_subbrev_co_u32_e64 v10, s[0:1], 0, v10, s[0:1]
	v_cmp_le_u32_e64 s[0:1], s47, v10
	v_cndmask_b32_e64 v13, 0, -1, s[0:1]
	v_cmp_le_u32_e64 s[0:1], s46, v12
	v_cndmask_b32_e64 v12, 0, -1, s[0:1]
	v_cmp_eq_u32_e64 s[0:1], s47, v10
	v_cndmask_b32_e64 v10, v13, v12, s[0:1]
	v_add_co_u32_e64 v12, s[0:1], 2, v8
	v_subb_co_u32_e32 v4, vcc, v11, v4, vcc
	v_addc_co_u32_e64 v13, s[0:1], 0, v9, s[0:1]
	v_cmp_le_u32_e32 vcc, s47, v4
	v_add_co_u32_e64 v14, s[0:1], 1, v8
	v_cndmask_b32_e64 v11, 0, -1, vcc
	v_cmp_le_u32_e32 vcc, s46, v3
	v_addc_co_u32_e64 v15, s[0:1], 0, v9, s[0:1]
	v_cndmask_b32_e64 v3, 0, -1, vcc
	v_cmp_eq_u32_e32 vcc, s47, v4
	v_cmp_ne_u32_e64 s[0:1], 0, v10
	v_cndmask_b32_e32 v3, v11, v3, vcc
	v_cmp_ne_u32_e32 vcc, 0, v3
	v_cndmask_b32_e64 v4, v14, v12, s[0:1]
	v_cndmask_b32_e64 v10, v15, v13, s[0:1]
	v_cndmask_b32_e32 v4, v8, v4, vcc
	v_cndmask_b32_e32 v3, v9, v10, vcc
	v_xor_b32_e32 v4, v4, v5
	v_xor_b32_e32 v3, v3, v5
	v_sub_co_u32_e32 v10, vcc, v4, v5
	v_subb_co_u32_e32 v11, vcc, v3, v5, vcc
.LBB79_9:                               ;   in Loop: Header=BB79_3 Depth=1
	s_andn2_saveexec_b64 s[0:1], s[42:43]
	s_cbranch_execz .LBB79_11
; %bb.10:                               ;   in Loop: Header=BB79_3 Depth=1
	v_cvt_f32_u32_e32 v3, s12
	s_sub_i32 s42, 0, s12
	v_mov_b32_e32 v11, v2
	v_rcp_iflag_f32_e32 v3, v3
	v_mul_f32_e32 v3, 0x4f7ffffe, v3
	v_cvt_u32_f32_e32 v3, v3
	v_mul_lo_u32 v4, s42, v3
	v_mul_hi_u32 v4, v3, v4
	v_add_u32_e32 v3, v3, v4
	v_mul_hi_u32 v3, v6, v3
	v_mul_lo_u32 v4, v3, s12
	v_add_u32_e32 v5, 1, v3
	v_sub_u32_e32 v4, v6, v4
	v_subrev_u32_e32 v8, s12, v4
	v_cmp_le_u32_e32 vcc, s12, v4
	v_cndmask_b32_e32 v4, v4, v8, vcc
	v_cndmask_b32_e32 v3, v3, v5, vcc
	v_add_u32_e32 v5, 1, v3
	v_cmp_le_u32_e32 vcc, s12, v4
	v_cndmask_b32_e32 v10, v3, v5, vcc
.LBB79_11:                              ;   in Loop: Header=BB79_3 Depth=1
	s_or_b64 exec, exec, s[0:1]
	v_mul_lo_u32 v5, v7, s26
	v_mul_lo_u32 v8, v6, s27
	v_mad_u64_u32 v[3:4], s[0:1], v6, s26, 0
	v_mul_lo_u32 v12, v11, s12
	v_mul_lo_u32 v13, v10, s13
	v_add3_u32 v5, v4, v8, v5
	v_mad_u64_u32 v[8:9], s[0:1], v10, s12, 0
	v_sub_co_u32_e32 v4, vcc, v0, v3
	v_subb_co_u32_e32 v5, vcc, v1, v5, vcc
	v_add3_u32 v3, v9, v13, v12
	v_mul_lo_u32 v9, s19, v4
	v_mul_lo_u32 v14, s18, v5
	v_mad_u64_u32 v[12:13], s[0:1], s18, v4, 0
	v_sub_co_u32_e32 v16, vcc, v6, v8
	v_subb_co_u32_e32 v17, vcc, v7, v3, vcc
	v_add3_u32 v13, v13, v14, v9
	v_mul_lo_u32 v3, s23, v4
	v_mul_lo_u32 v14, s22, v5
	v_mad_u64_u32 v[6:7], s[0:1], s22, v4, 0
	v_mad_u64_u32 v[8:9], s[0:1], s16, v16, v[12:13]
	v_mul_lo_u32 v12, s16, v17
	v_mul_lo_u32 v13, s17, v16
	v_add3_u32 v7, v7, v14, v3
	v_mad_u64_u32 v[6:7], s[0:1], s20, v16, v[6:7]
	v_add3_u32 v9, v13, v9, v12
	v_mul_lo_u32 v3, s20, v17
	v_mul_lo_u32 v12, s21, v16
	s_andn2_b64 vcc, exec, s[6:7]
	v_add3_u32 v7, v12, v7, v3
	s_cbranch_vccnz .LBB79_29
; %bb.12:                               ;   in Loop: Header=BB79_3 Depth=1
	s_andn2_b64 vcc, exec, s[30:31]
	s_cbranch_vccnz .LBB79_18
; %bb.13:                               ;   in Loop: Header=BB79_3 Depth=1
	s_load_dwordx2 s[42:43], s[34:35], 0x8
                                        ; implicit-def: $vgpr12_vgpr13
	s_waitcnt lgkmcnt(0)
	v_or_b32_e32 v3, s43, v11
	v_cmp_ne_u64_e32 vcc, 0, v[2:3]
	s_and_saveexec_b64 s[0:1], vcc
	s_xor_b64 s[44:45], exec, s[0:1]
	s_cbranch_execz .LBB79_15
; %bb.14:                               ;   in Loop: Header=BB79_3 Depth=1
	s_ashr_i32 s46, s43, 31
	s_add_u32 s0, s42, s46
	s_mov_b32 s47, s46
	s_addc_u32 s1, s43, s46
	s_xor_b64 s[48:49], s[0:1], s[46:47]
	v_cvt_f32_u32_e32 v3, s48
	v_cvt_f32_u32_e32 v12, s49
	s_sub_u32 s47, 0, s48
	s_subb_u32 s50, 0, s49
	v_mac_f32_e32 v3, 0x4f800000, v12
	v_rcp_f32_e32 v3, v3
	v_mul_f32_e32 v3, 0x5f7ffffc, v3
	v_mul_f32_e32 v12, 0x2f800000, v3
	v_trunc_f32_e32 v12, v12
	v_mac_f32_e32 v3, 0xcf800000, v12
	v_cvt_u32_f32_e32 v12, v12
	v_cvt_u32_f32_e32 v3, v3
	v_readfirstlane_b32 s51, v12
	v_readfirstlane_b32 s0, v3
	s_mul_i32 s1, s47, s51
	s_mul_hi_u32 s53, s47, s0
	s_mul_i32 s52, s50, s0
	s_add_i32 s1, s53, s1
	s_add_i32 s1, s1, s52
	s_mul_i32 s54, s47, s0
	s_mul_i32 s53, s0, s1
	s_mul_hi_u32 s55, s0, s54
	s_mul_hi_u32 s52, s0, s1
	s_add_u32 s53, s55, s53
	s_addc_u32 s52, 0, s52
	s_mul_hi_u32 s56, s51, s54
	s_mul_i32 s54, s51, s54
	s_add_u32 s53, s53, s54
	s_mul_hi_u32 s55, s51, s1
	s_addc_u32 s52, s52, s56
	s_addc_u32 s53, s55, 0
	s_mul_i32 s1, s51, s1
	s_add_u32 s1, s52, s1
	s_addc_u32 s52, 0, s53
	s_add_u32 s53, s0, s1
	s_cselect_b64 s[0:1], -1, 0
	s_cmp_lg_u64 s[0:1], 0
	s_addc_u32 s51, s51, s52
	s_mul_i32 s0, s47, s51
	s_mul_hi_u32 s1, s47, s53
	s_add_i32 s0, s1, s0
	s_mul_i32 s50, s50, s53
	s_add_i32 s0, s0, s50
	s_mul_i32 s47, s47, s53
	s_mul_hi_u32 s50, s51, s47
	s_mul_i32 s52, s51, s47
	s_mul_i32 s55, s53, s0
	s_mul_hi_u32 s47, s53, s47
	s_mul_hi_u32 s54, s53, s0
	s_add_u32 s47, s47, s55
	s_addc_u32 s54, 0, s54
	s_add_u32 s47, s47, s52
	s_mul_hi_u32 s1, s51, s0
	s_addc_u32 s47, s54, s50
	s_addc_u32 s1, s1, 0
	s_mul_i32 s0, s51, s0
	s_add_u32 s0, s47, s0
	s_addc_u32 s47, 0, s1
	s_add_u32 s50, s53, s0
	s_cselect_b64 s[0:1], -1, 0
	v_ashrrev_i32_e32 v3, 31, v11
	s_cmp_lg_u64 s[0:1], 0
	v_add_co_u32_e32 v12, vcc, v10, v3
	s_addc_u32 s47, s51, s47
	v_xor_b32_e32 v18, v12, v3
	v_mad_u64_u32 v[12:13], s[0:1], v18, s47, 0
	v_mul_hi_u32 v15, v18, s50
	v_addc_co_u32_e32 v14, vcc, v11, v3, vcc
	v_xor_b32_e32 v19, v14, v3
	v_add_co_u32_e32 v20, vcc, v15, v12
	v_addc_co_u32_e32 v21, vcc, 0, v13, vcc
	v_mad_u64_u32 v[12:13], s[0:1], v19, s50, 0
	v_mad_u64_u32 v[14:15], s[0:1], v19, s47, 0
	v_add_co_u32_e32 v12, vcc, v20, v12
	v_addc_co_u32_e32 v12, vcc, v21, v13, vcc
	v_addc_co_u32_e32 v13, vcc, 0, v15, vcc
	v_add_co_u32_e32 v14, vcc, v12, v14
	v_addc_co_u32_e32 v15, vcc, 0, v13, vcc
	v_mul_lo_u32 v20, s49, v14
	v_mul_lo_u32 v21, s48, v15
	v_mad_u64_u32 v[12:13], s[0:1], s48, v14, 0
	v_xor_b32_e32 v3, s46, v3
	v_add3_u32 v13, v13, v21, v20
	v_sub_u32_e32 v20, v19, v13
	v_mov_b32_e32 v21, s49
	v_sub_co_u32_e32 v12, vcc, v18, v12
	v_subb_co_u32_e64 v18, s[0:1], v20, v21, vcc
	v_subrev_co_u32_e64 v20, s[0:1], s48, v12
	v_subbrev_co_u32_e64 v18, s[0:1], 0, v18, s[0:1]
	v_cmp_le_u32_e64 s[0:1], s49, v18
	v_cndmask_b32_e64 v21, 0, -1, s[0:1]
	v_cmp_le_u32_e64 s[0:1], s48, v20
	v_cndmask_b32_e64 v20, 0, -1, s[0:1]
	v_cmp_eq_u32_e64 s[0:1], s49, v18
	v_cndmask_b32_e64 v18, v21, v20, s[0:1]
	v_add_co_u32_e64 v20, s[0:1], 2, v14
	v_subb_co_u32_e32 v13, vcc, v19, v13, vcc
	v_addc_co_u32_e64 v21, s[0:1], 0, v15, s[0:1]
	v_cmp_le_u32_e32 vcc, s49, v13
	v_add_co_u32_e64 v22, s[0:1], 1, v14
	v_cndmask_b32_e64 v19, 0, -1, vcc
	v_cmp_le_u32_e32 vcc, s48, v12
	v_addc_co_u32_e64 v23, s[0:1], 0, v15, s[0:1]
	v_cndmask_b32_e64 v12, 0, -1, vcc
	v_cmp_eq_u32_e32 vcc, s49, v13
	v_cmp_ne_u32_e64 s[0:1], 0, v18
	v_cndmask_b32_e32 v12, v19, v12, vcc
	v_cndmask_b32_e64 v18, v23, v21, s[0:1]
	v_cmp_ne_u32_e32 vcc, 0, v12
	v_cndmask_b32_e64 v13, v22, v20, s[0:1]
	v_cndmask_b32_e32 v12, v15, v18, vcc
	v_cndmask_b32_e32 v13, v14, v13, vcc
	v_xor_b32_e32 v14, v12, v3
	v_xor_b32_e32 v12, v13, v3
	v_sub_co_u32_e32 v12, vcc, v12, v3
	v_subb_co_u32_e32 v13, vcc, v14, v3, vcc
.LBB79_15:                              ;   in Loop: Header=BB79_3 Depth=1
	s_andn2_saveexec_b64 s[0:1], s[44:45]
	s_cbranch_execz .LBB79_17
; %bb.16:                               ;   in Loop: Header=BB79_3 Depth=1
	v_cvt_f32_u32_e32 v3, s42
	s_sub_i32 s44, 0, s42
	v_rcp_iflag_f32_e32 v3, v3
	v_mul_f32_e32 v3, 0x4f7ffffe, v3
	v_cvt_u32_f32_e32 v3, v3
	v_mul_lo_u32 v12, s44, v3
	v_mul_hi_u32 v12, v3, v12
	v_add_u32_e32 v3, v3, v12
	v_mul_hi_u32 v3, v10, v3
	v_mul_lo_u32 v12, v3, s42
	v_add_u32_e32 v13, 1, v3
	v_sub_u32_e32 v12, v10, v12
	v_subrev_u32_e32 v14, s42, v12
	v_cmp_le_u32_e32 vcc, s42, v12
	v_cndmask_b32_e32 v12, v12, v14, vcc
	v_cndmask_b32_e32 v3, v3, v13, vcc
	v_add_u32_e32 v13, 1, v3
	v_cmp_le_u32_e32 vcc, s42, v12
	v_cndmask_b32_e32 v12, v3, v13, vcc
	v_mov_b32_e32 v13, v2
.LBB79_17:                              ;   in Loop: Header=BB79_3 Depth=1
	s_or_b64 exec, exec, s[0:1]
	v_mul_lo_u32 v3, v13, s42
	v_mul_lo_u32 v18, v12, s43
	v_mad_u64_u32 v[14:15], s[0:1], v12, s42, 0
	s_load_dwordx2 s[0:1], s[34:35], 0xd0
	s_load_dwordx2 s[42:43], s[36:37], 0xd0
	v_add3_u32 v3, v15, v18, v3
	v_sub_co_u32_e32 v10, vcc, v10, v14
	v_subb_co_u32_e32 v3, vcc, v11, v3, vcc
	s_waitcnt lgkmcnt(0)
	v_mul_lo_u32 v11, s0, v3
	v_mul_lo_u32 v14, s1, v10
	v_mad_u64_u32 v[8:9], s[0:1], s0, v10, v[8:9]
	v_mul_lo_u32 v3, s42, v3
	v_mul_lo_u32 v15, s43, v10
	v_mad_u64_u32 v[6:7], s[0:1], s42, v10, v[6:7]
	v_add3_u32 v9, v14, v9, v11
	v_mov_b32_e32 v10, v12
	v_add3_u32 v7, v15, v7, v3
	v_mov_b32_e32 v11, v13
	s_mov_b64 s[0:1], s[38:39]
	s_andn2_b64 vcc, exec, s[40:41]
	s_cbranch_vccz .LBB79_19
	s_branch .LBB79_29
.LBB79_18:                              ;   in Loop: Header=BB79_3 Depth=1
	s_mov_b64 s[0:1], s[24:25]
	s_andn2_b64 vcc, exec, s[40:41]
	s_cbranch_vccnz .LBB79_29
.LBB79_19:                              ;   in Loop: Header=BB79_3 Depth=1
	s_lshl_b64 s[44:45], s[0:1], 3
	s_add_u32 s42, s64, s44
	s_addc_u32 s43, s65, s45
	s_add_u32 s44, s33, s44
	s_addc_u32 s45, s62, s45
	;; [unrolled: 2-line block ×3, first 2 shown]
	s_branch .LBB79_21
.LBB79_20:                              ;   in Loop: Header=BB79_21 Depth=2
	s_or_b64 exec, exec, s[0:1]
	v_mul_lo_u32 v3, v13, s48
	v_mul_lo_u32 v20, v12, s49
	v_mad_u64_u32 v[18:19], s[0:1], v12, s48, 0
	v_mul_lo_u32 v21, v15, s50
	v_mul_lo_u32 v22, v14, s51
	v_add3_u32 v3, v19, v20, v3
	v_sub_co_u32_e32 v10, vcc, v10, v18
	v_subb_co_u32_e32 v3, vcc, v11, v3, vcc
	v_mul_lo_u32 v18, s54, v3
	v_mul_lo_u32 v19, s55, v10
	v_mad_u64_u32 v[8:9], s[0:1], s54, v10, v[8:9]
	v_mul_lo_u32 v3, s52, v3
	v_mul_lo_u32 v20, s53, v10
	v_mad_u64_u32 v[6:7], s[0:1], s52, v10, v[6:7]
	v_mad_u64_u32 v[10:11], s[0:1], v14, s50, 0
	s_load_dwordx2 s[0:1], s[44:45], 0xc8
	s_load_dwordx2 s[48:49], s[42:43], 0x0
	v_add3_u32 v7, v20, v7, v3
	v_add3_u32 v3, v11, v22, v21
	v_sub_co_u32_e32 v10, vcc, v12, v10
	v_add3_u32 v9, v19, v9, v18
	v_subb_co_u32_e32 v3, vcc, v13, v3, vcc
	s_add_u32 s42, s42, -16
	s_waitcnt lgkmcnt(0)
	v_mad_u64_u32 v[8:9], s[50:51], s0, v10, v[8:9]
	v_mul_lo_u32 v11, s0, v3
	v_mul_lo_u32 v12, s1, v10
	v_mad_u64_u32 v[6:7], s[0:1], s48, v10, v[6:7]
	v_mul_lo_u32 v3, s48, v3
	v_mul_lo_u32 v10, s49, v10
	s_addc_u32 s43, s43, -1
	s_add_u32 s44, s44, -16
	s_addc_u32 s45, s45, -1
	s_add_u32 s46, s46, -2
	v_add3_u32 v9, v12, v9, v11
	v_add3_u32 v7, v10, v7, v3
	s_addc_u32 s47, s47, -1
	v_mov_b32_e32 v10, v14
	s_cmp_eq_u64 s[46:47], 0
	v_mov_b32_e32 v11, v15
	s_cbranch_scc1 .LBB79_29
.LBB79_21:                              ;   Parent Loop BB79_3 Depth=1
                                        ; =>  This Inner Loop Header: Depth=2
	s_load_dwordx2 s[48:49], s[44:45], 0x8
                                        ; implicit-def: $vgpr12_vgpr13
	s_waitcnt lgkmcnt(0)
	v_or_b32_e32 v3, s49, v11
	v_cmp_ne_u64_e32 vcc, 0, v[2:3]
	s_and_saveexec_b64 s[0:1], vcc
	s_xor_b64 s[50:51], exec, s[0:1]
	s_cbranch_execz .LBB79_23
; %bb.22:                               ;   in Loop: Header=BB79_21 Depth=2
	s_ashr_i32 s52, s49, 31
	s_add_u32 s0, s48, s52
	s_mov_b32 s53, s52
	s_addc_u32 s1, s49, s52
	s_xor_b64 s[54:55], s[0:1], s[52:53]
	v_cvt_f32_u32_e32 v3, s54
	v_cvt_f32_u32_e32 v12, s55
	s_sub_u32 s53, 0, s54
	s_subb_u32 s56, 0, s55
	v_mac_f32_e32 v3, 0x4f800000, v12
	v_rcp_f32_e32 v3, v3
	v_mul_f32_e32 v3, 0x5f7ffffc, v3
	v_mul_f32_e32 v12, 0x2f800000, v3
	v_trunc_f32_e32 v12, v12
	v_mac_f32_e32 v3, 0xcf800000, v12
	v_cvt_u32_f32_e32 v12, v12
	v_cvt_u32_f32_e32 v3, v3
	v_readfirstlane_b32 s57, v12
	v_readfirstlane_b32 s0, v3
	s_mul_i32 s1, s53, s57
	s_mul_hi_u32 s59, s53, s0
	s_mul_i32 s58, s56, s0
	s_add_i32 s1, s59, s1
	s_add_i32 s1, s1, s58
	s_mul_i32 s60, s53, s0
	s_mul_i32 s59, s0, s1
	s_mul_hi_u32 s61, s0, s60
	s_mul_hi_u32 s58, s0, s1
	s_add_u32 s59, s61, s59
	s_addc_u32 s58, 0, s58
	s_mul_hi_u32 s66, s57, s60
	s_mul_i32 s60, s57, s60
	s_add_u32 s59, s59, s60
	s_mul_hi_u32 s61, s57, s1
	s_addc_u32 s58, s58, s66
	s_addc_u32 s59, s61, 0
	s_mul_i32 s1, s57, s1
	s_add_u32 s1, s58, s1
	s_addc_u32 s58, 0, s59
	s_add_u32 s59, s0, s1
	s_cselect_b64 s[0:1], -1, 0
	s_cmp_lg_u64 s[0:1], 0
	s_addc_u32 s57, s57, s58
	s_mul_i32 s0, s53, s57
	s_mul_hi_u32 s1, s53, s59
	s_add_i32 s0, s1, s0
	s_mul_i32 s56, s56, s59
	s_add_i32 s0, s0, s56
	s_mul_i32 s53, s53, s59
	s_mul_hi_u32 s56, s57, s53
	s_mul_i32 s58, s57, s53
	s_mul_i32 s61, s59, s0
	s_mul_hi_u32 s53, s59, s53
	s_mul_hi_u32 s60, s59, s0
	s_add_u32 s53, s53, s61
	s_addc_u32 s60, 0, s60
	s_add_u32 s53, s53, s58
	s_mul_hi_u32 s1, s57, s0
	s_addc_u32 s53, s60, s56
	s_addc_u32 s1, s1, 0
	s_mul_i32 s0, s57, s0
	s_add_u32 s0, s53, s0
	s_addc_u32 s53, 0, s1
	s_add_u32 s56, s59, s0
	s_cselect_b64 s[0:1], -1, 0
	v_ashrrev_i32_e32 v3, 31, v11
	s_cmp_lg_u64 s[0:1], 0
	v_add_co_u32_e32 v12, vcc, v10, v3
	s_addc_u32 s53, s57, s53
	v_xor_b32_e32 v18, v12, v3
	v_mad_u64_u32 v[12:13], s[0:1], v18, s53, 0
	v_mul_hi_u32 v15, v18, s56
	v_addc_co_u32_e32 v14, vcc, v11, v3, vcc
	v_xor_b32_e32 v19, v14, v3
	v_add_co_u32_e32 v20, vcc, v15, v12
	v_addc_co_u32_e32 v21, vcc, 0, v13, vcc
	v_mad_u64_u32 v[12:13], s[0:1], v19, s56, 0
	v_mad_u64_u32 v[14:15], s[0:1], v19, s53, 0
	v_add_co_u32_e32 v12, vcc, v20, v12
	v_addc_co_u32_e32 v12, vcc, v21, v13, vcc
	v_addc_co_u32_e32 v13, vcc, 0, v15, vcc
	v_add_co_u32_e32 v14, vcc, v12, v14
	v_addc_co_u32_e32 v15, vcc, 0, v13, vcc
	v_mul_lo_u32 v20, s55, v14
	v_mul_lo_u32 v21, s54, v15
	v_mad_u64_u32 v[12:13], s[0:1], s54, v14, 0
	v_xor_b32_e32 v3, s52, v3
	v_add3_u32 v13, v13, v21, v20
	v_sub_u32_e32 v20, v19, v13
	v_mov_b32_e32 v21, s55
	v_sub_co_u32_e32 v12, vcc, v18, v12
	v_subb_co_u32_e64 v18, s[0:1], v20, v21, vcc
	v_subrev_co_u32_e64 v20, s[0:1], s54, v12
	v_subbrev_co_u32_e64 v18, s[0:1], 0, v18, s[0:1]
	v_cmp_le_u32_e64 s[0:1], s55, v18
	v_cndmask_b32_e64 v21, 0, -1, s[0:1]
	v_cmp_le_u32_e64 s[0:1], s54, v20
	v_cndmask_b32_e64 v20, 0, -1, s[0:1]
	v_cmp_eq_u32_e64 s[0:1], s55, v18
	v_cndmask_b32_e64 v18, v21, v20, s[0:1]
	v_add_co_u32_e64 v20, s[0:1], 2, v14
	v_subb_co_u32_e32 v13, vcc, v19, v13, vcc
	v_addc_co_u32_e64 v21, s[0:1], 0, v15, s[0:1]
	v_cmp_le_u32_e32 vcc, s55, v13
	v_add_co_u32_e64 v22, s[0:1], 1, v14
	v_cndmask_b32_e64 v19, 0, -1, vcc
	v_cmp_le_u32_e32 vcc, s54, v12
	v_addc_co_u32_e64 v23, s[0:1], 0, v15, s[0:1]
	v_cndmask_b32_e64 v12, 0, -1, vcc
	v_cmp_eq_u32_e32 vcc, s55, v13
	v_cmp_ne_u32_e64 s[0:1], 0, v18
	v_cndmask_b32_e32 v12, v19, v12, vcc
	v_cndmask_b32_e64 v18, v23, v21, s[0:1]
	v_cmp_ne_u32_e32 vcc, 0, v12
	v_cndmask_b32_e64 v13, v22, v20, s[0:1]
	v_cndmask_b32_e32 v12, v15, v18, vcc
	v_cndmask_b32_e32 v13, v14, v13, vcc
	v_xor_b32_e32 v14, v12, v3
	v_xor_b32_e32 v12, v13, v3
	v_sub_co_u32_e32 v12, vcc, v12, v3
	v_subb_co_u32_e32 v13, vcc, v14, v3, vcc
.LBB79_23:                              ;   in Loop: Header=BB79_21 Depth=2
	s_andn2_saveexec_b64 s[0:1], s[50:51]
	s_cbranch_execz .LBB79_25
; %bb.24:                               ;   in Loop: Header=BB79_21 Depth=2
	v_cvt_f32_u32_e32 v3, s48
	s_sub_i32 s50, 0, s48
	v_rcp_iflag_f32_e32 v3, v3
	v_mul_f32_e32 v3, 0x4f7ffffe, v3
	v_cvt_u32_f32_e32 v3, v3
	v_mul_lo_u32 v12, s50, v3
	v_mul_hi_u32 v12, v3, v12
	v_add_u32_e32 v3, v3, v12
	v_mul_hi_u32 v3, v10, v3
	v_mul_lo_u32 v12, v3, s48
	v_add_u32_e32 v13, 1, v3
	v_sub_u32_e32 v12, v10, v12
	v_subrev_u32_e32 v14, s48, v12
	v_cmp_le_u32_e32 vcc, s48, v12
	v_cndmask_b32_e32 v12, v12, v14, vcc
	v_cndmask_b32_e32 v3, v3, v13, vcc
	v_add_u32_e32 v13, 1, v3
	v_cmp_le_u32_e32 vcc, s48, v12
	v_cndmask_b32_e32 v12, v3, v13, vcc
	v_mov_b32_e32 v13, v2
.LBB79_25:                              ;   in Loop: Header=BB79_21 Depth=2
	s_or_b64 exec, exec, s[0:1]
	s_load_dwordx2 s[50:51], s[44:45], 0x0
	s_load_dwordx2 s[54:55], s[44:45], 0xd0
	;; [unrolled: 1-line block ×3, first 2 shown]
                                        ; implicit-def: $vgpr14_vgpr15
	s_waitcnt lgkmcnt(0)
	v_or_b32_e32 v3, s51, v13
	v_cmp_ne_u64_e32 vcc, 0, v[2:3]
	s_and_saveexec_b64 s[0:1], vcc
	s_xor_b64 s[56:57], exec, s[0:1]
	s_cbranch_execz .LBB79_27
; %bb.26:                               ;   in Loop: Header=BB79_21 Depth=2
	s_ashr_i32 s58, s51, 31
	s_add_u32 s0, s50, s58
	s_mov_b32 s59, s58
	s_addc_u32 s1, s51, s58
	s_xor_b64 s[60:61], s[0:1], s[58:59]
	v_cvt_f32_u32_e32 v3, s60
	v_cvt_f32_u32_e32 v14, s61
	s_sub_u32 s59, 0, s60
	s_subb_u32 s66, 0, s61
	v_mac_f32_e32 v3, 0x4f800000, v14
	v_rcp_f32_e32 v3, v3
	v_mul_f32_e32 v3, 0x5f7ffffc, v3
	v_mul_f32_e32 v14, 0x2f800000, v3
	v_trunc_f32_e32 v14, v14
	v_mac_f32_e32 v3, 0xcf800000, v14
	v_cvt_u32_f32_e32 v14, v14
	v_cvt_u32_f32_e32 v3, v3
	v_readfirstlane_b32 s67, v14
	v_readfirstlane_b32 s0, v3
	s_mul_i32 s1, s59, s67
	s_mul_hi_u32 s69, s59, s0
	s_mul_i32 s68, s66, s0
	s_add_i32 s1, s69, s1
	s_add_i32 s1, s1, s68
	s_mul_i32 s70, s59, s0
	s_mul_i32 s69, s0, s1
	s_mul_hi_u32 s71, s0, s70
	s_mul_hi_u32 s68, s0, s1
	s_add_u32 s69, s71, s69
	s_addc_u32 s68, 0, s68
	s_mul_hi_u32 s72, s67, s70
	s_mul_i32 s70, s67, s70
	s_add_u32 s69, s69, s70
	s_mul_hi_u32 s71, s67, s1
	s_addc_u32 s68, s68, s72
	s_addc_u32 s69, s71, 0
	s_mul_i32 s1, s67, s1
	s_add_u32 s1, s68, s1
	s_addc_u32 s68, 0, s69
	s_add_u32 s69, s0, s1
	s_cselect_b64 s[0:1], -1, 0
	s_cmp_lg_u64 s[0:1], 0
	s_addc_u32 s67, s67, s68
	s_mul_i32 s0, s59, s67
	s_mul_hi_u32 s1, s59, s69
	s_add_i32 s0, s1, s0
	s_mul_i32 s66, s66, s69
	s_add_i32 s0, s0, s66
	s_mul_i32 s59, s59, s69
	s_mul_hi_u32 s66, s67, s59
	s_mul_i32 s68, s67, s59
	s_mul_i32 s71, s69, s0
	s_mul_hi_u32 s59, s69, s59
	s_mul_hi_u32 s70, s69, s0
	s_add_u32 s59, s59, s71
	s_addc_u32 s70, 0, s70
	s_add_u32 s59, s59, s68
	s_mul_hi_u32 s1, s67, s0
	s_addc_u32 s59, s70, s66
	s_addc_u32 s1, s1, 0
	s_mul_i32 s0, s67, s0
	s_add_u32 s0, s59, s0
	s_addc_u32 s59, 0, s1
	s_add_u32 s66, s69, s0
	s_cselect_b64 s[0:1], -1, 0
	v_ashrrev_i32_e32 v3, 31, v13
	s_cmp_lg_u64 s[0:1], 0
	v_add_co_u32_e32 v14, vcc, v12, v3
	s_addc_u32 s59, s67, s59
	v_xor_b32_e32 v20, v14, v3
	v_mad_u64_u32 v[14:15], s[0:1], v20, s59, 0
	v_mul_hi_u32 v19, v20, s66
	v_addc_co_u32_e32 v18, vcc, v13, v3, vcc
	v_xor_b32_e32 v21, v18, v3
	v_add_co_u32_e32 v22, vcc, v19, v14
	v_addc_co_u32_e32 v23, vcc, 0, v15, vcc
	v_mad_u64_u32 v[14:15], s[0:1], v21, s66, 0
	v_mad_u64_u32 v[18:19], s[0:1], v21, s59, 0
	v_add_co_u32_e32 v14, vcc, v22, v14
	v_addc_co_u32_e32 v14, vcc, v23, v15, vcc
	v_addc_co_u32_e32 v15, vcc, 0, v19, vcc
	v_add_co_u32_e32 v18, vcc, v14, v18
	v_addc_co_u32_e32 v19, vcc, 0, v15, vcc
	v_mul_lo_u32 v22, s61, v18
	v_mul_lo_u32 v23, s60, v19
	v_mad_u64_u32 v[14:15], s[0:1], s60, v18, 0
	v_xor_b32_e32 v3, s58, v3
	v_add3_u32 v15, v15, v23, v22
	v_sub_u32_e32 v22, v21, v15
	v_mov_b32_e32 v23, s61
	v_sub_co_u32_e32 v14, vcc, v20, v14
	v_subb_co_u32_e64 v20, s[0:1], v22, v23, vcc
	v_subrev_co_u32_e64 v22, s[0:1], s60, v14
	v_subbrev_co_u32_e64 v20, s[0:1], 0, v20, s[0:1]
	v_cmp_le_u32_e64 s[0:1], s61, v20
	v_cndmask_b32_e64 v23, 0, -1, s[0:1]
	v_cmp_le_u32_e64 s[0:1], s60, v22
	v_cndmask_b32_e64 v22, 0, -1, s[0:1]
	v_cmp_eq_u32_e64 s[0:1], s61, v20
	v_cndmask_b32_e64 v20, v23, v22, s[0:1]
	v_add_co_u32_e64 v22, s[0:1], 2, v18
	v_subb_co_u32_e32 v15, vcc, v21, v15, vcc
	v_addc_co_u32_e64 v23, s[0:1], 0, v19, s[0:1]
	v_cmp_le_u32_e32 vcc, s61, v15
	v_add_co_u32_e64 v24, s[0:1], 1, v18
	v_cndmask_b32_e64 v21, 0, -1, vcc
	v_cmp_le_u32_e32 vcc, s60, v14
	v_addc_co_u32_e64 v25, s[0:1], 0, v19, s[0:1]
	v_cndmask_b32_e64 v14, 0, -1, vcc
	v_cmp_eq_u32_e32 vcc, s61, v15
	v_cmp_ne_u32_e64 s[0:1], 0, v20
	v_cndmask_b32_e32 v14, v21, v14, vcc
	v_cndmask_b32_e64 v20, v25, v23, s[0:1]
	v_cmp_ne_u32_e32 vcc, 0, v14
	v_cndmask_b32_e64 v15, v24, v22, s[0:1]
	v_cndmask_b32_e32 v14, v19, v20, vcc
	v_cndmask_b32_e32 v15, v18, v15, vcc
	v_xor_b32_e32 v18, v14, v3
	v_xor_b32_e32 v14, v15, v3
	v_sub_co_u32_e32 v14, vcc, v14, v3
	v_subb_co_u32_e32 v15, vcc, v18, v3, vcc
.LBB79_27:                              ;   in Loop: Header=BB79_21 Depth=2
	s_andn2_saveexec_b64 s[0:1], s[56:57]
	s_cbranch_execz .LBB79_20
; %bb.28:                               ;   in Loop: Header=BB79_21 Depth=2
	v_cvt_f32_u32_e32 v3, s50
	s_sub_i32 s56, 0, s50
	v_rcp_iflag_f32_e32 v3, v3
	v_mul_f32_e32 v3, 0x4f7ffffe, v3
	v_cvt_u32_f32_e32 v3, v3
	v_mul_lo_u32 v14, s56, v3
	v_mul_hi_u32 v14, v3, v14
	v_add_u32_e32 v3, v3, v14
	v_mul_hi_u32 v3, v12, v3
	v_mul_lo_u32 v14, v3, s50
	v_add_u32_e32 v15, 1, v3
	v_sub_u32_e32 v14, v12, v14
	v_subrev_u32_e32 v18, s50, v14
	v_cmp_le_u32_e32 vcc, s50, v14
	v_cndmask_b32_e32 v14, v14, v18, vcc
	v_cndmask_b32_e32 v3, v3, v15, vcc
	v_add_u32_e32 v15, 1, v3
	v_cmp_le_u32_e32 vcc, s50, v14
	v_cndmask_b32_e32 v14, v3, v15, vcc
	v_mov_b32_e32 v15, v2
	s_branch .LBB79_20
.LBB79_29:                              ;   in Loop: Header=BB79_3 Depth=1
	v_sub_co_u32_e32 v10, vcc, v4, v16
	v_subb_co_u32_e32 v11, vcc, v5, v17, vcc
	v_add_co_u32_e32 v12, vcc, 2, v10
	v_addc_co_u32_e32 v13, vcc, 0, v11, vcc
	v_cmp_le_i64_e32 vcc, s[8:9], v[12:13]
	v_mov_b32_e32 v3, 0
	v_mov_b32_e32 v12, 0
	s_and_saveexec_b64 s[0:1], vcc
	s_cbranch_execz .LBB79_35
; %bb.30:                               ;   in Loop: Header=BB79_3 Depth=1
	v_cmp_gt_i64_e32 vcc, s[14:15], v[4:5]
	v_mov_b32_e32 v3, 0
	v_mov_b32_e32 v13, 0
	s_and_saveexec_b64 s[42:43], vcc
	s_cbranch_execz .LBB79_34
; %bb.31:                               ;   in Loop: Header=BB79_3 Depth=1
	v_lshlrev_b64 v[8:9], 2, v[8:9]
	v_mov_b32_e32 v3, s3
	v_add_co_u32_e32 v8, vcc, s2, v8
	v_addc_co_u32_e32 v9, vcc, v3, v9, vcc
	global_load_dword v3, v[8:9], off
	v_add_co_u32_e32 v12, vcc, 1, v4
	v_addc_co_u32_e32 v13, vcc, 0, v5, vcc
	v_cmp_gt_i64_e32 vcc, s[14:15], v[12:13]
	v_mov_b32_e32 v13, 0
	s_and_saveexec_b64 s[44:45], vcc
	s_xor_b64 s[44:45], exec, s[44:45]
	s_cbranch_execz .LBB79_33
; %bb.32:                               ;   in Loop: Header=BB79_3 Depth=1
	s_lshl_b64 s[46:47], s[18:19], 2
	v_mov_b32_e32 v12, s47
	v_add_co_u32_e32 v8, vcc, s46, v8
	v_addc_co_u32_e32 v9, vcc, v9, v12, vcc
	global_load_dword v13, v[8:9], off
.LBB79_33:                              ;   in Loop: Header=BB79_3 Depth=1
	s_or_b64 exec, exec, s[44:45]
.LBB79_34:                              ;   in Loop: Header=BB79_3 Depth=1
	s_or_b64 exec, exec, s[42:43]
	v_cmp_le_i64_e32 vcc, s[8:9], v[10:11]
	s_waitcnt vmcnt(0)
	v_cndmask_b32_e32 v12, 0, v3, vcc
	v_add_co_u32_e32 v8, vcc, 1, v10
	v_addc_co_u32_e32 v9, vcc, 0, v11, vcc
	v_cmp_le_i64_e32 vcc, s[8:9], v[8:9]
	v_cndmask_b32_e32 v3, 0, v13, vcc
.LBB79_35:                              ;   in Loop: Header=BB79_3 Depth=1
	s_or_b64 exec, exec, s[0:1]
	v_cmp_gt_i64_e32 vcc, s[14:15], v[4:5]
	s_and_saveexec_b64 s[0:1], vcc
	s_cbranch_execz .LBB79_2
; %bb.36:                               ;   in Loop: Header=BB79_3 Depth=1
	v_lshlrev_b64 v[6:7], 2, v[6:7]
	v_mov_b32_e32 v8, s29
	v_add_co_u32_e32 v6, vcc, s28, v6
	v_addc_co_u32_e32 v7, vcc, v8, v7, vcc
	v_add_co_u32_e32 v4, vcc, 1, v4
	v_addc_co_u32_e32 v5, vcc, 0, v5, vcc
	v_cmp_gt_i64_e32 vcc, s[14:15], v[4:5]
	global_store_dword v[6:7], v12, off
	s_and_saveexec_b64 s[42:43], vcc
	s_xor_b64 s[42:43], exec, s[42:43]
	s_cbranch_execz .LBB79_2
; %bb.37:                               ;   in Loop: Header=BB79_3 Depth=1
	s_lshl_b64 s[42:43], s[22:23], 2
	v_mov_b32_e32 v5, s43
	v_add_co_u32_e32 v4, vcc, s42, v6
	v_addc_co_u32_e32 v5, vcc, v7, v5, vcc
	global_store_dword v[4:5], v3, off
	s_branch .LBB79_2
.LBB79_38:
	s_endpgm
	.section	.rodata,"a",@progbits
	.p2align	6, 0x0
	.amdhsa_kernel _ZN2at6native16triu_tril_kernelIflLb1ELi2ELb0EEEvNS_4cuda6detail10TensorInfoIT_T0_EENS4_IKS5_S6_EEllS6_
		.amdhsa_group_segment_fixed_size 0
		.amdhsa_private_segment_fixed_size 0
		.amdhsa_kernarg_size 1112
		.amdhsa_user_sgpr_count 6
		.amdhsa_user_sgpr_private_segment_buffer 1
		.amdhsa_user_sgpr_dispatch_ptr 0
		.amdhsa_user_sgpr_queue_ptr 0
		.amdhsa_user_sgpr_kernarg_segment_ptr 1
		.amdhsa_user_sgpr_dispatch_id 0
		.amdhsa_user_sgpr_flat_scratch_init 0
		.amdhsa_user_sgpr_private_segment_size 0
		.amdhsa_uses_dynamic_stack 0
		.amdhsa_system_sgpr_private_segment_wavefront_offset 0
		.amdhsa_system_sgpr_workgroup_id_x 1
		.amdhsa_system_sgpr_workgroup_id_y 0
		.amdhsa_system_sgpr_workgroup_id_z 0
		.amdhsa_system_sgpr_workgroup_info 0
		.amdhsa_system_vgpr_workitem_id 0
		.amdhsa_next_free_vgpr 26
		.amdhsa_next_free_sgpr 73
		.amdhsa_reserve_vcc 1
		.amdhsa_reserve_flat_scratch 0
		.amdhsa_float_round_mode_32 0
		.amdhsa_float_round_mode_16_64 0
		.amdhsa_float_denorm_mode_32 3
		.amdhsa_float_denorm_mode_16_64 3
		.amdhsa_dx10_clamp 1
		.amdhsa_ieee_mode 1
		.amdhsa_fp16_overflow 0
		.amdhsa_exception_fp_ieee_invalid_op 0
		.amdhsa_exception_fp_denorm_src 0
		.amdhsa_exception_fp_ieee_div_zero 0
		.amdhsa_exception_fp_ieee_overflow 0
		.amdhsa_exception_fp_ieee_underflow 0
		.amdhsa_exception_fp_ieee_inexact 0
		.amdhsa_exception_int_div_zero 0
	.end_amdhsa_kernel
	.section	.text._ZN2at6native16triu_tril_kernelIflLb1ELi2ELb0EEEvNS_4cuda6detail10TensorInfoIT_T0_EENS4_IKS5_S6_EEllS6_,"axG",@progbits,_ZN2at6native16triu_tril_kernelIflLb1ELi2ELb0EEEvNS_4cuda6detail10TensorInfoIT_T0_EENS4_IKS5_S6_EEllS6_,comdat
.Lfunc_end79:
	.size	_ZN2at6native16triu_tril_kernelIflLb1ELi2ELb0EEEvNS_4cuda6detail10TensorInfoIT_T0_EENS4_IKS5_S6_EEllS6_, .Lfunc_end79-_ZN2at6native16triu_tril_kernelIflLb1ELi2ELb0EEEvNS_4cuda6detail10TensorInfoIT_T0_EENS4_IKS5_S6_EEllS6_
                                        ; -- End function
	.set _ZN2at6native16triu_tril_kernelIflLb1ELi2ELb0EEEvNS_4cuda6detail10TensorInfoIT_T0_EENS4_IKS5_S6_EEllS6_.num_vgpr, 26
	.set _ZN2at6native16triu_tril_kernelIflLb1ELi2ELb0EEEvNS_4cuda6detail10TensorInfoIT_T0_EENS4_IKS5_S6_EEllS6_.num_agpr, 0
	.set _ZN2at6native16triu_tril_kernelIflLb1ELi2ELb0EEEvNS_4cuda6detail10TensorInfoIT_T0_EENS4_IKS5_S6_EEllS6_.numbered_sgpr, 73
	.set _ZN2at6native16triu_tril_kernelIflLb1ELi2ELb0EEEvNS_4cuda6detail10TensorInfoIT_T0_EENS4_IKS5_S6_EEllS6_.num_named_barrier, 0
	.set _ZN2at6native16triu_tril_kernelIflLb1ELi2ELb0EEEvNS_4cuda6detail10TensorInfoIT_T0_EENS4_IKS5_S6_EEllS6_.private_seg_size, 0
	.set _ZN2at6native16triu_tril_kernelIflLb1ELi2ELb0EEEvNS_4cuda6detail10TensorInfoIT_T0_EENS4_IKS5_S6_EEllS6_.uses_vcc, 1
	.set _ZN2at6native16triu_tril_kernelIflLb1ELi2ELb0EEEvNS_4cuda6detail10TensorInfoIT_T0_EENS4_IKS5_S6_EEllS6_.uses_flat_scratch, 0
	.set _ZN2at6native16triu_tril_kernelIflLb1ELi2ELb0EEEvNS_4cuda6detail10TensorInfoIT_T0_EENS4_IKS5_S6_EEllS6_.has_dyn_sized_stack, 0
	.set _ZN2at6native16triu_tril_kernelIflLb1ELi2ELb0EEEvNS_4cuda6detail10TensorInfoIT_T0_EENS4_IKS5_S6_EEllS6_.has_recursion, 0
	.set _ZN2at6native16triu_tril_kernelIflLb1ELi2ELb0EEEvNS_4cuda6detail10TensorInfoIT_T0_EENS4_IKS5_S6_EEllS6_.has_indirect_call, 0
	.section	.AMDGPU.csdata,"",@progbits
; Kernel info:
; codeLenInByte = 5004
; TotalNumSgprs: 77
; NumVgprs: 26
; ScratchSize: 0
; MemoryBound: 0
; FloatMode: 240
; IeeeMode: 1
; LDSByteSize: 0 bytes/workgroup (compile time only)
; SGPRBlocks: 9
; VGPRBlocks: 6
; NumSGPRsForWavesPerEU: 77
; NumVGPRsForWavesPerEU: 26
; Occupancy: 9
; WaveLimiterHint : 0
; COMPUTE_PGM_RSRC2:SCRATCH_EN: 0
; COMPUTE_PGM_RSRC2:USER_SGPR: 6
; COMPUTE_PGM_RSRC2:TRAP_HANDLER: 0
; COMPUTE_PGM_RSRC2:TGID_X_EN: 1
; COMPUTE_PGM_RSRC2:TGID_Y_EN: 0
; COMPUTE_PGM_RSRC2:TGID_Z_EN: 0
; COMPUTE_PGM_RSRC2:TIDIG_COMP_CNT: 0
	.section	.text._ZN2at6native16triu_tril_kernelIN3c107complexIdEEiLb1ELi1ELb1EEEvNS_4cuda6detail10TensorInfoIT_T0_EENS7_IKS8_S9_EEllS9_,"axG",@progbits,_ZN2at6native16triu_tril_kernelIN3c107complexIdEEiLb1ELi1ELb1EEEvNS_4cuda6detail10TensorInfoIT_T0_EENS7_IKS8_S9_EEllS9_,comdat
	.protected	_ZN2at6native16triu_tril_kernelIN3c107complexIdEEiLb1ELi1ELb1EEEvNS_4cuda6detail10TensorInfoIT_T0_EENS7_IKS8_S9_EEllS9_ ; -- Begin function _ZN2at6native16triu_tril_kernelIN3c107complexIdEEiLb1ELi1ELb1EEEvNS_4cuda6detail10TensorInfoIT_T0_EENS7_IKS8_S9_EEllS9_
	.globl	_ZN2at6native16triu_tril_kernelIN3c107complexIdEEiLb1ELi1ELb1EEEvNS_4cuda6detail10TensorInfoIT_T0_EENS7_IKS8_S9_EEllS9_
	.p2align	8
	.type	_ZN2at6native16triu_tril_kernelIN3c107complexIdEEiLb1ELi1ELb1EEEvNS_4cuda6detail10TensorInfoIT_T0_EENS7_IKS8_S9_EEllS9_,@function
_ZN2at6native16triu_tril_kernelIN3c107complexIdEEiLb1ELi1ELb1EEEvNS_4cuda6detail10TensorInfoIT_T0_EENS7_IKS8_S9_EEllS9_: ; @_ZN2at6native16triu_tril_kernelIN3c107complexIdEEiLb1ELi1ELb1EEEvNS_4cuda6detail10TensorInfoIT_T0_EENS7_IKS8_S9_EEllS9_
; %bb.0:
	s_load_dword s2, s[4:5], 0x1d4
	s_load_dwordx4 s[8:11], s[4:5], 0x1b0
	s_add_u32 s0, s4, 0x1c8
	v_mov_b32_e32 v2, 0
	s_addc_u32 s1, s5, 0
	s_waitcnt lgkmcnt(0)
	s_and_b32 s16, s2, 0xffff
	v_mov_b32_e32 v1, v2
	v_mov_b32_e32 v3, s6
	v_mad_u64_u32 v[0:1], s[2:3], s16, v3, v[0:1]
	v_cmp_gt_i64_e32 vcc, s[10:11], v[0:1]
	s_and_saveexec_b64 s[2:3], vcc
	s_cbranch_execz .LBB80_59
; %bb.1:
	s_load_dword s33, s[4:5], 0x1c0
	s_load_dword s18, s[4:5], 0x1a8
	s_add_u32 s40, s4, 0xd8
	s_addc_u32 s41, s5, 0
	s_load_dwordx2 s[12:13], s[4:5], 0x0
	s_waitcnt lgkmcnt(0)
	s_ashr_i32 s42, s33, 31
	s_ashr_i32 s19, s18, 31
	s_lshl_b64 s[14:15], s[18:19], 2
	s_add_u32 s2, s40, s14
	s_addc_u32 s3, s41, s15
	s_load_dword s43, s[2:3], 0x0
	s_load_dword s17, s[0:1], 0x0
	v_cmp_gt_i64_e64 s[6:7], s[18:19], 2
	s_mov_b64 s[22:23], 0
	s_waitcnt lgkmcnt(0)
	s_ashr_i32 s44, s43, 31
	s_add_u32 s14, s4, s14
	s_addc_u32 s15, s5, s15
	s_add_i32 s0, s18, 6
	s_add_i32 s45, s18, -3
	s_and_b32 s47, s0, 7
	s_and_b32 s0, s18, 7
	s_cmp_lg_u32 s0, 2
	s_cselect_b64 s[18:19], -1, 0
	s_cmp_gt_u32 s45, 6
	s_mul_i32 s46, s17, s16
	s_mov_b32 s17, 0
	s_cselect_b64 s[20:21], -1, 0
	s_ashr_i32 s24, s42, 31
	s_branch .LBB80_3
.LBB80_2:                               ;   in Loop: Header=BB80_3 Depth=1
	s_or_b64 exec, exec, s[26:27]
	v_add_co_u32_e32 v0, vcc, s46, v0
	v_addc_co_u32_e32 v1, vcc, 0, v1, vcc
	v_cmp_le_i64_e32 vcc, s[10:11], v[0:1]
	s_or_b64 s[22:23], vcc, s[22:23]
	s_andn2_b64 exec, exec, s[22:23]
	s_cbranch_execz .LBB80_59
.LBB80_3:                               ; =>This Loop Header: Depth=1
                                        ;     Child Loop BB80_14 Depth 2
                                        ;     Child Loop BB80_23 Depth 2
	v_or_b32_e32 v3, s42, v1
	v_cmp_ne_u64_e32 vcc, 0, v[2:3]
                                        ; implicit-def: $vgpr4_vgpr5
	s_and_saveexec_b64 s[0:1], vcc
	s_xor_b64 s[26:27], exec, s[0:1]
	s_cbranch_execz .LBB80_5
; %bb.4:                                ;   in Loop: Header=BB80_3 Depth=1
	s_add_u32 s0, s33, s24
	s_mov_b32 s25, s24
	s_addc_u32 s1, s42, s24
	s_xor_b64 s[28:29], s[0:1], s[24:25]
	v_cvt_f32_u32_e32 v3, s28
	v_cvt_f32_u32_e32 v4, s29
	s_sub_u32 s16, 0, s28
	s_subb_u32 s25, 0, s29
	v_ashrrev_i32_e32 v7, 31, v1
	v_mac_f32_e32 v3, 0x4f800000, v4
	v_rcp_f32_e32 v3, v3
	v_mul_f32_e32 v3, 0x5f7ffffc, v3
	v_mul_f32_e32 v4, 0x2f800000, v3
	v_trunc_f32_e32 v4, v4
	v_mac_f32_e32 v3, 0xcf800000, v4
	v_cvt_u32_f32_e32 v4, v4
	v_cvt_u32_f32_e32 v3, v3
	v_readfirstlane_b32 s30, v4
	v_readfirstlane_b32 s0, v3
	s_mul_i32 s1, s16, s30
	s_mul_hi_u32 s34, s16, s0
	s_mul_i32 s31, s25, s0
	s_add_i32 s1, s34, s1
	s_add_i32 s1, s1, s31
	s_mul_i32 s35, s16, s0
	s_mul_i32 s34, s0, s1
	s_mul_hi_u32 s36, s0, s35
	s_mul_hi_u32 s31, s0, s1
	s_add_u32 s34, s36, s34
	s_addc_u32 s31, 0, s31
	s_mul_hi_u32 s37, s30, s35
	s_mul_i32 s35, s30, s35
	s_add_u32 s34, s34, s35
	s_mul_hi_u32 s36, s30, s1
	s_addc_u32 s31, s31, s37
	s_addc_u32 s34, s36, 0
	s_mul_i32 s1, s30, s1
	s_add_u32 s1, s31, s1
	s_addc_u32 s31, 0, s34
	s_add_u32 s34, s0, s1
	s_cselect_b64 s[0:1], -1, 0
	s_cmp_lg_u64 s[0:1], 0
	s_addc_u32 s30, s30, s31
	s_mul_i32 s0, s16, s30
	s_mul_hi_u32 s1, s16, s34
	s_add_i32 s0, s1, s0
	s_mul_i32 s25, s25, s34
	s_add_i32 s0, s0, s25
	s_mul_i32 s16, s16, s34
	s_mul_hi_u32 s25, s30, s16
	s_mul_i32 s31, s30, s16
	s_mul_i32 s36, s34, s0
	s_mul_hi_u32 s16, s34, s16
	s_mul_hi_u32 s35, s34, s0
	s_add_u32 s16, s16, s36
	s_addc_u32 s35, 0, s35
	s_add_u32 s16, s16, s31
	s_mul_hi_u32 s1, s30, s0
	s_addc_u32 s16, s35, s25
	s_addc_u32 s1, s1, 0
	s_mul_i32 s0, s30, s0
	s_add_u32 s0, s16, s0
	s_addc_u32 s16, 0, s1
	s_add_u32 s25, s34, s0
	s_cselect_b64 s[0:1], -1, 0
	s_cmp_lg_u64 s[0:1], 0
	v_add_co_u32_e32 v3, vcc, v0, v7
	s_addc_u32 s16, s30, s16
	v_xor_b32_e32 v8, v3, v7
	v_mad_u64_u32 v[3:4], s[0:1], v8, s16, 0
	v_mul_hi_u32 v6, v8, s25
	v_addc_co_u32_e32 v5, vcc, v1, v7, vcc
	v_xor_b32_e32 v9, v5, v7
	v_add_co_u32_e32 v10, vcc, v6, v3
	v_addc_co_u32_e32 v11, vcc, 0, v4, vcc
	v_mad_u64_u32 v[3:4], s[0:1], v9, s25, 0
	v_mad_u64_u32 v[5:6], s[0:1], v9, s16, 0
	v_add_co_u32_e32 v3, vcc, v10, v3
	v_addc_co_u32_e32 v3, vcc, v11, v4, vcc
	v_addc_co_u32_e32 v4, vcc, 0, v6, vcc
	v_add_co_u32_e32 v5, vcc, v3, v5
	v_addc_co_u32_e32 v6, vcc, 0, v4, vcc
	v_mul_lo_u32 v10, s29, v5
	v_mul_lo_u32 v11, s28, v6
	v_mad_u64_u32 v[3:4], s[0:1], s28, v5, 0
	v_add3_u32 v4, v4, v11, v10
	v_sub_u32_e32 v10, v9, v4
	v_mov_b32_e32 v11, s29
	v_sub_co_u32_e32 v3, vcc, v8, v3
	v_subb_co_u32_e64 v8, s[0:1], v10, v11, vcc
	v_subrev_co_u32_e64 v10, s[0:1], s28, v3
	v_subbrev_co_u32_e64 v8, s[0:1], 0, v8, s[0:1]
	v_cmp_le_u32_e64 s[0:1], s29, v8
	v_cndmask_b32_e64 v11, 0, -1, s[0:1]
	v_cmp_le_u32_e64 s[0:1], s28, v10
	v_cndmask_b32_e64 v10, 0, -1, s[0:1]
	v_cmp_eq_u32_e64 s[0:1], s29, v8
	v_cndmask_b32_e64 v8, v11, v10, s[0:1]
	v_add_co_u32_e64 v10, s[0:1], 2, v5
	v_subb_co_u32_e32 v4, vcc, v9, v4, vcc
	v_addc_co_u32_e64 v11, s[0:1], 0, v6, s[0:1]
	v_cmp_le_u32_e32 vcc, s29, v4
	v_add_co_u32_e64 v12, s[0:1], 1, v5
	v_cndmask_b32_e64 v9, 0, -1, vcc
	v_cmp_le_u32_e32 vcc, s28, v3
	v_addc_co_u32_e64 v13, s[0:1], 0, v6, s[0:1]
	v_cndmask_b32_e64 v3, 0, -1, vcc
	v_cmp_eq_u32_e32 vcc, s29, v4
	v_cmp_ne_u32_e64 s[0:1], 0, v8
	v_cndmask_b32_e32 v3, v9, v3, vcc
	v_cmp_ne_u32_e32 vcc, 0, v3
	v_cndmask_b32_e64 v4, v12, v10, s[0:1]
	v_cndmask_b32_e64 v8, v13, v11, s[0:1]
	v_cndmask_b32_e32 v4, v5, v4, vcc
	v_xor_b32_e32 v5, s24, v7
	v_cndmask_b32_e32 v3, v6, v8, vcc
	v_xor_b32_e32 v4, v4, v5
	v_xor_b32_e32 v3, v3, v5
	v_sub_co_u32_e32 v4, vcc, v4, v5
	v_subb_co_u32_e32 v5, vcc, v3, v5, vcc
.LBB80_5:                               ;   in Loop: Header=BB80_3 Depth=1
	s_andn2_saveexec_b64 s[0:1], s[26:27]
	s_cbranch_execz .LBB80_7
; %bb.6:                                ;   in Loop: Header=BB80_3 Depth=1
	v_cvt_f32_u32_e32 v3, s33
	s_sub_i32 s16, 0, s33
	v_rcp_iflag_f32_e32 v3, v3
	v_mul_f32_e32 v3, 0x4f7ffffe, v3
	v_cvt_u32_f32_e32 v3, v3
	v_mul_lo_u32 v4, s16, v3
	v_mul_hi_u32 v4, v3, v4
	v_add_u32_e32 v3, v3, v4
	v_mul_hi_u32 v3, v0, v3
	v_mul_lo_u32 v4, v3, s33
	v_add_u32_e32 v5, 1, v3
	v_sub_u32_e32 v4, v0, v4
	v_subrev_u32_e32 v6, s33, v4
	v_cmp_le_u32_e32 vcc, s33, v4
	v_cndmask_b32_e32 v4, v4, v6, vcc
	v_cndmask_b32_e32 v3, v3, v5, vcc
	v_add_u32_e32 v5, 1, v3
	v_cmp_le_u32_e32 vcc, s33, v4
	v_cndmask_b32_e32 v4, v3, v5, vcc
	v_mov_b32_e32 v5, v2
.LBB80_7:                               ;   in Loop: Header=BB80_3 Depth=1
	s_or_b64 exec, exec, s[0:1]
	v_or_b32_e32 v3, s44, v5
	v_cmp_ne_u64_e32 vcc, 0, v[2:3]
                                        ; implicit-def: $vgpr6_vgpr7
	s_and_saveexec_b64 s[0:1], vcc
	s_xor_b64 s[26:27], exec, s[0:1]
	s_cbranch_execz .LBB80_9
; %bb.8:                                ;   in Loop: Header=BB80_3 Depth=1
	s_ashr_i32 s28, s44, 31
	s_add_u32 s0, s43, s28
	s_mov_b32 s29, s28
	s_addc_u32 s1, s44, s28
	s_xor_b64 s[30:31], s[0:1], s[28:29]
	v_cvt_f32_u32_e32 v3, s30
	v_cvt_f32_u32_e32 v6, s31
	s_sub_u32 s16, 0, s30
	s_subb_u32 s25, 0, s31
	v_mac_f32_e32 v3, 0x4f800000, v6
	v_rcp_f32_e32 v3, v3
	v_mul_f32_e32 v3, 0x5f7ffffc, v3
	v_mul_f32_e32 v6, 0x2f800000, v3
	v_trunc_f32_e32 v6, v6
	v_mac_f32_e32 v3, 0xcf800000, v6
	v_cvt_u32_f32_e32 v6, v6
	v_cvt_u32_f32_e32 v3, v3
	v_readfirstlane_b32 s29, v6
	v_readfirstlane_b32 s0, v3
	s_mul_i32 s1, s16, s29
	s_mul_hi_u32 s35, s16, s0
	s_mul_i32 s34, s25, s0
	s_add_i32 s1, s35, s1
	s_add_i32 s1, s1, s34
	s_mul_i32 s36, s16, s0
	s_mul_i32 s35, s0, s1
	s_mul_hi_u32 s37, s0, s36
	s_mul_hi_u32 s34, s0, s1
	s_add_u32 s35, s37, s35
	s_addc_u32 s34, 0, s34
	s_mul_hi_u32 s38, s29, s36
	s_mul_i32 s36, s29, s36
	s_add_u32 s35, s35, s36
	s_mul_hi_u32 s37, s29, s1
	s_addc_u32 s34, s34, s38
	s_addc_u32 s35, s37, 0
	s_mul_i32 s1, s29, s1
	s_add_u32 s1, s34, s1
	s_addc_u32 s34, 0, s35
	s_add_u32 s35, s0, s1
	s_cselect_b64 s[0:1], -1, 0
	s_cmp_lg_u64 s[0:1], 0
	s_addc_u32 s29, s29, s34
	s_mul_i32 s0, s16, s29
	s_mul_hi_u32 s1, s16, s35
	s_add_i32 s0, s1, s0
	s_mul_i32 s25, s25, s35
	s_add_i32 s0, s0, s25
	s_mul_i32 s16, s16, s35
	s_mul_hi_u32 s25, s29, s16
	s_mul_i32 s34, s29, s16
	s_mul_i32 s37, s35, s0
	s_mul_hi_u32 s16, s35, s16
	s_mul_hi_u32 s36, s35, s0
	s_add_u32 s16, s16, s37
	s_addc_u32 s36, 0, s36
	s_add_u32 s16, s16, s34
	s_mul_hi_u32 s1, s29, s0
	s_addc_u32 s16, s36, s25
	s_addc_u32 s1, s1, 0
	s_mul_i32 s0, s29, s0
	s_add_u32 s0, s16, s0
	s_addc_u32 s16, 0, s1
	s_add_u32 s25, s35, s0
	s_cselect_b64 s[0:1], -1, 0
	v_ashrrev_i32_e32 v3, 31, v5
	s_cmp_lg_u64 s[0:1], 0
	v_add_co_u32_e32 v6, vcc, v4, v3
	s_addc_u32 s16, s29, s16
	v_xor_b32_e32 v9, v6, v3
	v_addc_co_u32_e32 v7, vcc, v5, v3, vcc
	v_mad_u64_u32 v[5:6], s[0:1], v9, s16, 0
	v_mul_hi_u32 v8, v9, s25
	v_xor_b32_e32 v10, v7, v3
	v_xor_b32_e32 v3, s28, v3
	v_add_co_u32_e32 v11, vcc, v8, v5
	v_addc_co_u32_e32 v12, vcc, 0, v6, vcc
	v_mad_u64_u32 v[5:6], s[0:1], v10, s25, 0
	v_mad_u64_u32 v[7:8], s[0:1], v10, s16, 0
	v_add_co_u32_e32 v5, vcc, v11, v5
	v_addc_co_u32_e32 v5, vcc, v12, v6, vcc
	v_addc_co_u32_e32 v6, vcc, 0, v8, vcc
	v_add_co_u32_e32 v7, vcc, v5, v7
	v_addc_co_u32_e32 v8, vcc, 0, v6, vcc
	v_mul_lo_u32 v11, s31, v7
	v_mul_lo_u32 v12, s30, v8
	v_mad_u64_u32 v[5:6], s[0:1], s30, v7, 0
	v_add3_u32 v6, v6, v12, v11
	v_sub_u32_e32 v11, v10, v6
	v_mov_b32_e32 v12, s31
	v_sub_co_u32_e32 v5, vcc, v9, v5
	v_subb_co_u32_e64 v9, s[0:1], v11, v12, vcc
	v_subrev_co_u32_e64 v11, s[0:1], s30, v5
	v_subbrev_co_u32_e64 v9, s[0:1], 0, v9, s[0:1]
	v_cmp_le_u32_e64 s[0:1], s31, v9
	v_cndmask_b32_e64 v12, 0, -1, s[0:1]
	v_cmp_le_u32_e64 s[0:1], s30, v11
	v_cndmask_b32_e64 v11, 0, -1, s[0:1]
	v_cmp_eq_u32_e64 s[0:1], s31, v9
	v_cndmask_b32_e64 v9, v12, v11, s[0:1]
	v_add_co_u32_e64 v11, s[0:1], 2, v7
	v_subb_co_u32_e32 v6, vcc, v10, v6, vcc
	v_addc_co_u32_e64 v12, s[0:1], 0, v8, s[0:1]
	v_cmp_le_u32_e32 vcc, s31, v6
	v_add_co_u32_e64 v13, s[0:1], 1, v7
	v_cndmask_b32_e64 v10, 0, -1, vcc
	v_cmp_le_u32_e32 vcc, s30, v5
	v_addc_co_u32_e64 v14, s[0:1], 0, v8, s[0:1]
	v_cndmask_b32_e64 v5, 0, -1, vcc
	v_cmp_eq_u32_e32 vcc, s31, v6
	v_cmp_ne_u32_e64 s[0:1], 0, v9
	v_cndmask_b32_e32 v5, v10, v5, vcc
	v_cmp_ne_u32_e32 vcc, 0, v5
	v_cndmask_b32_e64 v6, v13, v11, s[0:1]
	v_cndmask_b32_e64 v9, v14, v12, s[0:1]
	v_cndmask_b32_e32 v6, v7, v6, vcc
	v_cndmask_b32_e32 v5, v8, v9, vcc
	v_xor_b32_e32 v6, v6, v3
	v_xor_b32_e32 v5, v5, v3
	v_sub_co_u32_e32 v6, vcc, v6, v3
	v_subb_co_u32_e32 v7, vcc, v5, v3, vcc
.LBB80_9:                               ;   in Loop: Header=BB80_3 Depth=1
	s_andn2_saveexec_b64 s[0:1], s[26:27]
	s_cbranch_execz .LBB80_11
; %bb.10:                               ;   in Loop: Header=BB80_3 Depth=1
	v_cvt_f32_u32_e32 v3, s43
	s_sub_i32 s16, 0, s43
	v_rcp_iflag_f32_e32 v3, v3
	v_mul_f32_e32 v3, 0x4f7ffffe, v3
	v_cvt_u32_f32_e32 v3, v3
	v_mul_lo_u32 v5, s16, v3
	v_mul_hi_u32 v5, v3, v5
	v_add_u32_e32 v3, v3, v5
	v_mul_hi_u32 v3, v4, v3
	v_mul_lo_u32 v5, v3, s43
	v_add_u32_e32 v6, 1, v3
	v_sub_u32_e32 v5, v4, v5
	v_subrev_u32_e32 v7, s43, v5
	v_cmp_le_u32_e32 vcc, s43, v5
	v_cndmask_b32_e32 v5, v5, v7, vcc
	v_cndmask_b32_e32 v3, v3, v6, vcc
	v_add_u32_e32 v6, 1, v3
	v_cmp_le_u32_e32 vcc, s43, v5
	v_cndmask_b32_e32 v6, v3, v6, vcc
	v_mov_b32_e32 v7, v2
.LBB80_11:                              ;   in Loop: Header=BB80_3 Depth=1
	s_or_b64 exec, exec, s[0:1]
	v_mad_u64_u32 v[8:9], s[0:1], v4, s33, 0
	v_mad_u64_u32 v[9:10], s[0:1], v6, s43, 0
	v_sub_co_u32_e32 v24, vcc, v0, v8
	v_sub_co_u32_e32 v3, vcc, v4, v9
	v_sub_u32_e32 v4, v24, v3
	v_ashrrev_i32_e32 v5, 31, v4
	v_cmp_gt_i64_e32 vcc, s[8:9], v[4:5]
	s_and_saveexec_b64 s[26:27], vcc
	s_cbranch_execz .LBB80_2
; %bb.12:                               ;   in Loop: Header=BB80_3 Depth=1
	s_load_dwordx2 s[0:1], s[14:15], 0x64
	s_andn2_b64 vcc, exec, s[6:7]
	s_waitcnt lgkmcnt(0)
	v_mul_lo_u32 v4, s1, v24
	v_mad_u64_u32 v[4:5], s[0:1], s0, v3, v[4:5]
	s_cbranch_vccnz .LBB80_57
; %bb.13:                               ;   in Loop: Header=BB80_3 Depth=1
	s_andn2_b64 vcc, exec, s[18:19]
	s_mov_b32 s25, s47
	s_mov_b32 s16, s45
	;; [unrolled: 1-line block ×3, first 2 shown]
	s_cbranch_vccnz .LBB80_21
.LBB80_14:                              ;   Parent Loop BB80_3 Depth=1
                                        ; =>  This Inner Loop Header: Depth=2
	s_lshl_b64 s[28:29], s[16:17], 2
	s_add_u32 s0, s40, s28
	s_addc_u32 s1, s41, s29
	s_load_dword s38, s[0:1], 0x8
                                        ; implicit-def: $vgpr8_vgpr9
	s_waitcnt lgkmcnt(0)
	s_ashr_i32 s0, s38, 31
	v_or_b32_e32 v3, s0, v7
	v_cmp_ne_u64_e32 vcc, 0, v[2:3]
	s_and_saveexec_b64 s[30:31], vcc
	s_xor_b64 s[30:31], exec, s[30:31]
	s_cbranch_execz .LBB80_16
; %bb.15:                               ;   in Loop: Header=BB80_14 Depth=2
	s_ashr_i32 s34, s0, 31
	s_add_u32 s36, s38, s34
	s_mov_b32 s35, s34
	s_addc_u32 s37, s0, s34
	s_xor_b64 s[36:37], s[36:37], s[34:35]
	v_cvt_f32_u32_e32 v3, s36
	v_cvt_f32_u32_e32 v5, s37
	s_sub_u32 s35, 0, s36
	s_subb_u32 s39, 0, s37
	v_mac_f32_e32 v3, 0x4f800000, v5
	v_rcp_f32_e32 v3, v3
	v_mul_f32_e32 v3, 0x5f7ffffc, v3
	v_mul_f32_e32 v5, 0x2f800000, v3
	v_trunc_f32_e32 v5, v5
	v_mac_f32_e32 v3, 0xcf800000, v5
	v_cvt_u32_f32_e32 v5, v5
	v_cvt_u32_f32_e32 v3, v3
	v_readfirstlane_b32 s48, v5
	v_readfirstlane_b32 s0, v3
	s_mul_i32 s1, s35, s48
	s_mul_hi_u32 s50, s35, s0
	s_mul_i32 s49, s39, s0
	s_add_i32 s1, s50, s1
	s_add_i32 s1, s1, s49
	s_mul_i32 s51, s35, s0
	s_mul_i32 s50, s0, s1
	s_mul_hi_u32 s52, s0, s51
	s_mul_hi_u32 s49, s0, s1
	s_add_u32 s50, s52, s50
	s_addc_u32 s49, 0, s49
	s_mul_hi_u32 s53, s48, s51
	s_mul_i32 s51, s48, s51
	s_add_u32 s50, s50, s51
	s_mul_hi_u32 s52, s48, s1
	s_addc_u32 s49, s49, s53
	s_addc_u32 s50, s52, 0
	s_mul_i32 s1, s48, s1
	s_add_u32 s1, s49, s1
	s_addc_u32 s49, 0, s50
	s_add_u32 s50, s0, s1
	s_cselect_b64 s[0:1], -1, 0
	s_cmp_lg_u64 s[0:1], 0
	s_addc_u32 s48, s48, s49
	s_mul_i32 s0, s35, s48
	s_mul_hi_u32 s1, s35, s50
	s_add_i32 s0, s1, s0
	s_mul_i32 s39, s39, s50
	s_add_i32 s0, s0, s39
	s_mul_i32 s35, s35, s50
	s_mul_hi_u32 s39, s48, s35
	s_mul_i32 s49, s48, s35
	s_mul_i32 s52, s50, s0
	s_mul_hi_u32 s35, s50, s35
	s_mul_hi_u32 s51, s50, s0
	s_add_u32 s35, s35, s52
	s_addc_u32 s51, 0, s51
	s_add_u32 s35, s35, s49
	s_mul_hi_u32 s1, s48, s0
	s_addc_u32 s35, s51, s39
	s_addc_u32 s1, s1, 0
	s_mul_i32 s0, s48, s0
	s_add_u32 s0, s35, s0
	s_addc_u32 s35, 0, s1
	s_add_u32 s39, s50, s0
	s_cselect_b64 s[0:1], -1, 0
	v_ashrrev_i32_e32 v3, 31, v7
	s_cmp_lg_u64 s[0:1], 0
	v_add_co_u32_e32 v5, vcc, v6, v3
	s_addc_u32 s35, s48, s35
	v_xor_b32_e32 v5, v5, v3
	v_addc_co_u32_e32 v9, vcc, v7, v3, vcc
	v_mad_u64_u32 v[7:8], s[0:1], v5, s35, 0
	v_mul_hi_u32 v10, v5, s39
	v_xor_b32_e32 v11, v9, v3
	v_xor_b32_e32 v3, s34, v3
	v_add_co_u32_e32 v12, vcc, v10, v7
	v_addc_co_u32_e32 v13, vcc, 0, v8, vcc
	v_mad_u64_u32 v[7:8], s[0:1], v11, s39, 0
	v_mad_u64_u32 v[9:10], s[0:1], v11, s35, 0
	v_add_co_u32_e32 v7, vcc, v12, v7
	v_addc_co_u32_e32 v7, vcc, v13, v8, vcc
	v_addc_co_u32_e32 v8, vcc, 0, v10, vcc
	v_add_co_u32_e32 v9, vcc, v7, v9
	v_addc_co_u32_e32 v10, vcc, 0, v8, vcc
	v_mul_lo_u32 v12, s37, v9
	v_mul_lo_u32 v13, s36, v10
	v_mad_u64_u32 v[7:8], s[0:1], s36, v9, 0
	v_add3_u32 v8, v8, v13, v12
	v_sub_u32_e32 v12, v11, v8
	v_mov_b32_e32 v13, s37
	v_sub_co_u32_e32 v5, vcc, v5, v7
	v_subb_co_u32_e64 v7, s[0:1], v12, v13, vcc
	v_subrev_co_u32_e64 v12, s[0:1], s36, v5
	v_subbrev_co_u32_e64 v7, s[0:1], 0, v7, s[0:1]
	v_cmp_le_u32_e64 s[0:1], s37, v7
	v_cndmask_b32_e64 v13, 0, -1, s[0:1]
	v_cmp_le_u32_e64 s[0:1], s36, v12
	v_cndmask_b32_e64 v12, 0, -1, s[0:1]
	v_cmp_eq_u32_e64 s[0:1], s37, v7
	v_cndmask_b32_e64 v7, v13, v12, s[0:1]
	v_add_co_u32_e64 v12, s[0:1], 2, v9
	v_subb_co_u32_e32 v8, vcc, v11, v8, vcc
	v_addc_co_u32_e64 v13, s[0:1], 0, v10, s[0:1]
	v_cmp_le_u32_e32 vcc, s37, v8
	v_add_co_u32_e64 v14, s[0:1], 1, v9
	v_cndmask_b32_e64 v11, 0, -1, vcc
	v_cmp_le_u32_e32 vcc, s36, v5
	v_addc_co_u32_e64 v15, s[0:1], 0, v10, s[0:1]
	v_cndmask_b32_e64 v5, 0, -1, vcc
	v_cmp_eq_u32_e32 vcc, s37, v8
	v_cmp_ne_u32_e64 s[0:1], 0, v7
	v_cndmask_b32_e32 v5, v11, v5, vcc
	v_cndmask_b32_e64 v7, v15, v13, s[0:1]
	v_cmp_ne_u32_e32 vcc, 0, v5
	v_cndmask_b32_e32 v5, v10, v7, vcc
	v_cndmask_b32_e64 v7, v14, v12, s[0:1]
	v_cndmask_b32_e32 v7, v9, v7, vcc
	v_xor_b32_e32 v7, v7, v3
	v_xor_b32_e32 v5, v5, v3
	v_sub_co_u32_e32 v8, vcc, v7, v3
	v_subb_co_u32_e32 v9, vcc, v5, v3, vcc
.LBB80_16:                              ;   in Loop: Header=BB80_14 Depth=2
	s_andn2_saveexec_b64 s[0:1], s[30:31]
	s_cbranch_execz .LBB80_18
; %bb.17:                               ;   in Loop: Header=BB80_14 Depth=2
	v_cvt_f32_u32_e32 v3, s38
	s_sub_i32 s30, 0, s38
	v_mov_b32_e32 v9, v2
	v_rcp_iflag_f32_e32 v3, v3
	v_mul_f32_e32 v3, 0x4f7ffffe, v3
	v_cvt_u32_f32_e32 v3, v3
	v_mul_lo_u32 v5, s30, v3
	v_mul_hi_u32 v5, v3, v5
	v_add_u32_e32 v3, v3, v5
	v_mul_hi_u32 v3, v6, v3
	v_mul_lo_u32 v5, v3, s38
	v_add_u32_e32 v7, 1, v3
	v_sub_u32_e32 v5, v6, v5
	v_subrev_u32_e32 v8, s38, v5
	v_cmp_le_u32_e32 vcc, s38, v5
	v_cndmask_b32_e32 v5, v5, v8, vcc
	v_cndmask_b32_e32 v3, v3, v7, vcc
	v_add_u32_e32 v7, 1, v3
	v_cmp_le_u32_e32 vcc, s38, v5
	v_cndmask_b32_e32 v8, v3, v7, vcc
.LBB80_18:                              ;   in Loop: Header=BB80_14 Depth=2
	s_or_b64 exec, exec, s[0:1]
	s_add_u32 s0, s4, s28
	s_addc_u32 s1, s5, s29
	v_mul_lo_u32 v3, v8, s38
	s_load_dword s0, s[0:1], 0x6c
	s_add_i32 s16, s16, -1
	s_add_i32 s25, s25, -1
	v_sub_u32_e32 v3, v6, v3
	s_cmp_lg_u32 s25, 0
	s_waitcnt lgkmcnt(0)
	v_mad_u64_u32 v[4:5], s[0:1], s0, v3, v[4:5]
	s_cbranch_scc0 .LBB80_20
; %bb.19:                               ;   in Loop: Header=BB80_14 Depth=2
	v_mov_b32_e32 v6, v8
	v_mov_b32_e32 v7, v9
	s_branch .LBB80_14
.LBB80_20:                              ;   in Loop: Header=BB80_3 Depth=1
	v_mov_b32_e32 v6, v8
	s_mov_b32 s0, s16
	v_mov_b32_e32 v7, v9
.LBB80_21:                              ;   in Loop: Header=BB80_3 Depth=1
	s_andn2_b64 vcc, exec, s[20:21]
	s_cbranch_vccnz .LBB80_57
; %bb.22:                               ;   in Loop: Header=BB80_3 Depth=1
	s_add_i32 s28, s0, -7
.LBB80_23:                              ;   Parent Loop BB80_3 Depth=1
                                        ; =>  This Inner Loop Header: Depth=2
	s_add_i32 s16, s28, 7
	s_lshl_b64 s[30:31], s[16:17], 2
	s_add_u32 s0, s40, s30
	s_addc_u32 s1, s41, s31
	s_load_dword s25, s[0:1], 0x8
                                        ; implicit-def: $vgpr8_vgpr9
	s_waitcnt lgkmcnt(0)
	s_ashr_i32 s0, s25, 31
	v_or_b32_e32 v3, s0, v7
	v_cmp_ne_u64_e32 vcc, 0, v[2:3]
	s_and_saveexec_b64 s[34:35], vcc
	s_xor_b64 s[34:35], exec, s[34:35]
	s_cbranch_execz .LBB80_25
; %bb.24:                               ;   in Loop: Header=BB80_23 Depth=2
	s_ashr_i32 s36, s0, 31
	s_add_u32 s38, s25, s36
	s_mov_b32 s37, s36
	s_addc_u32 s39, s0, s36
	s_xor_b64 s[38:39], s[38:39], s[36:37]
	v_cvt_f32_u32_e32 v3, s38
	v_cvt_f32_u32_e32 v5, s39
	s_sub_u32 s16, 0, s38
	s_subb_u32 s29, 0, s39
	v_mac_f32_e32 v3, 0x4f800000, v5
	v_rcp_f32_e32 v3, v3
	v_mul_f32_e32 v3, 0x5f7ffffc, v3
	v_mul_f32_e32 v5, 0x2f800000, v3
	v_trunc_f32_e32 v5, v5
	v_mac_f32_e32 v3, 0xcf800000, v5
	v_cvt_u32_f32_e32 v5, v5
	v_cvt_u32_f32_e32 v3, v3
	v_readfirstlane_b32 s37, v5
	v_readfirstlane_b32 s0, v3
	s_mul_i32 s1, s16, s37
	s_mul_hi_u32 s49, s16, s0
	s_mul_i32 s48, s29, s0
	s_add_i32 s1, s49, s1
	s_add_i32 s1, s1, s48
	s_mul_i32 s50, s16, s0
	s_mul_i32 s49, s0, s1
	s_mul_hi_u32 s51, s0, s50
	s_mul_hi_u32 s48, s0, s1
	s_add_u32 s49, s51, s49
	s_addc_u32 s48, 0, s48
	s_mul_hi_u32 s52, s37, s50
	s_mul_i32 s50, s37, s50
	s_add_u32 s49, s49, s50
	s_mul_hi_u32 s51, s37, s1
	s_addc_u32 s48, s48, s52
	s_addc_u32 s49, s51, 0
	s_mul_i32 s1, s37, s1
	s_add_u32 s1, s48, s1
	s_addc_u32 s48, 0, s49
	s_add_u32 s49, s0, s1
	s_cselect_b64 s[0:1], -1, 0
	s_cmp_lg_u64 s[0:1], 0
	s_addc_u32 s37, s37, s48
	s_mul_i32 s0, s16, s37
	s_mul_hi_u32 s1, s16, s49
	s_add_i32 s0, s1, s0
	s_mul_i32 s29, s29, s49
	s_add_i32 s0, s0, s29
	s_mul_i32 s16, s16, s49
	s_mul_hi_u32 s29, s37, s16
	s_mul_i32 s48, s37, s16
	s_mul_i32 s51, s49, s0
	s_mul_hi_u32 s16, s49, s16
	s_mul_hi_u32 s50, s49, s0
	s_add_u32 s16, s16, s51
	s_addc_u32 s50, 0, s50
	s_add_u32 s16, s16, s48
	s_mul_hi_u32 s1, s37, s0
	s_addc_u32 s16, s50, s29
	s_addc_u32 s1, s1, 0
	s_mul_i32 s0, s37, s0
	s_add_u32 s0, s16, s0
	s_addc_u32 s16, 0, s1
	s_add_u32 s29, s49, s0
	s_cselect_b64 s[0:1], -1, 0
	v_ashrrev_i32_e32 v3, 31, v7
	s_cmp_lg_u64 s[0:1], 0
	v_add_co_u32_e32 v5, vcc, v6, v3
	s_addc_u32 s16, s37, s16
	v_xor_b32_e32 v5, v5, v3
	v_addc_co_u32_e32 v9, vcc, v7, v3, vcc
	v_mad_u64_u32 v[7:8], s[0:1], v5, s16, 0
	v_mul_hi_u32 v10, v5, s29
	v_xor_b32_e32 v11, v9, v3
	v_xor_b32_e32 v3, s36, v3
	v_add_co_u32_e32 v12, vcc, v10, v7
	v_addc_co_u32_e32 v13, vcc, 0, v8, vcc
	v_mad_u64_u32 v[7:8], s[0:1], v11, s29, 0
	v_mad_u64_u32 v[9:10], s[0:1], v11, s16, 0
	v_add_co_u32_e32 v7, vcc, v12, v7
	v_addc_co_u32_e32 v7, vcc, v13, v8, vcc
	v_addc_co_u32_e32 v8, vcc, 0, v10, vcc
	v_add_co_u32_e32 v9, vcc, v7, v9
	v_addc_co_u32_e32 v10, vcc, 0, v8, vcc
	v_mul_lo_u32 v12, s39, v9
	v_mul_lo_u32 v13, s38, v10
	v_mad_u64_u32 v[7:8], s[0:1], s38, v9, 0
	v_add3_u32 v8, v8, v13, v12
	v_sub_u32_e32 v12, v11, v8
	v_mov_b32_e32 v13, s39
	v_sub_co_u32_e32 v5, vcc, v5, v7
	v_subb_co_u32_e64 v7, s[0:1], v12, v13, vcc
	v_subrev_co_u32_e64 v12, s[0:1], s38, v5
	v_subbrev_co_u32_e64 v7, s[0:1], 0, v7, s[0:1]
	v_cmp_le_u32_e64 s[0:1], s39, v7
	v_cndmask_b32_e64 v13, 0, -1, s[0:1]
	v_cmp_le_u32_e64 s[0:1], s38, v12
	v_cndmask_b32_e64 v12, 0, -1, s[0:1]
	v_cmp_eq_u32_e64 s[0:1], s39, v7
	v_cndmask_b32_e64 v7, v13, v12, s[0:1]
	v_add_co_u32_e64 v12, s[0:1], 2, v9
	v_subb_co_u32_e32 v8, vcc, v11, v8, vcc
	v_addc_co_u32_e64 v13, s[0:1], 0, v10, s[0:1]
	v_cmp_le_u32_e32 vcc, s39, v8
	v_add_co_u32_e64 v14, s[0:1], 1, v9
	v_cndmask_b32_e64 v11, 0, -1, vcc
	v_cmp_le_u32_e32 vcc, s38, v5
	v_addc_co_u32_e64 v15, s[0:1], 0, v10, s[0:1]
	v_cndmask_b32_e64 v5, 0, -1, vcc
	v_cmp_eq_u32_e32 vcc, s39, v8
	v_cmp_ne_u32_e64 s[0:1], 0, v7
	v_cndmask_b32_e32 v5, v11, v5, vcc
	v_cndmask_b32_e64 v7, v15, v13, s[0:1]
	v_cmp_ne_u32_e32 vcc, 0, v5
	v_cndmask_b32_e32 v5, v10, v7, vcc
	v_cndmask_b32_e64 v7, v14, v12, s[0:1]
	v_cndmask_b32_e32 v7, v9, v7, vcc
	v_xor_b32_e32 v7, v7, v3
	v_xor_b32_e32 v5, v5, v3
	v_sub_co_u32_e32 v8, vcc, v7, v3
	v_subb_co_u32_e32 v9, vcc, v5, v3, vcc
.LBB80_25:                              ;   in Loop: Header=BB80_23 Depth=2
	s_andn2_saveexec_b64 s[0:1], s[34:35]
	s_cbranch_execz .LBB80_27
; %bb.26:                               ;   in Loop: Header=BB80_23 Depth=2
	v_cvt_f32_u32_e32 v3, s25
	s_sub_i32 s16, 0, s25
	v_mov_b32_e32 v9, v2
	v_rcp_iflag_f32_e32 v3, v3
	v_mul_f32_e32 v3, 0x4f7ffffe, v3
	v_cvt_u32_f32_e32 v3, v3
	v_mul_lo_u32 v5, s16, v3
	v_mul_hi_u32 v5, v3, v5
	v_add_u32_e32 v3, v3, v5
	v_mul_hi_u32 v3, v6, v3
	v_mul_lo_u32 v5, v3, s25
	v_add_u32_e32 v7, 1, v3
	v_sub_u32_e32 v5, v6, v5
	v_subrev_u32_e32 v8, s25, v5
	v_cmp_le_u32_e32 vcc, s25, v5
	v_cndmask_b32_e32 v5, v5, v8, vcc
	v_cndmask_b32_e32 v3, v3, v7, vcc
	v_add_u32_e32 v7, 1, v3
	v_cmp_le_u32_e32 vcc, s25, v5
	v_cndmask_b32_e32 v8, v3, v7, vcc
.LBB80_27:                              ;   in Loop: Header=BB80_23 Depth=2
	s_or_b64 exec, exec, s[0:1]
	s_add_u32 s0, s4, s30
	s_addc_u32 s1, s5, s31
	s_add_i32 s16, s28, 6
	s_lshl_b64 s[30:31], s[16:17], 2
	s_add_u32 s34, s40, s30
	s_addc_u32 s35, s41, s31
	s_load_dword s49, s[34:35], 0x8
	s_load_dword s48, s[0:1], 0x6c
                                        ; implicit-def: $vgpr10_vgpr11
	s_waitcnt lgkmcnt(0)
	s_ashr_i32 s0, s49, 31
	v_or_b32_e32 v3, s0, v9
	v_cmp_ne_u64_e32 vcc, 0, v[2:3]
	s_and_saveexec_b64 s[34:35], vcc
	s_xor_b64 s[34:35], exec, s[34:35]
	s_cbranch_execz .LBB80_29
; %bb.28:                               ;   in Loop: Header=BB80_23 Depth=2
	s_ashr_i32 s36, s0, 31
	s_add_u32 s38, s49, s36
	s_mov_b32 s37, s36
	s_addc_u32 s39, s0, s36
	s_xor_b64 s[38:39], s[38:39], s[36:37]
	v_cvt_f32_u32_e32 v3, s38
	v_cvt_f32_u32_e32 v5, s39
	s_sub_u32 s16, 0, s38
	s_subb_u32 s29, 0, s39
	v_mac_f32_e32 v3, 0x4f800000, v5
	v_rcp_f32_e32 v3, v3
	v_mul_f32_e32 v3, 0x5f7ffffc, v3
	v_mul_f32_e32 v5, 0x2f800000, v3
	v_trunc_f32_e32 v5, v5
	v_mac_f32_e32 v3, 0xcf800000, v5
	v_cvt_u32_f32_e32 v5, v5
	v_cvt_u32_f32_e32 v3, v3
	v_readfirstlane_b32 s37, v5
	v_readfirstlane_b32 s0, v3
	s_mul_i32 s1, s16, s37
	s_mul_hi_u32 s51, s16, s0
	s_mul_i32 s50, s29, s0
	s_add_i32 s1, s51, s1
	s_add_i32 s1, s1, s50
	s_mul_i32 s52, s16, s0
	s_mul_i32 s51, s0, s1
	s_mul_hi_u32 s53, s0, s52
	s_mul_hi_u32 s50, s0, s1
	s_add_u32 s51, s53, s51
	s_addc_u32 s50, 0, s50
	s_mul_hi_u32 s54, s37, s52
	s_mul_i32 s52, s37, s52
	s_add_u32 s51, s51, s52
	s_mul_hi_u32 s53, s37, s1
	s_addc_u32 s50, s50, s54
	s_addc_u32 s51, s53, 0
	s_mul_i32 s1, s37, s1
	s_add_u32 s1, s50, s1
	s_addc_u32 s50, 0, s51
	s_add_u32 s51, s0, s1
	s_cselect_b64 s[0:1], -1, 0
	s_cmp_lg_u64 s[0:1], 0
	s_addc_u32 s37, s37, s50
	s_mul_i32 s0, s16, s37
	s_mul_hi_u32 s1, s16, s51
	s_add_i32 s0, s1, s0
	s_mul_i32 s29, s29, s51
	s_add_i32 s0, s0, s29
	s_mul_i32 s16, s16, s51
	s_mul_hi_u32 s29, s37, s16
	s_mul_i32 s50, s37, s16
	s_mul_i32 s53, s51, s0
	s_mul_hi_u32 s16, s51, s16
	s_mul_hi_u32 s52, s51, s0
	s_add_u32 s16, s16, s53
	s_addc_u32 s52, 0, s52
	s_add_u32 s16, s16, s50
	s_mul_hi_u32 s1, s37, s0
	s_addc_u32 s16, s52, s29
	s_addc_u32 s1, s1, 0
	s_mul_i32 s0, s37, s0
	s_add_u32 s0, s16, s0
	s_addc_u32 s16, 0, s1
	s_add_u32 s29, s51, s0
	s_cselect_b64 s[0:1], -1, 0
	v_ashrrev_i32_e32 v3, 31, v9
	s_cmp_lg_u64 s[0:1], 0
	v_add_co_u32_e32 v5, vcc, v8, v3
	s_addc_u32 s16, s37, s16
	v_xor_b32_e32 v5, v5, v3
	v_addc_co_u32_e32 v7, vcc, v9, v3, vcc
	v_mad_u64_u32 v[9:10], s[0:1], v5, s16, 0
	v_mul_hi_u32 v11, v5, s29
	v_xor_b32_e32 v7, v7, v3
	v_xor_b32_e32 v3, s36, v3
	v_add_co_u32_e32 v13, vcc, v11, v9
	v_addc_co_u32_e32 v14, vcc, 0, v10, vcc
	v_mad_u64_u32 v[9:10], s[0:1], v7, s29, 0
	v_mad_u64_u32 v[11:12], s[0:1], v7, s16, 0
	v_add_co_u32_e32 v9, vcc, v13, v9
	v_addc_co_u32_e32 v9, vcc, v14, v10, vcc
	v_addc_co_u32_e32 v10, vcc, 0, v12, vcc
	v_add_co_u32_e32 v11, vcc, v9, v11
	v_addc_co_u32_e32 v12, vcc, 0, v10, vcc
	v_mul_lo_u32 v13, s39, v11
	v_mul_lo_u32 v14, s38, v12
	v_mad_u64_u32 v[9:10], s[0:1], s38, v11, 0
	v_add3_u32 v10, v10, v14, v13
	v_sub_u32_e32 v13, v7, v10
	v_mov_b32_e32 v14, s39
	v_sub_co_u32_e32 v5, vcc, v5, v9
	v_subb_co_u32_e64 v9, s[0:1], v13, v14, vcc
	v_subrev_co_u32_e64 v13, s[0:1], s38, v5
	v_subbrev_co_u32_e64 v9, s[0:1], 0, v9, s[0:1]
	v_cmp_le_u32_e64 s[0:1], s39, v9
	v_cndmask_b32_e64 v14, 0, -1, s[0:1]
	v_cmp_le_u32_e64 s[0:1], s38, v13
	v_cndmask_b32_e64 v13, 0, -1, s[0:1]
	v_cmp_eq_u32_e64 s[0:1], s39, v9
	v_cndmask_b32_e64 v9, v14, v13, s[0:1]
	v_add_co_u32_e64 v13, s[0:1], 2, v11
	v_subb_co_u32_e32 v7, vcc, v7, v10, vcc
	v_addc_co_u32_e64 v14, s[0:1], 0, v12, s[0:1]
	v_cmp_le_u32_e32 vcc, s39, v7
	v_add_co_u32_e64 v15, s[0:1], 1, v11
	v_cndmask_b32_e64 v10, 0, -1, vcc
	v_cmp_le_u32_e32 vcc, s38, v5
	v_addc_co_u32_e64 v16, s[0:1], 0, v12, s[0:1]
	v_cndmask_b32_e64 v5, 0, -1, vcc
	v_cmp_eq_u32_e32 vcc, s39, v7
	v_cmp_ne_u32_e64 s[0:1], 0, v9
	v_cndmask_b32_e32 v5, v10, v5, vcc
	v_cmp_ne_u32_e32 vcc, 0, v5
	v_cndmask_b32_e64 v7, v15, v13, s[0:1]
	v_cndmask_b32_e64 v9, v16, v14, s[0:1]
	v_cndmask_b32_e32 v7, v11, v7, vcc
	v_cndmask_b32_e32 v5, v12, v9, vcc
	v_xor_b32_e32 v7, v7, v3
	v_xor_b32_e32 v5, v5, v3
	v_sub_co_u32_e32 v10, vcc, v7, v3
	v_subb_co_u32_e32 v11, vcc, v5, v3, vcc
.LBB80_29:                              ;   in Loop: Header=BB80_23 Depth=2
	s_andn2_saveexec_b64 s[0:1], s[34:35]
	s_cbranch_execz .LBB80_31
; %bb.30:                               ;   in Loop: Header=BB80_23 Depth=2
	v_cvt_f32_u32_e32 v3, s49
	s_sub_i32 s16, 0, s49
	v_mov_b32_e32 v11, v2
	v_rcp_iflag_f32_e32 v3, v3
	v_mul_f32_e32 v3, 0x4f7ffffe, v3
	v_cvt_u32_f32_e32 v3, v3
	v_mul_lo_u32 v5, s16, v3
	v_mul_hi_u32 v5, v3, v5
	v_add_u32_e32 v3, v3, v5
	v_mul_hi_u32 v3, v8, v3
	v_mul_lo_u32 v5, v3, s49
	v_add_u32_e32 v7, 1, v3
	v_sub_u32_e32 v5, v8, v5
	v_subrev_u32_e32 v9, s49, v5
	v_cmp_le_u32_e32 vcc, s49, v5
	v_cndmask_b32_e32 v5, v5, v9, vcc
	v_cndmask_b32_e32 v3, v3, v7, vcc
	v_add_u32_e32 v7, 1, v3
	v_cmp_le_u32_e32 vcc, s49, v5
	v_cndmask_b32_e32 v10, v3, v7, vcc
.LBB80_31:                              ;   in Loop: Header=BB80_23 Depth=2
	s_or_b64 exec, exec, s[0:1]
	s_add_u32 s0, s4, s30
	s_addc_u32 s1, s5, s31
	s_add_i32 s16, s28, 5
	s_lshl_b64 s[30:31], s[16:17], 2
	s_add_u32 s34, s40, s30
	s_addc_u32 s35, s41, s31
	s_load_dword s51, s[34:35], 0x8
	s_load_dword s50, s[0:1], 0x6c
                                        ; implicit-def: $vgpr12_vgpr13
	s_waitcnt lgkmcnt(0)
	s_ashr_i32 s0, s51, 31
	v_or_b32_e32 v3, s0, v11
	v_cmp_ne_u64_e32 vcc, 0, v[2:3]
	s_and_saveexec_b64 s[34:35], vcc
	s_xor_b64 s[34:35], exec, s[34:35]
	s_cbranch_execz .LBB80_33
; %bb.32:                               ;   in Loop: Header=BB80_23 Depth=2
	s_ashr_i32 s36, s0, 31
	s_add_u32 s38, s51, s36
	s_mov_b32 s37, s36
	s_addc_u32 s39, s0, s36
	s_xor_b64 s[38:39], s[38:39], s[36:37]
	v_cvt_f32_u32_e32 v3, s38
	v_cvt_f32_u32_e32 v5, s39
	s_sub_u32 s16, 0, s38
	s_subb_u32 s29, 0, s39
	v_mac_f32_e32 v3, 0x4f800000, v5
	v_rcp_f32_e32 v3, v3
	v_mul_f32_e32 v3, 0x5f7ffffc, v3
	v_mul_f32_e32 v5, 0x2f800000, v3
	v_trunc_f32_e32 v5, v5
	v_mac_f32_e32 v3, 0xcf800000, v5
	v_cvt_u32_f32_e32 v5, v5
	v_cvt_u32_f32_e32 v3, v3
	v_readfirstlane_b32 s37, v5
	v_readfirstlane_b32 s0, v3
	s_mul_i32 s1, s16, s37
	s_mul_hi_u32 s53, s16, s0
	s_mul_i32 s52, s29, s0
	s_add_i32 s1, s53, s1
	s_add_i32 s1, s1, s52
	s_mul_i32 s54, s16, s0
	s_mul_i32 s53, s0, s1
	s_mul_hi_u32 s55, s0, s54
	s_mul_hi_u32 s52, s0, s1
	s_add_u32 s53, s55, s53
	s_addc_u32 s52, 0, s52
	s_mul_hi_u32 s56, s37, s54
	s_mul_i32 s54, s37, s54
	s_add_u32 s53, s53, s54
	s_mul_hi_u32 s55, s37, s1
	s_addc_u32 s52, s52, s56
	s_addc_u32 s53, s55, 0
	s_mul_i32 s1, s37, s1
	s_add_u32 s1, s52, s1
	s_addc_u32 s52, 0, s53
	s_add_u32 s53, s0, s1
	s_cselect_b64 s[0:1], -1, 0
	s_cmp_lg_u64 s[0:1], 0
	s_addc_u32 s37, s37, s52
	s_mul_i32 s0, s16, s37
	s_mul_hi_u32 s1, s16, s53
	s_add_i32 s0, s1, s0
	s_mul_i32 s29, s29, s53
	s_add_i32 s0, s0, s29
	s_mul_i32 s16, s16, s53
	s_mul_hi_u32 s29, s37, s16
	s_mul_i32 s52, s37, s16
	s_mul_i32 s55, s53, s0
	s_mul_hi_u32 s16, s53, s16
	s_mul_hi_u32 s54, s53, s0
	s_add_u32 s16, s16, s55
	s_addc_u32 s54, 0, s54
	s_add_u32 s16, s16, s52
	s_mul_hi_u32 s1, s37, s0
	s_addc_u32 s16, s54, s29
	s_addc_u32 s1, s1, 0
	s_mul_i32 s0, s37, s0
	s_add_u32 s0, s16, s0
	s_addc_u32 s16, 0, s1
	s_add_u32 s29, s53, s0
	s_cselect_b64 s[0:1], -1, 0
	v_ashrrev_i32_e32 v3, 31, v11
	s_cmp_lg_u64 s[0:1], 0
	v_add_co_u32_e32 v5, vcc, v10, v3
	s_addc_u32 s16, s37, s16
	v_xor_b32_e32 v5, v5, v3
	v_addc_co_u32_e32 v7, vcc, v11, v3, vcc
	v_mad_u64_u32 v[11:12], s[0:1], v5, s16, 0
	v_mul_hi_u32 v9, v5, s29
	v_xor_b32_e32 v7, v7, v3
	v_mad_u64_u32 v[13:14], s[0:1], v7, s16, 0
	v_add_co_u32_e32 v9, vcc, v9, v11
	v_addc_co_u32_e32 v15, vcc, 0, v12, vcc
	v_mad_u64_u32 v[11:12], s[0:1], v7, s29, 0
	v_xor_b32_e32 v3, s36, v3
	v_add_co_u32_e32 v9, vcc, v9, v11
	v_addc_co_u32_e32 v9, vcc, v15, v12, vcc
	v_addc_co_u32_e32 v11, vcc, 0, v14, vcc
	v_add_co_u32_e32 v9, vcc, v9, v13
	v_addc_co_u32_e32 v13, vcc, 0, v11, vcc
	v_mul_lo_u32 v14, s39, v9
	v_mul_lo_u32 v15, s38, v13
	v_mad_u64_u32 v[11:12], s[0:1], s38, v9, 0
	v_add3_u32 v12, v12, v15, v14
	v_sub_u32_e32 v14, v7, v12
	v_mov_b32_e32 v15, s39
	v_sub_co_u32_e32 v5, vcc, v5, v11
	v_subb_co_u32_e64 v11, s[0:1], v14, v15, vcc
	v_subrev_co_u32_e64 v14, s[0:1], s38, v5
	v_subbrev_co_u32_e64 v11, s[0:1], 0, v11, s[0:1]
	v_cmp_le_u32_e64 s[0:1], s39, v11
	v_cndmask_b32_e64 v15, 0, -1, s[0:1]
	v_cmp_le_u32_e64 s[0:1], s38, v14
	v_cndmask_b32_e64 v14, 0, -1, s[0:1]
	v_cmp_eq_u32_e64 s[0:1], s39, v11
	v_cndmask_b32_e64 v11, v15, v14, s[0:1]
	v_add_co_u32_e64 v14, s[0:1], 2, v9
	v_subb_co_u32_e32 v7, vcc, v7, v12, vcc
	v_addc_co_u32_e64 v15, s[0:1], 0, v13, s[0:1]
	v_cmp_le_u32_e32 vcc, s39, v7
	v_add_co_u32_e64 v16, s[0:1], 1, v9
	v_cndmask_b32_e64 v12, 0, -1, vcc
	v_cmp_le_u32_e32 vcc, s38, v5
	v_addc_co_u32_e64 v17, s[0:1], 0, v13, s[0:1]
	v_cndmask_b32_e64 v5, 0, -1, vcc
	v_cmp_eq_u32_e32 vcc, s39, v7
	v_cmp_ne_u32_e64 s[0:1], 0, v11
	v_cndmask_b32_e32 v5, v12, v5, vcc
	v_cmp_ne_u32_e32 vcc, 0, v5
	v_cndmask_b32_e64 v7, v16, v14, s[0:1]
	v_cndmask_b32_e64 v11, v17, v15, s[0:1]
	v_cndmask_b32_e32 v7, v9, v7, vcc
	v_cndmask_b32_e32 v5, v13, v11, vcc
	v_xor_b32_e32 v7, v7, v3
	v_xor_b32_e32 v5, v5, v3
	v_sub_co_u32_e32 v12, vcc, v7, v3
	v_subb_co_u32_e32 v13, vcc, v5, v3, vcc
.LBB80_33:                              ;   in Loop: Header=BB80_23 Depth=2
	s_andn2_saveexec_b64 s[0:1], s[34:35]
	s_cbranch_execz .LBB80_35
; %bb.34:                               ;   in Loop: Header=BB80_23 Depth=2
	v_cvt_f32_u32_e32 v3, s51
	s_sub_i32 s16, 0, s51
	v_mov_b32_e32 v13, v2
	v_rcp_iflag_f32_e32 v3, v3
	v_mul_f32_e32 v3, 0x4f7ffffe, v3
	v_cvt_u32_f32_e32 v3, v3
	v_mul_lo_u32 v5, s16, v3
	v_mul_hi_u32 v5, v3, v5
	v_add_u32_e32 v3, v3, v5
	v_mul_hi_u32 v3, v10, v3
	v_mul_lo_u32 v5, v3, s51
	v_add_u32_e32 v7, 1, v3
	v_sub_u32_e32 v5, v10, v5
	v_subrev_u32_e32 v9, s51, v5
	v_cmp_le_u32_e32 vcc, s51, v5
	v_cndmask_b32_e32 v5, v5, v9, vcc
	v_cndmask_b32_e32 v3, v3, v7, vcc
	v_add_u32_e32 v7, 1, v3
	v_cmp_le_u32_e32 vcc, s51, v5
	v_cndmask_b32_e32 v12, v3, v7, vcc
.LBB80_35:                              ;   in Loop: Header=BB80_23 Depth=2
	s_or_b64 exec, exec, s[0:1]
	s_add_u32 s0, s4, s30
	s_addc_u32 s1, s5, s31
	s_add_i32 s16, s28, 4
	s_lshl_b64 s[30:31], s[16:17], 2
	s_add_u32 s34, s40, s30
	s_addc_u32 s35, s41, s31
	s_load_dword s53, s[34:35], 0x8
	s_load_dword s52, s[0:1], 0x6c
                                        ; implicit-def: $vgpr14_vgpr15
	s_waitcnt lgkmcnt(0)
	s_ashr_i32 s0, s53, 31
	v_or_b32_e32 v3, s0, v13
	v_cmp_ne_u64_e32 vcc, 0, v[2:3]
	s_and_saveexec_b64 s[34:35], vcc
	s_xor_b64 s[34:35], exec, s[34:35]
	s_cbranch_execz .LBB80_37
; %bb.36:                               ;   in Loop: Header=BB80_23 Depth=2
	s_ashr_i32 s36, s0, 31
	s_add_u32 s38, s53, s36
	s_mov_b32 s37, s36
	s_addc_u32 s39, s0, s36
	s_xor_b64 s[38:39], s[38:39], s[36:37]
	v_cvt_f32_u32_e32 v3, s38
	v_cvt_f32_u32_e32 v5, s39
	s_sub_u32 s16, 0, s38
	s_subb_u32 s29, 0, s39
	v_mac_f32_e32 v3, 0x4f800000, v5
	v_rcp_f32_e32 v3, v3
	v_mul_f32_e32 v3, 0x5f7ffffc, v3
	v_mul_f32_e32 v5, 0x2f800000, v3
	v_trunc_f32_e32 v5, v5
	v_mac_f32_e32 v3, 0xcf800000, v5
	v_cvt_u32_f32_e32 v5, v5
	v_cvt_u32_f32_e32 v3, v3
	v_readfirstlane_b32 s37, v5
	v_readfirstlane_b32 s0, v3
	s_mul_i32 s1, s16, s37
	s_mul_hi_u32 s55, s16, s0
	s_mul_i32 s54, s29, s0
	s_add_i32 s1, s55, s1
	s_add_i32 s1, s1, s54
	s_mul_i32 s56, s16, s0
	s_mul_i32 s55, s0, s1
	s_mul_hi_u32 s57, s0, s56
	s_mul_hi_u32 s54, s0, s1
	s_add_u32 s55, s57, s55
	s_addc_u32 s54, 0, s54
	s_mul_hi_u32 s58, s37, s56
	s_mul_i32 s56, s37, s56
	s_add_u32 s55, s55, s56
	s_mul_hi_u32 s57, s37, s1
	s_addc_u32 s54, s54, s58
	s_addc_u32 s55, s57, 0
	s_mul_i32 s1, s37, s1
	s_add_u32 s1, s54, s1
	s_addc_u32 s54, 0, s55
	s_add_u32 s55, s0, s1
	s_cselect_b64 s[0:1], -1, 0
	s_cmp_lg_u64 s[0:1], 0
	s_addc_u32 s37, s37, s54
	s_mul_i32 s0, s16, s37
	s_mul_hi_u32 s1, s16, s55
	s_add_i32 s0, s1, s0
	s_mul_i32 s29, s29, s55
	s_add_i32 s0, s0, s29
	s_mul_i32 s16, s16, s55
	s_mul_hi_u32 s29, s37, s16
	s_mul_i32 s54, s37, s16
	s_mul_i32 s57, s55, s0
	s_mul_hi_u32 s16, s55, s16
	s_mul_hi_u32 s56, s55, s0
	s_add_u32 s16, s16, s57
	s_addc_u32 s56, 0, s56
	s_add_u32 s16, s16, s54
	s_mul_hi_u32 s1, s37, s0
	s_addc_u32 s16, s56, s29
	s_addc_u32 s1, s1, 0
	s_mul_i32 s0, s37, s0
	s_add_u32 s0, s16, s0
	s_addc_u32 s16, 0, s1
	s_add_u32 s29, s55, s0
	s_cselect_b64 s[0:1], -1, 0
	v_ashrrev_i32_e32 v3, 31, v13
	s_cmp_lg_u64 s[0:1], 0
	v_add_co_u32_e32 v5, vcc, v12, v3
	s_addc_u32 s16, s37, s16
	v_xor_b32_e32 v5, v5, v3
	v_addc_co_u32_e32 v7, vcc, v13, v3, vcc
	v_mad_u64_u32 v[13:14], s[0:1], v5, s16, 0
	v_mul_hi_u32 v9, v5, s29
	v_xor_b32_e32 v7, v7, v3
	v_mad_u64_u32 v[15:16], s[0:1], v7, s16, 0
	v_add_co_u32_e32 v9, vcc, v9, v13
	v_addc_co_u32_e32 v11, vcc, 0, v14, vcc
	v_mad_u64_u32 v[13:14], s[0:1], v7, s29, 0
	v_xor_b32_e32 v3, s36, v3
	v_add_co_u32_e32 v9, vcc, v9, v13
	v_addc_co_u32_e32 v9, vcc, v11, v14, vcc
	v_addc_co_u32_e32 v11, vcc, 0, v16, vcc
	v_add_co_u32_e32 v9, vcc, v9, v15
	v_addc_co_u32_e32 v11, vcc, 0, v11, vcc
	v_mul_lo_u32 v15, s39, v9
	v_mul_lo_u32 v16, s38, v11
	v_mad_u64_u32 v[13:14], s[0:1], s38, v9, 0
	v_add3_u32 v14, v14, v16, v15
	v_sub_u32_e32 v15, v7, v14
	v_mov_b32_e32 v16, s39
	v_sub_co_u32_e32 v5, vcc, v5, v13
	v_subb_co_u32_e64 v13, s[0:1], v15, v16, vcc
	v_subrev_co_u32_e64 v15, s[0:1], s38, v5
	v_subbrev_co_u32_e64 v13, s[0:1], 0, v13, s[0:1]
	v_cmp_le_u32_e64 s[0:1], s39, v13
	v_cndmask_b32_e64 v16, 0, -1, s[0:1]
	v_cmp_le_u32_e64 s[0:1], s38, v15
	v_cndmask_b32_e64 v15, 0, -1, s[0:1]
	v_cmp_eq_u32_e64 s[0:1], s39, v13
	v_cndmask_b32_e64 v13, v16, v15, s[0:1]
	v_add_co_u32_e64 v15, s[0:1], 2, v9
	v_subb_co_u32_e32 v7, vcc, v7, v14, vcc
	v_addc_co_u32_e64 v16, s[0:1], 0, v11, s[0:1]
	v_cmp_le_u32_e32 vcc, s39, v7
	v_add_co_u32_e64 v17, s[0:1], 1, v9
	v_cndmask_b32_e64 v14, 0, -1, vcc
	v_cmp_le_u32_e32 vcc, s38, v5
	v_addc_co_u32_e64 v18, s[0:1], 0, v11, s[0:1]
	v_cndmask_b32_e64 v5, 0, -1, vcc
	v_cmp_eq_u32_e32 vcc, s39, v7
	v_cmp_ne_u32_e64 s[0:1], 0, v13
	v_cndmask_b32_e32 v5, v14, v5, vcc
	v_cmp_ne_u32_e32 vcc, 0, v5
	v_cndmask_b32_e64 v7, v17, v15, s[0:1]
	v_cndmask_b32_e64 v13, v18, v16, s[0:1]
	v_cndmask_b32_e32 v7, v9, v7, vcc
	v_cndmask_b32_e32 v5, v11, v13, vcc
	v_xor_b32_e32 v7, v7, v3
	v_xor_b32_e32 v5, v5, v3
	v_sub_co_u32_e32 v14, vcc, v7, v3
	v_subb_co_u32_e32 v15, vcc, v5, v3, vcc
.LBB80_37:                              ;   in Loop: Header=BB80_23 Depth=2
	s_andn2_saveexec_b64 s[0:1], s[34:35]
	s_cbranch_execz .LBB80_39
; %bb.38:                               ;   in Loop: Header=BB80_23 Depth=2
	v_cvt_f32_u32_e32 v3, s53
	s_sub_i32 s16, 0, s53
	v_mov_b32_e32 v15, v2
	v_rcp_iflag_f32_e32 v3, v3
	v_mul_f32_e32 v3, 0x4f7ffffe, v3
	v_cvt_u32_f32_e32 v3, v3
	v_mul_lo_u32 v5, s16, v3
	v_mul_hi_u32 v5, v3, v5
	v_add_u32_e32 v3, v3, v5
	v_mul_hi_u32 v3, v12, v3
	v_mul_lo_u32 v5, v3, s53
	v_add_u32_e32 v7, 1, v3
	v_sub_u32_e32 v5, v12, v5
	v_subrev_u32_e32 v9, s53, v5
	v_cmp_le_u32_e32 vcc, s53, v5
	v_cndmask_b32_e32 v5, v5, v9, vcc
	v_cndmask_b32_e32 v3, v3, v7, vcc
	v_add_u32_e32 v7, 1, v3
	v_cmp_le_u32_e32 vcc, s53, v5
	v_cndmask_b32_e32 v14, v3, v7, vcc
.LBB80_39:                              ;   in Loop: Header=BB80_23 Depth=2
	s_or_b64 exec, exec, s[0:1]
	s_add_u32 s0, s4, s30
	s_addc_u32 s1, s5, s31
	s_add_i32 s16, s28, 3
	s_lshl_b64 s[30:31], s[16:17], 2
	s_add_u32 s34, s40, s30
	s_addc_u32 s35, s41, s31
	s_load_dword s54, s[34:35], 0x8
	s_load_dword s55, s[0:1], 0x6c
                                        ; implicit-def: $vgpr16_vgpr17
	s_waitcnt lgkmcnt(0)
	s_ashr_i32 s0, s54, 31
	v_or_b32_e32 v3, s0, v15
	v_cmp_ne_u64_e32 vcc, 0, v[2:3]
	s_and_saveexec_b64 s[34:35], vcc
	s_xor_b64 s[34:35], exec, s[34:35]
	s_cbranch_execz .LBB80_41
; %bb.40:                               ;   in Loop: Header=BB80_23 Depth=2
	s_ashr_i32 s36, s0, 31
	s_add_u32 s38, s54, s36
	s_mov_b32 s37, s36
	s_addc_u32 s39, s0, s36
	s_xor_b64 s[38:39], s[38:39], s[36:37]
	v_cvt_f32_u32_e32 v3, s38
	v_cvt_f32_u32_e32 v5, s39
	s_sub_u32 s16, 0, s38
	s_subb_u32 s29, 0, s39
	v_mac_f32_e32 v3, 0x4f800000, v5
	v_rcp_f32_e32 v3, v3
	v_mul_f32_e32 v3, 0x5f7ffffc, v3
	v_mul_f32_e32 v5, 0x2f800000, v3
	v_trunc_f32_e32 v5, v5
	v_mac_f32_e32 v3, 0xcf800000, v5
	v_cvt_u32_f32_e32 v5, v5
	v_cvt_u32_f32_e32 v3, v3
	v_readfirstlane_b32 s37, v5
	v_readfirstlane_b32 s0, v3
	s_mul_i32 s1, s16, s37
	s_mul_hi_u32 s57, s16, s0
	s_mul_i32 s56, s29, s0
	s_add_i32 s1, s57, s1
	s_add_i32 s1, s1, s56
	s_mul_i32 s58, s16, s0
	s_mul_i32 s57, s0, s1
	s_mul_hi_u32 s59, s0, s58
	s_mul_hi_u32 s56, s0, s1
	s_add_u32 s57, s59, s57
	s_addc_u32 s56, 0, s56
	s_mul_hi_u32 s60, s37, s58
	s_mul_i32 s58, s37, s58
	s_add_u32 s57, s57, s58
	s_mul_hi_u32 s59, s37, s1
	s_addc_u32 s56, s56, s60
	s_addc_u32 s57, s59, 0
	s_mul_i32 s1, s37, s1
	s_add_u32 s1, s56, s1
	s_addc_u32 s56, 0, s57
	s_add_u32 s57, s0, s1
	s_cselect_b64 s[0:1], -1, 0
	s_cmp_lg_u64 s[0:1], 0
	s_addc_u32 s37, s37, s56
	s_mul_i32 s0, s16, s37
	s_mul_hi_u32 s1, s16, s57
	s_add_i32 s0, s1, s0
	s_mul_i32 s29, s29, s57
	s_add_i32 s0, s0, s29
	s_mul_i32 s16, s16, s57
	s_mul_hi_u32 s29, s37, s16
	s_mul_i32 s56, s37, s16
	s_mul_i32 s59, s57, s0
	s_mul_hi_u32 s16, s57, s16
	s_mul_hi_u32 s58, s57, s0
	s_add_u32 s16, s16, s59
	s_addc_u32 s58, 0, s58
	s_add_u32 s16, s16, s56
	s_mul_hi_u32 s1, s37, s0
	s_addc_u32 s16, s58, s29
	s_addc_u32 s1, s1, 0
	s_mul_i32 s0, s37, s0
	s_add_u32 s0, s16, s0
	s_addc_u32 s16, 0, s1
	s_add_u32 s29, s57, s0
	s_cselect_b64 s[0:1], -1, 0
	v_ashrrev_i32_e32 v3, 31, v15
	s_cmp_lg_u64 s[0:1], 0
	v_add_co_u32_e32 v5, vcc, v14, v3
	s_addc_u32 s16, s37, s16
	v_xor_b32_e32 v5, v5, v3
	v_addc_co_u32_e32 v7, vcc, v15, v3, vcc
	v_mad_u64_u32 v[15:16], s[0:1], v5, s16, 0
	v_mul_hi_u32 v9, v5, s29
	v_xor_b32_e32 v7, v7, v3
	v_mad_u64_u32 v[17:18], s[0:1], v7, s16, 0
	v_add_co_u32_e32 v9, vcc, v9, v15
	v_addc_co_u32_e32 v11, vcc, 0, v16, vcc
	v_mad_u64_u32 v[15:16], s[0:1], v7, s29, 0
	v_xor_b32_e32 v3, s36, v3
	v_add_co_u32_e32 v9, vcc, v9, v15
	v_addc_co_u32_e32 v9, vcc, v11, v16, vcc
	v_addc_co_u32_e32 v11, vcc, 0, v18, vcc
	v_add_co_u32_e32 v9, vcc, v9, v17
	v_addc_co_u32_e32 v11, vcc, 0, v11, vcc
	v_mul_lo_u32 v13, s39, v9
	v_mul_lo_u32 v17, s38, v11
	v_mad_u64_u32 v[15:16], s[0:1], s38, v9, 0
	v_add3_u32 v13, v16, v17, v13
	v_sub_u32_e32 v16, v7, v13
	v_mov_b32_e32 v17, s39
	v_sub_co_u32_e32 v5, vcc, v5, v15
	v_subb_co_u32_e64 v15, s[0:1], v16, v17, vcc
	v_subrev_co_u32_e64 v16, s[0:1], s38, v5
	v_subbrev_co_u32_e64 v15, s[0:1], 0, v15, s[0:1]
	v_cmp_le_u32_e64 s[0:1], s39, v15
	v_cndmask_b32_e64 v17, 0, -1, s[0:1]
	v_cmp_le_u32_e64 s[0:1], s38, v16
	v_cndmask_b32_e64 v16, 0, -1, s[0:1]
	v_cmp_eq_u32_e64 s[0:1], s39, v15
	v_cndmask_b32_e64 v15, v17, v16, s[0:1]
	v_add_co_u32_e64 v16, s[0:1], 2, v9
	v_subb_co_u32_e32 v7, vcc, v7, v13, vcc
	v_addc_co_u32_e64 v17, s[0:1], 0, v11, s[0:1]
	v_cmp_le_u32_e32 vcc, s39, v7
	v_add_co_u32_e64 v18, s[0:1], 1, v9
	v_cndmask_b32_e64 v13, 0, -1, vcc
	v_cmp_le_u32_e32 vcc, s38, v5
	v_addc_co_u32_e64 v19, s[0:1], 0, v11, s[0:1]
	v_cndmask_b32_e64 v5, 0, -1, vcc
	v_cmp_eq_u32_e32 vcc, s39, v7
	v_cmp_ne_u32_e64 s[0:1], 0, v15
	v_cndmask_b32_e32 v5, v13, v5, vcc
	v_cmp_ne_u32_e32 vcc, 0, v5
	v_cndmask_b32_e64 v7, v18, v16, s[0:1]
	v_cndmask_b32_e64 v15, v19, v17, s[0:1]
	v_cndmask_b32_e32 v7, v9, v7, vcc
	v_cndmask_b32_e32 v5, v11, v15, vcc
	v_xor_b32_e32 v7, v7, v3
	v_xor_b32_e32 v5, v5, v3
	v_sub_co_u32_e32 v16, vcc, v7, v3
	v_subb_co_u32_e32 v17, vcc, v5, v3, vcc
.LBB80_41:                              ;   in Loop: Header=BB80_23 Depth=2
	s_andn2_saveexec_b64 s[0:1], s[34:35]
	s_cbranch_execz .LBB80_43
; %bb.42:                               ;   in Loop: Header=BB80_23 Depth=2
	v_cvt_f32_u32_e32 v3, s54
	s_sub_i32 s16, 0, s54
	v_mov_b32_e32 v17, v2
	v_rcp_iflag_f32_e32 v3, v3
	v_mul_f32_e32 v3, 0x4f7ffffe, v3
	v_cvt_u32_f32_e32 v3, v3
	v_mul_lo_u32 v5, s16, v3
	v_mul_hi_u32 v5, v3, v5
	v_add_u32_e32 v3, v3, v5
	v_mul_hi_u32 v3, v14, v3
	v_mul_lo_u32 v5, v3, s54
	v_add_u32_e32 v7, 1, v3
	v_sub_u32_e32 v5, v14, v5
	v_subrev_u32_e32 v9, s54, v5
	v_cmp_le_u32_e32 vcc, s54, v5
	v_cndmask_b32_e32 v5, v5, v9, vcc
	v_cndmask_b32_e32 v3, v3, v7, vcc
	v_add_u32_e32 v7, 1, v3
	v_cmp_le_u32_e32 vcc, s54, v5
	v_cndmask_b32_e32 v16, v3, v7, vcc
.LBB80_43:                              ;   in Loop: Header=BB80_23 Depth=2
	s_or_b64 exec, exec, s[0:1]
	s_add_u32 s0, s4, s30
	s_addc_u32 s1, s5, s31
	s_add_i32 s16, s28, 2
	s_lshl_b64 s[30:31], s[16:17], 2
	s_add_u32 s34, s40, s30
	s_addc_u32 s35, s41, s31
	s_load_dword s57, s[34:35], 0x8
	s_load_dword s56, s[0:1], 0x6c
                                        ; implicit-def: $vgpr18_vgpr19
	s_waitcnt lgkmcnt(0)
	s_ashr_i32 s0, s57, 31
	v_or_b32_e32 v3, s0, v17
	v_cmp_ne_u64_e32 vcc, 0, v[2:3]
	s_and_saveexec_b64 s[34:35], vcc
	s_xor_b64 s[34:35], exec, s[34:35]
	s_cbranch_execz .LBB80_45
; %bb.44:                               ;   in Loop: Header=BB80_23 Depth=2
	s_ashr_i32 s36, s0, 31
	s_add_u32 s38, s57, s36
	s_mov_b32 s37, s36
	s_addc_u32 s39, s0, s36
	s_xor_b64 s[38:39], s[38:39], s[36:37]
	v_cvt_f32_u32_e32 v3, s38
	v_cvt_f32_u32_e32 v5, s39
	s_sub_u32 s16, 0, s38
	s_subb_u32 s29, 0, s39
	v_mac_f32_e32 v3, 0x4f800000, v5
	v_rcp_f32_e32 v3, v3
	v_mul_f32_e32 v3, 0x5f7ffffc, v3
	v_mul_f32_e32 v5, 0x2f800000, v3
	v_trunc_f32_e32 v5, v5
	v_mac_f32_e32 v3, 0xcf800000, v5
	v_cvt_u32_f32_e32 v5, v5
	v_cvt_u32_f32_e32 v3, v3
	v_readfirstlane_b32 s37, v5
	v_readfirstlane_b32 s0, v3
	s_mul_i32 s1, s16, s37
	s_mul_hi_u32 s59, s16, s0
	s_mul_i32 s58, s29, s0
	s_add_i32 s1, s59, s1
	s_add_i32 s1, s1, s58
	s_mul_i32 s60, s16, s0
	s_mul_i32 s59, s0, s1
	s_mul_hi_u32 s61, s0, s60
	s_mul_hi_u32 s58, s0, s1
	s_add_u32 s59, s61, s59
	s_addc_u32 s58, 0, s58
	s_mul_hi_u32 s62, s37, s60
	s_mul_i32 s60, s37, s60
	s_add_u32 s59, s59, s60
	s_mul_hi_u32 s61, s37, s1
	s_addc_u32 s58, s58, s62
	s_addc_u32 s59, s61, 0
	s_mul_i32 s1, s37, s1
	s_add_u32 s1, s58, s1
	s_addc_u32 s58, 0, s59
	s_add_u32 s59, s0, s1
	s_cselect_b64 s[0:1], -1, 0
	s_cmp_lg_u64 s[0:1], 0
	s_addc_u32 s37, s37, s58
	s_mul_i32 s0, s16, s37
	s_mul_hi_u32 s1, s16, s59
	s_add_i32 s0, s1, s0
	s_mul_i32 s29, s29, s59
	s_add_i32 s0, s0, s29
	s_mul_i32 s16, s16, s59
	s_mul_hi_u32 s29, s37, s16
	s_mul_i32 s58, s37, s16
	s_mul_i32 s61, s59, s0
	s_mul_hi_u32 s16, s59, s16
	s_mul_hi_u32 s60, s59, s0
	s_add_u32 s16, s16, s61
	s_addc_u32 s60, 0, s60
	s_add_u32 s16, s16, s58
	s_mul_hi_u32 s1, s37, s0
	s_addc_u32 s16, s60, s29
	s_addc_u32 s1, s1, 0
	s_mul_i32 s0, s37, s0
	s_add_u32 s0, s16, s0
	s_addc_u32 s16, 0, s1
	s_add_u32 s29, s59, s0
	s_cselect_b64 s[0:1], -1, 0
	v_ashrrev_i32_e32 v3, 31, v17
	s_cmp_lg_u64 s[0:1], 0
	v_add_co_u32_e32 v5, vcc, v16, v3
	s_addc_u32 s16, s37, s16
	v_xor_b32_e32 v5, v5, v3
	v_addc_co_u32_e32 v7, vcc, v17, v3, vcc
	v_mad_u64_u32 v[17:18], s[0:1], v5, s16, 0
	v_mul_hi_u32 v9, v5, s29
	v_xor_b32_e32 v7, v7, v3
	v_mad_u64_u32 v[19:20], s[0:1], v7, s16, 0
	v_add_co_u32_e32 v9, vcc, v9, v17
	v_addc_co_u32_e32 v11, vcc, 0, v18, vcc
	v_mad_u64_u32 v[17:18], s[0:1], v7, s29, 0
	v_xor_b32_e32 v3, s36, v3
	v_add_co_u32_e32 v9, vcc, v9, v17
	v_addc_co_u32_e32 v9, vcc, v11, v18, vcc
	v_addc_co_u32_e32 v11, vcc, 0, v20, vcc
	v_add_co_u32_e32 v9, vcc, v9, v19
	v_addc_co_u32_e32 v11, vcc, 0, v11, vcc
	v_mul_lo_u32 v13, s39, v9
	v_mul_lo_u32 v15, s38, v11
	v_mad_u64_u32 v[17:18], s[0:1], s38, v9, 0
	v_add3_u32 v13, v18, v15, v13
	v_sub_u32_e32 v15, v7, v13
	v_mov_b32_e32 v18, s39
	v_sub_co_u32_e32 v5, vcc, v5, v17
	v_subb_co_u32_e64 v15, s[0:1], v15, v18, vcc
	v_subrev_co_u32_e64 v17, s[0:1], s38, v5
	v_subbrev_co_u32_e64 v15, s[0:1], 0, v15, s[0:1]
	v_cmp_le_u32_e64 s[0:1], s39, v15
	v_cndmask_b32_e64 v18, 0, -1, s[0:1]
	v_cmp_le_u32_e64 s[0:1], s38, v17
	v_cndmask_b32_e64 v17, 0, -1, s[0:1]
	v_cmp_eq_u32_e64 s[0:1], s39, v15
	v_cndmask_b32_e64 v15, v18, v17, s[0:1]
	v_add_co_u32_e64 v17, s[0:1], 2, v9
	v_subb_co_u32_e32 v7, vcc, v7, v13, vcc
	v_addc_co_u32_e64 v18, s[0:1], 0, v11, s[0:1]
	v_cmp_le_u32_e32 vcc, s39, v7
	v_add_co_u32_e64 v19, s[0:1], 1, v9
	v_cndmask_b32_e64 v13, 0, -1, vcc
	v_cmp_le_u32_e32 vcc, s38, v5
	v_addc_co_u32_e64 v20, s[0:1], 0, v11, s[0:1]
	v_cndmask_b32_e64 v5, 0, -1, vcc
	v_cmp_eq_u32_e32 vcc, s39, v7
	v_cmp_ne_u32_e64 s[0:1], 0, v15
	v_cndmask_b32_e32 v5, v13, v5, vcc
	v_cmp_ne_u32_e32 vcc, 0, v5
	v_cndmask_b32_e64 v7, v19, v17, s[0:1]
	v_cndmask_b32_e64 v15, v20, v18, s[0:1]
	v_cndmask_b32_e32 v7, v9, v7, vcc
	v_cndmask_b32_e32 v5, v11, v15, vcc
	v_xor_b32_e32 v7, v7, v3
	v_xor_b32_e32 v5, v5, v3
	v_sub_co_u32_e32 v18, vcc, v7, v3
	v_subb_co_u32_e32 v19, vcc, v5, v3, vcc
.LBB80_45:                              ;   in Loop: Header=BB80_23 Depth=2
	s_andn2_saveexec_b64 s[0:1], s[34:35]
	s_cbranch_execz .LBB80_47
; %bb.46:                               ;   in Loop: Header=BB80_23 Depth=2
	v_cvt_f32_u32_e32 v3, s57
	s_sub_i32 s16, 0, s57
	v_mov_b32_e32 v19, v2
	v_rcp_iflag_f32_e32 v3, v3
	v_mul_f32_e32 v3, 0x4f7ffffe, v3
	v_cvt_u32_f32_e32 v3, v3
	v_mul_lo_u32 v5, s16, v3
	v_mul_hi_u32 v5, v3, v5
	v_add_u32_e32 v3, v3, v5
	v_mul_hi_u32 v3, v16, v3
	v_mul_lo_u32 v5, v3, s57
	v_add_u32_e32 v7, 1, v3
	v_sub_u32_e32 v5, v16, v5
	v_subrev_u32_e32 v9, s57, v5
	v_cmp_le_u32_e32 vcc, s57, v5
	v_cndmask_b32_e32 v5, v5, v9, vcc
	v_cndmask_b32_e32 v3, v3, v7, vcc
	v_add_u32_e32 v7, 1, v3
	v_cmp_le_u32_e32 vcc, s57, v5
	v_cndmask_b32_e32 v18, v3, v7, vcc
.LBB80_47:                              ;   in Loop: Header=BB80_23 Depth=2
	s_or_b64 exec, exec, s[0:1]
	s_add_u32 s0, s4, s30
	s_addc_u32 s1, s5, s31
	s_add_i32 s16, s28, 1
	s_lshl_b64 s[30:31], s[16:17], 2
	s_add_u32 s34, s40, s30
	s_addc_u32 s35, s41, s31
	s_load_dword s58, s[34:35], 0x8
	s_load_dword s16, s[0:1], 0x6c
                                        ; implicit-def: $vgpr20_vgpr21
	s_waitcnt lgkmcnt(0)
	s_ashr_i32 s0, s58, 31
	v_or_b32_e32 v3, s0, v19
	v_cmp_ne_u64_e32 vcc, 0, v[2:3]
	s_and_saveexec_b64 s[34:35], vcc
	s_xor_b64 s[34:35], exec, s[34:35]
	s_cbranch_execz .LBB80_49
; %bb.48:                               ;   in Loop: Header=BB80_23 Depth=2
	s_ashr_i32 s36, s0, 31
	s_add_u32 s38, s58, s36
	s_mov_b32 s37, s36
	s_addc_u32 s39, s0, s36
	s_xor_b64 s[38:39], s[38:39], s[36:37]
	v_cvt_f32_u32_e32 v3, s38
	v_cvt_f32_u32_e32 v5, s39
	s_sub_u32 s29, 0, s38
	s_subb_u32 s37, 0, s39
	v_mov_b32_e32 v17, s39
	v_mac_f32_e32 v3, 0x4f800000, v5
	v_rcp_f32_e32 v3, v3
	v_mul_f32_e32 v3, 0x5f7ffffc, v3
	v_mul_f32_e32 v5, 0x2f800000, v3
	v_trunc_f32_e32 v5, v5
	v_mac_f32_e32 v3, 0xcf800000, v5
	v_cvt_u32_f32_e32 v5, v5
	v_cvt_u32_f32_e32 v3, v3
	v_readfirstlane_b32 s59, v5
	v_readfirstlane_b32 s0, v3
	s_mul_i32 s1, s29, s59
	s_mul_hi_u32 s61, s29, s0
	s_mul_i32 s60, s37, s0
	s_add_i32 s1, s61, s1
	s_add_i32 s1, s1, s60
	s_mul_i32 s62, s29, s0
	s_mul_i32 s61, s0, s1
	s_mul_hi_u32 s63, s0, s62
	s_mul_hi_u32 s60, s0, s1
	s_add_u32 s61, s63, s61
	s_addc_u32 s60, 0, s60
	s_mul_hi_u32 s64, s59, s62
	s_mul_i32 s62, s59, s62
	s_add_u32 s61, s61, s62
	s_mul_hi_u32 s63, s59, s1
	s_addc_u32 s60, s60, s64
	s_addc_u32 s61, s63, 0
	s_mul_i32 s1, s59, s1
	s_add_u32 s1, s60, s1
	s_addc_u32 s60, 0, s61
	s_add_u32 s61, s0, s1
	s_cselect_b64 s[0:1], -1, 0
	s_cmp_lg_u64 s[0:1], 0
	s_addc_u32 s59, s59, s60
	s_mul_i32 s0, s29, s59
	s_mul_hi_u32 s1, s29, s61
	s_add_i32 s0, s1, s0
	s_mul_i32 s37, s37, s61
	s_add_i32 s0, s0, s37
	s_mul_i32 s29, s29, s61
	s_mul_hi_u32 s37, s59, s29
	s_mul_i32 s60, s59, s29
	s_mul_i32 s63, s61, s0
	s_mul_hi_u32 s29, s61, s29
	s_mul_hi_u32 s62, s61, s0
	s_add_u32 s29, s29, s63
	s_addc_u32 s62, 0, s62
	s_add_u32 s29, s29, s60
	s_mul_hi_u32 s1, s59, s0
	s_addc_u32 s29, s62, s37
	s_addc_u32 s1, s1, 0
	s_mul_i32 s0, s59, s0
	s_add_u32 s0, s29, s0
	s_addc_u32 s29, 0, s1
	s_add_u32 s37, s61, s0
	s_cselect_b64 s[0:1], -1, 0
	v_ashrrev_i32_e32 v3, 31, v19
	s_cmp_lg_u64 s[0:1], 0
	v_add_co_u32_e32 v5, vcc, v18, v3
	s_addc_u32 s29, s59, s29
	v_xor_b32_e32 v5, v5, v3
	v_addc_co_u32_e32 v7, vcc, v19, v3, vcc
	v_mad_u64_u32 v[19:20], s[0:1], v5, s29, 0
	v_mul_hi_u32 v9, v5, s37
	v_xor_b32_e32 v7, v7, v3
	v_mad_u64_u32 v[21:22], s[0:1], v7, s29, 0
	v_add_co_u32_e32 v9, vcc, v9, v19
	v_addc_co_u32_e32 v11, vcc, 0, v20, vcc
	v_mad_u64_u32 v[19:20], s[0:1], v7, s37, 0
	v_xor_b32_e32 v3, s36, v3
	v_add_co_u32_e32 v9, vcc, v9, v19
	v_addc_co_u32_e32 v9, vcc, v11, v20, vcc
	v_addc_co_u32_e32 v11, vcc, 0, v22, vcc
	v_add_co_u32_e32 v9, vcc, v9, v21
	v_addc_co_u32_e32 v11, vcc, 0, v11, vcc
	v_mul_lo_u32 v13, s39, v9
	v_mul_lo_u32 v15, s38, v11
	v_mad_u64_u32 v[19:20], s[0:1], s38, v9, 0
	v_add3_u32 v13, v20, v15, v13
	v_sub_u32_e32 v15, v7, v13
	v_sub_co_u32_e32 v5, vcc, v5, v19
	v_subb_co_u32_e64 v15, s[0:1], v15, v17, vcc
	v_subrev_co_u32_e64 v17, s[0:1], s38, v5
	v_subbrev_co_u32_e64 v15, s[0:1], 0, v15, s[0:1]
	v_cmp_le_u32_e64 s[0:1], s39, v15
	v_cndmask_b32_e64 v19, 0, -1, s[0:1]
	v_cmp_le_u32_e64 s[0:1], s38, v17
	v_cndmask_b32_e64 v17, 0, -1, s[0:1]
	v_cmp_eq_u32_e64 s[0:1], s39, v15
	v_cndmask_b32_e64 v15, v19, v17, s[0:1]
	v_add_co_u32_e64 v17, s[0:1], 2, v9
	v_subb_co_u32_e32 v7, vcc, v7, v13, vcc
	v_addc_co_u32_e64 v19, s[0:1], 0, v11, s[0:1]
	v_cmp_le_u32_e32 vcc, s39, v7
	v_add_co_u32_e64 v20, s[0:1], 1, v9
	v_cndmask_b32_e64 v13, 0, -1, vcc
	v_cmp_le_u32_e32 vcc, s38, v5
	v_addc_co_u32_e64 v21, s[0:1], 0, v11, s[0:1]
	v_cndmask_b32_e64 v5, 0, -1, vcc
	v_cmp_eq_u32_e32 vcc, s39, v7
	v_cmp_ne_u32_e64 s[0:1], 0, v15
	v_cndmask_b32_e32 v5, v13, v5, vcc
	v_cmp_ne_u32_e32 vcc, 0, v5
	v_cndmask_b32_e64 v7, v20, v17, s[0:1]
	v_cndmask_b32_e64 v15, v21, v19, s[0:1]
	v_cndmask_b32_e32 v7, v9, v7, vcc
	v_cndmask_b32_e32 v5, v11, v15, vcc
	v_xor_b32_e32 v7, v7, v3
	v_xor_b32_e32 v5, v5, v3
	v_sub_co_u32_e32 v20, vcc, v7, v3
	v_subb_co_u32_e32 v21, vcc, v5, v3, vcc
.LBB80_49:                              ;   in Loop: Header=BB80_23 Depth=2
	s_andn2_saveexec_b64 s[0:1], s[34:35]
	s_cbranch_execz .LBB80_51
; %bb.50:                               ;   in Loop: Header=BB80_23 Depth=2
	v_cvt_f32_u32_e32 v3, s58
	s_sub_i32 s29, 0, s58
	v_mov_b32_e32 v21, v2
	v_rcp_iflag_f32_e32 v3, v3
	v_mul_f32_e32 v3, 0x4f7ffffe, v3
	v_cvt_u32_f32_e32 v3, v3
	v_mul_lo_u32 v5, s29, v3
	v_mul_hi_u32 v5, v3, v5
	v_add_u32_e32 v3, v3, v5
	v_mul_hi_u32 v3, v18, v3
	v_mul_lo_u32 v5, v3, s58
	v_add_u32_e32 v7, 1, v3
	v_sub_u32_e32 v5, v18, v5
	v_subrev_u32_e32 v9, s58, v5
	v_cmp_le_u32_e32 vcc, s58, v5
	v_cndmask_b32_e32 v5, v5, v9, vcc
	v_cndmask_b32_e32 v3, v3, v7, vcc
	v_add_u32_e32 v7, 1, v3
	v_cmp_le_u32_e32 vcc, s58, v5
	v_cndmask_b32_e32 v20, v3, v7, vcc
.LBB80_51:                              ;   in Loop: Header=BB80_23 Depth=2
	s_or_b64 exec, exec, s[0:1]
	s_add_u32 s0, s4, s30
	s_mov_b32 s29, s17
	s_addc_u32 s1, s5, s31
	s_lshl_b64 s[30:31], s[28:29], 2
	s_add_u32 s34, s40, s30
	s_addc_u32 s35, s41, s31
	s_load_dword s59, s[34:35], 0x8
	s_load_dword s29, s[0:1], 0x6c
                                        ; implicit-def: $vgpr22_vgpr23
	s_waitcnt lgkmcnt(0)
	s_ashr_i32 s0, s59, 31
	v_or_b32_e32 v3, s0, v21
	v_cmp_ne_u64_e32 vcc, 0, v[2:3]
	s_and_saveexec_b64 s[34:35], vcc
	s_xor_b64 s[34:35], exec, s[34:35]
	s_cbranch_execz .LBB80_53
; %bb.52:                               ;   in Loop: Header=BB80_23 Depth=2
	s_ashr_i32 s36, s0, 31
	s_add_u32 s38, s59, s36
	s_mov_b32 s37, s36
	s_addc_u32 s39, s0, s36
	s_xor_b64 s[38:39], s[38:39], s[36:37]
	v_cvt_f32_u32_e32 v3, s38
	v_cvt_f32_u32_e32 v5, s39
	s_sub_u32 s37, 0, s38
	s_subb_u32 s60, 0, s39
	v_mov_b32_e32 v17, s39
	v_mac_f32_e32 v3, 0x4f800000, v5
	v_rcp_f32_e32 v3, v3
	v_mul_f32_e32 v3, 0x5f7ffffc, v3
	v_mul_f32_e32 v5, 0x2f800000, v3
	v_trunc_f32_e32 v5, v5
	v_mac_f32_e32 v3, 0xcf800000, v5
	v_cvt_u32_f32_e32 v5, v5
	v_cvt_u32_f32_e32 v3, v3
	v_readfirstlane_b32 s61, v5
	v_readfirstlane_b32 s0, v3
	s_mul_i32 s1, s37, s61
	s_mul_hi_u32 s63, s37, s0
	s_mul_i32 s62, s60, s0
	s_add_i32 s1, s63, s1
	s_add_i32 s1, s1, s62
	s_mul_i32 s64, s37, s0
	s_mul_i32 s63, s0, s1
	s_mul_hi_u32 s65, s0, s64
	s_mul_hi_u32 s62, s0, s1
	s_add_u32 s63, s65, s63
	s_addc_u32 s62, 0, s62
	s_mul_hi_u32 s66, s61, s64
	s_mul_i32 s64, s61, s64
	s_add_u32 s63, s63, s64
	s_mul_hi_u32 s65, s61, s1
	s_addc_u32 s62, s62, s66
	s_addc_u32 s63, s65, 0
	s_mul_i32 s1, s61, s1
	s_add_u32 s1, s62, s1
	s_addc_u32 s62, 0, s63
	s_add_u32 s63, s0, s1
	s_cselect_b64 s[0:1], -1, 0
	s_cmp_lg_u64 s[0:1], 0
	s_addc_u32 s61, s61, s62
	s_mul_i32 s0, s37, s61
	s_mul_hi_u32 s1, s37, s63
	s_add_i32 s0, s1, s0
	s_mul_i32 s60, s60, s63
	s_add_i32 s0, s0, s60
	s_mul_i32 s37, s37, s63
	s_mul_hi_u32 s60, s61, s37
	s_mul_i32 s62, s61, s37
	s_mul_i32 s65, s63, s0
	s_mul_hi_u32 s37, s63, s37
	s_mul_hi_u32 s64, s63, s0
	s_add_u32 s37, s37, s65
	s_addc_u32 s64, 0, s64
	s_add_u32 s37, s37, s62
	s_mul_hi_u32 s1, s61, s0
	s_addc_u32 s37, s64, s60
	s_addc_u32 s1, s1, 0
	s_mul_i32 s0, s61, s0
	s_add_u32 s0, s37, s0
	s_addc_u32 s37, 0, s1
	s_add_u32 s60, s63, s0
	s_cselect_b64 s[0:1], -1, 0
	v_ashrrev_i32_e32 v3, 31, v21
	s_cmp_lg_u64 s[0:1], 0
	v_add_co_u32_e32 v5, vcc, v20, v3
	s_addc_u32 s37, s61, s37
	v_xor_b32_e32 v5, v5, v3
	v_addc_co_u32_e32 v7, vcc, v21, v3, vcc
	v_mad_u64_u32 v[21:22], s[0:1], v5, s37, 0
	v_mul_hi_u32 v9, v5, s60
	v_xor_b32_e32 v7, v7, v3
	v_mad_u64_u32 v[25:26], s[0:1], v7, s37, 0
	v_add_co_u32_e32 v9, vcc, v9, v21
	v_addc_co_u32_e32 v11, vcc, 0, v22, vcc
	v_mad_u64_u32 v[21:22], s[0:1], v7, s60, 0
	v_xor_b32_e32 v3, s36, v3
	v_add_co_u32_e32 v9, vcc, v9, v21
	v_addc_co_u32_e32 v9, vcc, v11, v22, vcc
	v_addc_co_u32_e32 v11, vcc, 0, v26, vcc
	v_add_co_u32_e32 v9, vcc, v9, v25
	v_addc_co_u32_e32 v11, vcc, 0, v11, vcc
	v_mul_lo_u32 v13, s39, v9
	v_mul_lo_u32 v15, s38, v11
	v_mad_u64_u32 v[21:22], s[0:1], s38, v9, 0
	v_add3_u32 v13, v22, v15, v13
	v_sub_u32_e32 v15, v7, v13
	v_sub_co_u32_e32 v5, vcc, v5, v21
	v_subb_co_u32_e64 v15, s[0:1], v15, v17, vcc
	v_subrev_co_u32_e64 v17, s[0:1], s38, v5
	v_subbrev_co_u32_e64 v15, s[0:1], 0, v15, s[0:1]
	v_cmp_le_u32_e64 s[0:1], s39, v15
	v_cndmask_b32_e64 v19, 0, -1, s[0:1]
	v_cmp_le_u32_e64 s[0:1], s38, v17
	v_cndmask_b32_e64 v17, 0, -1, s[0:1]
	v_cmp_eq_u32_e64 s[0:1], s39, v15
	v_cndmask_b32_e64 v15, v19, v17, s[0:1]
	v_add_co_u32_e64 v17, s[0:1], 2, v9
	v_subb_co_u32_e32 v7, vcc, v7, v13, vcc
	v_addc_co_u32_e64 v19, s[0:1], 0, v11, s[0:1]
	v_cmp_le_u32_e32 vcc, s39, v7
	v_add_co_u32_e64 v21, s[0:1], 1, v9
	v_cndmask_b32_e64 v13, 0, -1, vcc
	v_cmp_le_u32_e32 vcc, s38, v5
	v_addc_co_u32_e64 v22, s[0:1], 0, v11, s[0:1]
	v_cndmask_b32_e64 v5, 0, -1, vcc
	v_cmp_eq_u32_e32 vcc, s39, v7
	v_cmp_ne_u32_e64 s[0:1], 0, v15
	v_cndmask_b32_e32 v5, v13, v5, vcc
	v_cmp_ne_u32_e32 vcc, 0, v5
	v_cndmask_b32_e64 v7, v21, v17, s[0:1]
	v_cndmask_b32_e64 v15, v22, v19, s[0:1]
	v_cndmask_b32_e32 v7, v9, v7, vcc
	v_cndmask_b32_e32 v5, v11, v15, vcc
	v_xor_b32_e32 v7, v7, v3
	v_xor_b32_e32 v5, v5, v3
	v_sub_co_u32_e32 v22, vcc, v7, v3
	v_subb_co_u32_e32 v23, vcc, v5, v3, vcc
.LBB80_53:                              ;   in Loop: Header=BB80_23 Depth=2
	s_andn2_saveexec_b64 s[0:1], s[34:35]
	s_cbranch_execz .LBB80_55
; %bb.54:                               ;   in Loop: Header=BB80_23 Depth=2
	v_cvt_f32_u32_e32 v3, s59
	s_sub_i32 s34, 0, s59
	v_mov_b32_e32 v23, v2
	v_rcp_iflag_f32_e32 v3, v3
	v_mul_f32_e32 v3, 0x4f7ffffe, v3
	v_cvt_u32_f32_e32 v3, v3
	v_mul_lo_u32 v5, s34, v3
	v_mul_hi_u32 v5, v3, v5
	v_add_u32_e32 v3, v3, v5
	v_mul_hi_u32 v3, v20, v3
	v_mul_lo_u32 v5, v3, s59
	v_add_u32_e32 v7, 1, v3
	v_sub_u32_e32 v5, v20, v5
	v_subrev_u32_e32 v9, s59, v5
	v_cmp_le_u32_e32 vcc, s59, v5
	v_cndmask_b32_e32 v5, v5, v9, vcc
	v_cndmask_b32_e32 v3, v3, v7, vcc
	v_add_u32_e32 v7, 1, v3
	v_cmp_le_u32_e32 vcc, s59, v5
	v_cndmask_b32_e32 v22, v3, v7, vcc
.LBB80_55:                              ;   in Loop: Header=BB80_23 Depth=2
	s_or_b64 exec, exec, s[0:1]
	v_mul_lo_u32 v3, v8, s25
	v_mul_lo_u32 v5, v10, s49
	;; [unrolled: 1-line block ×3, first 2 shown]
	s_add_u32 s0, s4, s30
	v_sub_u32_e32 v3, v6, v3
	v_mul_lo_u32 v6, v12, s51
	v_sub_u32_e32 v5, v8, v5
	v_mul_lo_u32 v3, s48, v3
	v_mul_lo_u32 v5, s50, v5
	v_sub_u32_e32 v6, v10, v6
	v_sub_u32_e32 v7, v12, v7
	v_mul_lo_u32 v6, s52, v6
	v_mul_lo_u32 v7, s55, v7
	;; [unrolled: 1-line block ×3, first 2 shown]
	v_add3_u32 v3, v3, v4, v5
	v_mul_lo_u32 v4, v18, s57
	s_addc_u32 s1, s5, s31
	v_add3_u32 v3, v6, v3, v7
	v_mul_lo_u32 v6, v20, s58
	v_mul_lo_u32 v7, v22, s59
	s_load_dword s0, s[0:1], 0x6c
	v_sub_u32_e32 v5, v14, v8
	v_sub_u32_e32 v4, v16, v4
	v_mul_lo_u32 v5, s56, v5
	v_mul_lo_u32 v4, s16, v4
	v_sub_u32_e32 v6, v18, v6
	v_sub_u32_e32 v7, v20, v7
	v_mul_lo_u32 v6, s29, v6
	s_waitcnt lgkmcnt(0)
	v_mul_lo_u32 v7, s0, v7
	v_add3_u32 v3, v5, v3, v4
	s_add_i32 s28, s28, -8
	s_cmp_eq_u32 s28, -8
	v_add3_u32 v4, v6, v3, v7
	s_cbranch_scc1 .LBB80_57
; %bb.56:                               ;   in Loop: Header=BB80_23 Depth=2
	v_mov_b32_e32 v6, v22
	v_mov_b32_e32 v7, v23
	s_branch .LBB80_23
.LBB80_57:                              ;   in Loop: Header=BB80_3 Depth=1
	s_load_dword s0, s[2:3], 0x4
	s_waitcnt lgkmcnt(0)
	v_cmp_gt_i32_e32 vcc, s0, v24
	s_and_b64 exec, exec, vcc
	s_cbranch_execz .LBB80_2
; %bb.58:                               ;   in Loop: Header=BB80_3 Depth=1
	v_ashrrev_i32_e32 v5, 31, v4
	v_lshlrev_b64 v[3:4], 4, v[4:5]
	v_mov_b32_e32 v5, s13
	v_add_co_u32_e32 v6, vcc, s12, v3
	v_addc_co_u32_e32 v7, vcc, v5, v4, vcc
	v_mov_b32_e32 v3, v2
	v_mov_b32_e32 v4, v2
	;; [unrolled: 1-line block ×3, first 2 shown]
	global_store_dwordx4 v[6:7], v[2:5], off
	s_branch .LBB80_2
.LBB80_59:
	s_endpgm
	.section	.rodata,"a",@progbits
	.p2align	6, 0x0
	.amdhsa_kernel _ZN2at6native16triu_tril_kernelIN3c107complexIdEEiLb1ELi1ELb1EEEvNS_4cuda6detail10TensorInfoIT_T0_EENS7_IKS8_S9_EEllS9_
		.amdhsa_group_segment_fixed_size 0
		.amdhsa_private_segment_fixed_size 0
		.amdhsa_kernarg_size 712
		.amdhsa_user_sgpr_count 6
		.amdhsa_user_sgpr_private_segment_buffer 1
		.amdhsa_user_sgpr_dispatch_ptr 0
		.amdhsa_user_sgpr_queue_ptr 0
		.amdhsa_user_sgpr_kernarg_segment_ptr 1
		.amdhsa_user_sgpr_dispatch_id 0
		.amdhsa_user_sgpr_flat_scratch_init 0
		.amdhsa_user_sgpr_private_segment_size 0
		.amdhsa_uses_dynamic_stack 0
		.amdhsa_system_sgpr_private_segment_wavefront_offset 0
		.amdhsa_system_sgpr_workgroup_id_x 1
		.amdhsa_system_sgpr_workgroup_id_y 0
		.amdhsa_system_sgpr_workgroup_id_z 0
		.amdhsa_system_sgpr_workgroup_info 0
		.amdhsa_system_vgpr_workitem_id 0
		.amdhsa_next_free_vgpr 27
		.amdhsa_next_free_sgpr 67
		.amdhsa_reserve_vcc 1
		.amdhsa_reserve_flat_scratch 0
		.amdhsa_float_round_mode_32 0
		.amdhsa_float_round_mode_16_64 0
		.amdhsa_float_denorm_mode_32 3
		.amdhsa_float_denorm_mode_16_64 3
		.amdhsa_dx10_clamp 1
		.amdhsa_ieee_mode 1
		.amdhsa_fp16_overflow 0
		.amdhsa_exception_fp_ieee_invalid_op 0
		.amdhsa_exception_fp_denorm_src 0
		.amdhsa_exception_fp_ieee_div_zero 0
		.amdhsa_exception_fp_ieee_overflow 0
		.amdhsa_exception_fp_ieee_underflow 0
		.amdhsa_exception_fp_ieee_inexact 0
		.amdhsa_exception_int_div_zero 0
	.end_amdhsa_kernel
	.section	.text._ZN2at6native16triu_tril_kernelIN3c107complexIdEEiLb1ELi1ELb1EEEvNS_4cuda6detail10TensorInfoIT_T0_EENS7_IKS8_S9_EEllS9_,"axG",@progbits,_ZN2at6native16triu_tril_kernelIN3c107complexIdEEiLb1ELi1ELb1EEEvNS_4cuda6detail10TensorInfoIT_T0_EENS7_IKS8_S9_EEllS9_,comdat
.Lfunc_end80:
	.size	_ZN2at6native16triu_tril_kernelIN3c107complexIdEEiLb1ELi1ELb1EEEvNS_4cuda6detail10TensorInfoIT_T0_EENS7_IKS8_S9_EEllS9_, .Lfunc_end80-_ZN2at6native16triu_tril_kernelIN3c107complexIdEEiLb1ELi1ELb1EEEvNS_4cuda6detail10TensorInfoIT_T0_EENS7_IKS8_S9_EEllS9_
                                        ; -- End function
	.set _ZN2at6native16triu_tril_kernelIN3c107complexIdEEiLb1ELi1ELb1EEEvNS_4cuda6detail10TensorInfoIT_T0_EENS7_IKS8_S9_EEllS9_.num_vgpr, 27
	.set _ZN2at6native16triu_tril_kernelIN3c107complexIdEEiLb1ELi1ELb1EEEvNS_4cuda6detail10TensorInfoIT_T0_EENS7_IKS8_S9_EEllS9_.num_agpr, 0
	.set _ZN2at6native16triu_tril_kernelIN3c107complexIdEEiLb1ELi1ELb1EEEvNS_4cuda6detail10TensorInfoIT_T0_EENS7_IKS8_S9_EEllS9_.numbered_sgpr, 67
	.set _ZN2at6native16triu_tril_kernelIN3c107complexIdEEiLb1ELi1ELb1EEEvNS_4cuda6detail10TensorInfoIT_T0_EENS7_IKS8_S9_EEllS9_.num_named_barrier, 0
	.set _ZN2at6native16triu_tril_kernelIN3c107complexIdEEiLb1ELi1ELb1EEEvNS_4cuda6detail10TensorInfoIT_T0_EENS7_IKS8_S9_EEllS9_.private_seg_size, 0
	.set _ZN2at6native16triu_tril_kernelIN3c107complexIdEEiLb1ELi1ELb1EEEvNS_4cuda6detail10TensorInfoIT_T0_EENS7_IKS8_S9_EEllS9_.uses_vcc, 1
	.set _ZN2at6native16triu_tril_kernelIN3c107complexIdEEiLb1ELi1ELb1EEEvNS_4cuda6detail10TensorInfoIT_T0_EENS7_IKS8_S9_EEllS9_.uses_flat_scratch, 0
	.set _ZN2at6native16triu_tril_kernelIN3c107complexIdEEiLb1ELi1ELb1EEEvNS_4cuda6detail10TensorInfoIT_T0_EENS7_IKS8_S9_EEllS9_.has_dyn_sized_stack, 0
	.set _ZN2at6native16triu_tril_kernelIN3c107complexIdEEiLb1ELi1ELb1EEEvNS_4cuda6detail10TensorInfoIT_T0_EENS7_IKS8_S9_EEllS9_.has_recursion, 0
	.set _ZN2at6native16triu_tril_kernelIN3c107complexIdEEiLb1ELi1ELb1EEEvNS_4cuda6detail10TensorInfoIT_T0_EENS7_IKS8_S9_EEllS9_.has_indirect_call, 0
	.section	.AMDGPU.csdata,"",@progbits
; Kernel info:
; codeLenInByte = 9244
; TotalNumSgprs: 71
; NumVgprs: 27
; ScratchSize: 0
; MemoryBound: 0
; FloatMode: 240
; IeeeMode: 1
; LDSByteSize: 0 bytes/workgroup (compile time only)
; SGPRBlocks: 8
; VGPRBlocks: 6
; NumSGPRsForWavesPerEU: 71
; NumVGPRsForWavesPerEU: 27
; Occupancy: 9
; WaveLimiterHint : 0
; COMPUTE_PGM_RSRC2:SCRATCH_EN: 0
; COMPUTE_PGM_RSRC2:USER_SGPR: 6
; COMPUTE_PGM_RSRC2:TRAP_HANDLER: 0
; COMPUTE_PGM_RSRC2:TGID_X_EN: 1
; COMPUTE_PGM_RSRC2:TGID_Y_EN: 0
; COMPUTE_PGM_RSRC2:TGID_Z_EN: 0
; COMPUTE_PGM_RSRC2:TIDIG_COMP_CNT: 0
	.section	.text._ZN2at6native16triu_tril_kernelIN3c107complexIdEEiLb1ELi1ELb0EEEvNS_4cuda6detail10TensorInfoIT_T0_EENS7_IKS8_S9_EEllS9_,"axG",@progbits,_ZN2at6native16triu_tril_kernelIN3c107complexIdEEiLb1ELi1ELb0EEEvNS_4cuda6detail10TensorInfoIT_T0_EENS7_IKS8_S9_EEllS9_,comdat
	.protected	_ZN2at6native16triu_tril_kernelIN3c107complexIdEEiLb1ELi1ELb0EEEvNS_4cuda6detail10TensorInfoIT_T0_EENS7_IKS8_S9_EEllS9_ ; -- Begin function _ZN2at6native16triu_tril_kernelIN3c107complexIdEEiLb1ELi1ELb0EEEvNS_4cuda6detail10TensorInfoIT_T0_EENS7_IKS8_S9_EEllS9_
	.globl	_ZN2at6native16triu_tril_kernelIN3c107complexIdEEiLb1ELi1ELb0EEEvNS_4cuda6detail10TensorInfoIT_T0_EENS7_IKS8_S9_EEllS9_
	.p2align	8
	.type	_ZN2at6native16triu_tril_kernelIN3c107complexIdEEiLb1ELi1ELb0EEEvNS_4cuda6detail10TensorInfoIT_T0_EENS7_IKS8_S9_EEllS9_,@function
_ZN2at6native16triu_tril_kernelIN3c107complexIdEEiLb1ELi1ELb0EEEvNS_4cuda6detail10TensorInfoIT_T0_EENS7_IKS8_S9_EEllS9_: ; @_ZN2at6native16triu_tril_kernelIN3c107complexIdEEiLb1ELi1ELb0EEEvNS_4cuda6detail10TensorInfoIT_T0_EENS7_IKS8_S9_EEllS9_
; %bb.0:
	s_load_dword s2, s[4:5], 0x1d4
	s_load_dwordx4 s[8:11], s[4:5], 0x1b0
	s_add_u32 s0, s4, 0x1c8
	v_mov_b32_e32 v4, 0
	s_addc_u32 s1, s5, 0
	s_waitcnt lgkmcnt(0)
	s_and_b32 s20, s2, 0xffff
	v_mov_b32_e32 v1, v4
	v_mov_b32_e32 v2, s6
	v_mad_u64_u32 v[6:7], s[2:3], s20, v2, v[0:1]
	v_cmp_gt_i64_e32 vcc, s[10:11], v[6:7]
	s_and_saveexec_b64 s[2:3], vcc
	s_cbranch_execz .LBB81_45
; %bb.1:
	s_load_dword s33, s[4:5], 0x1c0
	s_load_dword s22, s[4:5], 0x1a8
	s_add_u32 s42, s4, 0xd8
	s_addc_u32 s43, s5, 0
	s_load_dwordx2 s[2:3], s[4:5], 0xd8
	s_waitcnt lgkmcnt(0)
	s_ashr_i32 s44, s33, 31
	s_ashr_i32 s23, s22, 31
	s_lshl_b64 s[16:17], s[22:23], 2
	s_add_u32 s18, s42, s16
	s_addc_u32 s19, s43, s17
	s_load_dwordx2 s[6:7], s[18:19], 0x0
	s_load_dword s21, s[0:1], 0x0
	s_load_dwordx2 s[14:15], s[18:19], 0x64
	v_cmp_gt_i64_e64 s[12:13], s[22:23], 2
	s_mov_b64 s[26:27], 0
	s_waitcnt lgkmcnt(0)
	s_ashr_i32 s45, s6, 31
	s_add_u32 s0, s4, s16
	s_addc_u32 s1, s5, s17
	s_load_dwordx2 s[16:17], s[0:1], 0x64
	s_load_dwordx2 s[18:19], s[4:5], 0x0
	s_add_i32 s46, s22, -3
	s_and_b32 s48, s22, 3
	s_cmp_lg_u32 s48, 2
	s_cselect_b64 s[22:23], -1, 0
	s_cmp_gt_u32 s46, 2
	s_mul_i32 s47, s21, s20
	s_mov_b32 s21, 0
	s_cselect_b64 s[24:25], -1, 0
	s_ashr_i32 s28, s44, 31
	s_branch .LBB81_3
.LBB81_2:                               ;   in Loop: Header=BB81_3 Depth=1
	s_or_b64 exec, exec, s[0:1]
	v_add_co_u32_e32 v6, vcc, s47, v6
	v_addc_co_u32_e32 v7, vcc, 0, v7, vcc
	v_cmp_le_i64_e32 vcc, s[10:11], v[6:7]
	s_or_b64 s[26:27], vcc, s[26:27]
	s_andn2_b64 exec, exec, s[26:27]
	s_cbranch_execz .LBB81_45
.LBB81_3:                               ; =>This Loop Header: Depth=1
                                        ;     Child Loop BB81_13 Depth 2
                                        ;     Child Loop BB81_21 Depth 2
	v_or_b32_e32 v5, s44, v7
	v_cmp_ne_u64_e32 vcc, 0, v[4:5]
                                        ; implicit-def: $vgpr2_vgpr3
	s_and_saveexec_b64 s[0:1], vcc
	s_xor_b64 s[30:31], exec, s[0:1]
	s_cbranch_execz .LBB81_5
; %bb.4:                                ;   in Loop: Header=BB81_3 Depth=1
	s_add_u32 s0, s33, s28
	s_mov_b32 s29, s28
	s_addc_u32 s1, s44, s28
	s_xor_b64 s[34:35], s[0:1], s[28:29]
	v_cvt_f32_u32_e32 v0, s34
	v_cvt_f32_u32_e32 v1, s35
	s_sub_u32 s20, 0, s34
	s_subb_u32 s29, 0, s35
	v_ashrrev_i32_e32 v5, 31, v7
	v_mac_f32_e32 v0, 0x4f800000, v1
	v_rcp_f32_e32 v0, v0
	v_mul_f32_e32 v0, 0x5f7ffffc, v0
	v_mul_f32_e32 v1, 0x2f800000, v0
	v_trunc_f32_e32 v1, v1
	v_mac_f32_e32 v0, 0xcf800000, v1
	v_cvt_u32_f32_e32 v1, v1
	v_cvt_u32_f32_e32 v0, v0
	v_readfirstlane_b32 s36, v1
	v_readfirstlane_b32 s0, v0
	s_mul_i32 s1, s20, s36
	s_mul_hi_u32 s38, s20, s0
	s_mul_i32 s37, s29, s0
	s_add_i32 s1, s38, s1
	s_add_i32 s1, s1, s37
	s_mul_i32 s39, s20, s0
	s_mul_i32 s38, s0, s1
	s_mul_hi_u32 s40, s0, s39
	s_mul_hi_u32 s37, s0, s1
	s_add_u32 s38, s40, s38
	s_addc_u32 s37, 0, s37
	s_mul_hi_u32 s41, s36, s39
	s_mul_i32 s39, s36, s39
	s_add_u32 s38, s38, s39
	s_mul_hi_u32 s40, s36, s1
	s_addc_u32 s37, s37, s41
	s_addc_u32 s38, s40, 0
	s_mul_i32 s1, s36, s1
	s_add_u32 s1, s37, s1
	s_addc_u32 s37, 0, s38
	s_add_u32 s38, s0, s1
	s_cselect_b64 s[0:1], -1, 0
	s_cmp_lg_u64 s[0:1], 0
	s_addc_u32 s36, s36, s37
	s_mul_i32 s0, s20, s36
	s_mul_hi_u32 s1, s20, s38
	s_add_i32 s0, s1, s0
	s_mul_i32 s29, s29, s38
	s_add_i32 s0, s0, s29
	s_mul_i32 s20, s20, s38
	s_mul_hi_u32 s29, s36, s20
	s_mul_i32 s37, s36, s20
	s_mul_i32 s40, s38, s0
	s_mul_hi_u32 s20, s38, s20
	s_mul_hi_u32 s39, s38, s0
	s_add_u32 s20, s20, s40
	s_addc_u32 s39, 0, s39
	s_add_u32 s20, s20, s37
	s_mul_hi_u32 s1, s36, s0
	s_addc_u32 s20, s39, s29
	s_addc_u32 s1, s1, 0
	s_mul_i32 s0, s36, s0
	s_add_u32 s0, s20, s0
	s_addc_u32 s20, 0, s1
	s_add_u32 s29, s38, s0
	s_cselect_b64 s[0:1], -1, 0
	s_cmp_lg_u64 s[0:1], 0
	v_add_co_u32_e32 v0, vcc, v6, v5
	s_addc_u32 s20, s36, s20
	v_xor_b32_e32 v8, v0, v5
	v_mad_u64_u32 v[0:1], s[0:1], v8, s20, 0
	v_mul_hi_u32 v3, v8, s29
	v_addc_co_u32_e32 v2, vcc, v7, v5, vcc
	v_xor_b32_e32 v9, v2, v5
	v_add_co_u32_e32 v10, vcc, v3, v0
	v_addc_co_u32_e32 v11, vcc, 0, v1, vcc
	v_mad_u64_u32 v[0:1], s[0:1], v9, s29, 0
	v_mad_u64_u32 v[2:3], s[0:1], v9, s20, 0
	v_add_co_u32_e32 v0, vcc, v10, v0
	v_addc_co_u32_e32 v0, vcc, v11, v1, vcc
	v_addc_co_u32_e32 v1, vcc, 0, v3, vcc
	v_add_co_u32_e32 v2, vcc, v0, v2
	v_addc_co_u32_e32 v3, vcc, 0, v1, vcc
	v_mul_lo_u32 v10, s35, v2
	v_mul_lo_u32 v11, s34, v3
	v_mad_u64_u32 v[0:1], s[0:1], s34, v2, 0
	v_add3_u32 v1, v1, v11, v10
	v_sub_u32_e32 v10, v9, v1
	v_mov_b32_e32 v11, s35
	v_sub_co_u32_e32 v0, vcc, v8, v0
	v_subb_co_u32_e64 v8, s[0:1], v10, v11, vcc
	v_subrev_co_u32_e64 v10, s[0:1], s34, v0
	v_subbrev_co_u32_e64 v8, s[0:1], 0, v8, s[0:1]
	v_cmp_le_u32_e64 s[0:1], s35, v8
	v_cndmask_b32_e64 v11, 0, -1, s[0:1]
	v_cmp_le_u32_e64 s[0:1], s34, v10
	v_cndmask_b32_e64 v10, 0, -1, s[0:1]
	v_cmp_eq_u32_e64 s[0:1], s35, v8
	v_cndmask_b32_e64 v8, v11, v10, s[0:1]
	v_add_co_u32_e64 v10, s[0:1], 2, v2
	v_subb_co_u32_e32 v1, vcc, v9, v1, vcc
	v_addc_co_u32_e64 v11, s[0:1], 0, v3, s[0:1]
	v_cmp_le_u32_e32 vcc, s35, v1
	v_add_co_u32_e64 v12, s[0:1], 1, v2
	v_cndmask_b32_e64 v9, 0, -1, vcc
	v_cmp_le_u32_e32 vcc, s34, v0
	v_addc_co_u32_e64 v13, s[0:1], 0, v3, s[0:1]
	v_cndmask_b32_e64 v0, 0, -1, vcc
	v_cmp_eq_u32_e32 vcc, s35, v1
	v_cmp_ne_u32_e64 s[0:1], 0, v8
	v_cndmask_b32_e32 v0, v9, v0, vcc
	v_cndmask_b32_e64 v8, v13, v11, s[0:1]
	v_cmp_ne_u32_e32 vcc, 0, v0
	v_cndmask_b32_e64 v1, v12, v10, s[0:1]
	v_cndmask_b32_e32 v0, v3, v8, vcc
	v_cndmask_b32_e32 v1, v2, v1, vcc
	v_xor_b32_e32 v3, s28, v5
	v_xor_b32_e32 v1, v1, v3
	;; [unrolled: 1-line block ×3, first 2 shown]
	v_sub_co_u32_e32 v2, vcc, v1, v3
	v_subb_co_u32_e32 v3, vcc, v0, v3, vcc
.LBB81_5:                               ;   in Loop: Header=BB81_3 Depth=1
	s_andn2_saveexec_b64 s[0:1], s[30:31]
	s_cbranch_execz .LBB81_7
; %bb.6:                                ;   in Loop: Header=BB81_3 Depth=1
	v_cvt_f32_u32_e32 v0, s33
	s_sub_i32 s20, 0, s33
	v_rcp_iflag_f32_e32 v0, v0
	v_mul_f32_e32 v0, 0x4f7ffffe, v0
	v_cvt_u32_f32_e32 v0, v0
	v_mul_lo_u32 v1, s20, v0
	v_mul_hi_u32 v1, v0, v1
	v_add_u32_e32 v0, v0, v1
	v_mul_hi_u32 v0, v6, v0
	v_mul_lo_u32 v1, v0, s33
	v_add_u32_e32 v2, 1, v0
	v_sub_u32_e32 v1, v6, v1
	v_subrev_u32_e32 v3, s33, v1
	v_cmp_le_u32_e32 vcc, s33, v1
	v_cndmask_b32_e32 v1, v1, v3, vcc
	v_cndmask_b32_e32 v0, v0, v2, vcc
	v_add_u32_e32 v2, 1, v0
	v_cmp_le_u32_e32 vcc, s33, v1
	v_cndmask_b32_e32 v2, v0, v2, vcc
	v_mov_b32_e32 v3, v4
.LBB81_7:                               ;   in Loop: Header=BB81_3 Depth=1
	s_or_b64 exec, exec, s[0:1]
	v_or_b32_e32 v5, s45, v3
	v_cmp_ne_u64_e32 vcc, 0, v[4:5]
                                        ; implicit-def: $vgpr0_vgpr1
	s_and_saveexec_b64 s[0:1], vcc
	s_xor_b64 s[30:31], exec, s[0:1]
	s_cbranch_execz .LBB81_9
; %bb.8:                                ;   in Loop: Header=BB81_3 Depth=1
	s_ashr_i32 s34, s45, 31
	s_add_u32 s0, s6, s34
	s_mov_b32 s35, s34
	s_addc_u32 s1, s45, s34
	s_xor_b64 s[36:37], s[0:1], s[34:35]
	v_cvt_f32_u32_e32 v0, s36
	v_cvt_f32_u32_e32 v1, s37
	s_sub_u32 s20, 0, s36
	s_subb_u32 s29, 0, s37
	v_ashrrev_i32_e32 v5, 31, v3
	v_mac_f32_e32 v0, 0x4f800000, v1
	v_rcp_f32_e32 v0, v0
	v_mul_f32_e32 v0, 0x5f7ffffc, v0
	v_mul_f32_e32 v1, 0x2f800000, v0
	v_trunc_f32_e32 v1, v1
	v_mac_f32_e32 v0, 0xcf800000, v1
	v_cvt_u32_f32_e32 v1, v1
	v_cvt_u32_f32_e32 v0, v0
	v_readfirstlane_b32 s35, v1
	v_readfirstlane_b32 s0, v0
	s_mul_i32 s1, s20, s35
	s_mul_hi_u32 s39, s20, s0
	s_mul_i32 s38, s29, s0
	s_add_i32 s1, s39, s1
	s_add_i32 s1, s1, s38
	s_mul_i32 s40, s20, s0
	s_mul_i32 s39, s0, s1
	s_mul_hi_u32 s41, s0, s40
	s_mul_hi_u32 s38, s0, s1
	s_add_u32 s39, s41, s39
	s_addc_u32 s38, 0, s38
	s_mul_hi_u32 s49, s35, s40
	s_mul_i32 s40, s35, s40
	s_add_u32 s39, s39, s40
	s_mul_hi_u32 s41, s35, s1
	s_addc_u32 s38, s38, s49
	s_addc_u32 s39, s41, 0
	s_mul_i32 s1, s35, s1
	s_add_u32 s1, s38, s1
	s_addc_u32 s38, 0, s39
	s_add_u32 s39, s0, s1
	s_cselect_b64 s[0:1], -1, 0
	s_cmp_lg_u64 s[0:1], 0
	s_addc_u32 s35, s35, s38
	s_mul_i32 s0, s20, s35
	s_mul_hi_u32 s1, s20, s39
	s_add_i32 s0, s1, s0
	s_mul_i32 s29, s29, s39
	s_add_i32 s0, s0, s29
	s_mul_i32 s20, s20, s39
	s_mul_hi_u32 s29, s35, s20
	s_mul_i32 s38, s35, s20
	s_mul_i32 s41, s39, s0
	s_mul_hi_u32 s20, s39, s20
	s_mul_hi_u32 s40, s39, s0
	s_add_u32 s20, s20, s41
	s_addc_u32 s40, 0, s40
	s_add_u32 s20, s20, s38
	s_mul_hi_u32 s1, s35, s0
	s_addc_u32 s20, s40, s29
	s_addc_u32 s1, s1, 0
	s_mul_i32 s0, s35, s0
	s_add_u32 s0, s20, s0
	s_addc_u32 s20, 0, s1
	s_add_u32 s29, s39, s0
	s_cselect_b64 s[0:1], -1, 0
	s_cmp_lg_u64 s[0:1], 0
	v_add_co_u32_e32 v0, vcc, v2, v5
	s_addc_u32 s20, s35, s20
	v_xor_b32_e32 v10, v0, v5
	v_mad_u64_u32 v[0:1], s[0:1], v10, s20, 0
	v_mul_hi_u32 v8, v10, s29
	v_addc_co_u32_e32 v3, vcc, v3, v5, vcc
	v_xor_b32_e32 v3, v3, v5
	v_add_co_u32_e32 v11, vcc, v8, v0
	v_addc_co_u32_e32 v12, vcc, 0, v1, vcc
	v_mad_u64_u32 v[0:1], s[0:1], v3, s29, 0
	v_mad_u64_u32 v[8:9], s[0:1], v3, s20, 0
	v_add_co_u32_e32 v0, vcc, v11, v0
	v_addc_co_u32_e32 v0, vcc, v12, v1, vcc
	v_addc_co_u32_e32 v1, vcc, 0, v9, vcc
	v_add_co_u32_e32 v8, vcc, v0, v8
	v_addc_co_u32_e32 v9, vcc, 0, v1, vcc
	v_mul_lo_u32 v11, s37, v8
	v_mul_lo_u32 v12, s36, v9
	v_mad_u64_u32 v[0:1], s[0:1], s36, v8, 0
	v_add3_u32 v1, v1, v12, v11
	v_sub_u32_e32 v11, v3, v1
	v_mov_b32_e32 v12, s37
	v_sub_co_u32_e32 v0, vcc, v10, v0
	v_subb_co_u32_e64 v10, s[0:1], v11, v12, vcc
	v_subrev_co_u32_e64 v11, s[0:1], s36, v0
	v_subbrev_co_u32_e64 v10, s[0:1], 0, v10, s[0:1]
	v_cmp_le_u32_e64 s[0:1], s37, v10
	v_cndmask_b32_e64 v12, 0, -1, s[0:1]
	v_cmp_le_u32_e64 s[0:1], s36, v11
	v_cndmask_b32_e64 v11, 0, -1, s[0:1]
	v_cmp_eq_u32_e64 s[0:1], s37, v10
	v_cndmask_b32_e64 v10, v12, v11, s[0:1]
	v_add_co_u32_e64 v11, s[0:1], 2, v8
	v_subb_co_u32_e32 v1, vcc, v3, v1, vcc
	v_addc_co_u32_e64 v12, s[0:1], 0, v9, s[0:1]
	v_cmp_le_u32_e32 vcc, s37, v1
	v_add_co_u32_e64 v13, s[0:1], 1, v8
	v_cndmask_b32_e64 v3, 0, -1, vcc
	v_cmp_le_u32_e32 vcc, s36, v0
	v_addc_co_u32_e64 v14, s[0:1], 0, v9, s[0:1]
	v_cndmask_b32_e64 v0, 0, -1, vcc
	v_cmp_eq_u32_e32 vcc, s37, v1
	v_cmp_ne_u32_e64 s[0:1], 0, v10
	v_cndmask_b32_e32 v0, v3, v0, vcc
	v_cndmask_b32_e64 v10, v14, v12, s[0:1]
	v_cmp_ne_u32_e32 vcc, 0, v0
	v_cndmask_b32_e64 v1, v13, v11, s[0:1]
	v_cndmask_b32_e32 v0, v9, v10, vcc
	v_cndmask_b32_e32 v1, v8, v1, vcc
	v_xor_b32_e32 v3, s34, v5
	v_xor_b32_e32 v5, v0, v3
	;; [unrolled: 1-line block ×3, first 2 shown]
	v_sub_co_u32_e32 v0, vcc, v0, v3
	v_subb_co_u32_e32 v1, vcc, v5, v3, vcc
.LBB81_9:                               ;   in Loop: Header=BB81_3 Depth=1
	s_andn2_saveexec_b64 s[0:1], s[30:31]
	s_cbranch_execz .LBB81_11
; %bb.10:                               ;   in Loop: Header=BB81_3 Depth=1
	v_cvt_f32_u32_e32 v0, s6
	s_sub_i32 s20, 0, s6
	v_rcp_iflag_f32_e32 v0, v0
	v_mul_f32_e32 v0, 0x4f7ffffe, v0
	v_cvt_u32_f32_e32 v0, v0
	v_mul_lo_u32 v1, s20, v0
	v_mul_hi_u32 v1, v0, v1
	v_add_u32_e32 v0, v0, v1
	v_mul_hi_u32 v0, v2, v0
	v_mul_lo_u32 v1, v0, s6
	v_add_u32_e32 v3, 1, v0
	v_sub_u32_e32 v1, v2, v1
	v_subrev_u32_e32 v5, s6, v1
	v_cmp_le_u32_e32 vcc, s6, v1
	v_cndmask_b32_e32 v1, v1, v5, vcc
	v_cndmask_b32_e32 v0, v0, v3, vcc
	v_add_u32_e32 v3, 1, v0
	v_cmp_le_u32_e32 vcc, s6, v1
	v_cndmask_b32_e32 v0, v0, v3, vcc
	v_mov_b32_e32 v1, v4
.LBB81_11:                              ;   in Loop: Header=BB81_3 Depth=1
	s_or_b64 exec, exec, s[0:1]
	v_mad_u64_u32 v[8:9], s[0:1], v2, s33, 0
	v_mad_u64_u32 v[9:10], s[0:1], v0, s6, 0
	v_sub_co_u32_e32 v17, vcc, v6, v8
	v_mul_lo_u32 v3, s15, v17
	v_sub_co_u32_e32 v18, vcc, v2, v9
	s_waitcnt lgkmcnt(0)
	v_mul_lo_u32 v2, s17, v17
	v_mad_u64_u32 v[10:11], s[0:1], s14, v18, v[3:4]
	s_andn2_b64 vcc, exec, s[12:13]
	v_mad_u64_u32 v[8:9], s[0:1], s16, v18, v[2:3]
	s_cbranch_vccnz .LBB81_39
; %bb.12:                               ;   in Loop: Header=BB81_3 Depth=1
	s_mov_b32 s29, 1
	s_andn2_b64 vcc, exec, s[22:23]
	s_mov_b32 s20, s46
	s_mov_b32 s0, s46
	s_cbranch_vccnz .LBB81_20
.LBB81_13:                              ;   Parent Loop BB81_3 Depth=1
                                        ; =>  This Inner Loop Header: Depth=2
	s_lshl_b64 s[30:31], s[20:21], 2
	s_add_u32 s34, s42, s30
	s_addc_u32 s35, s43, s31
	s_load_dword s49, s[34:35], 0x8
                                        ; implicit-def: $vgpr2_vgpr3
	s_waitcnt lgkmcnt(0)
	s_ashr_i32 s0, s49, 31
	v_or_b32_e32 v5, s0, v1
	v_cmp_ne_u64_e32 vcc, 0, v[4:5]
	s_and_saveexec_b64 s[36:37], vcc
	s_xor_b64 s[36:37], exec, s[36:37]
	s_cbranch_execz .LBB81_15
; %bb.14:                               ;   in Loop: Header=BB81_13 Depth=2
	s_ashr_i32 s38, s0, 31
	s_add_u32 s40, s49, s38
	s_mov_b32 s39, s38
	s_addc_u32 s41, s0, s38
	s_xor_b64 s[40:41], s[40:41], s[38:39]
	v_cvt_f32_u32_e32 v2, s40
	v_cvt_f32_u32_e32 v3, s41
	s_sub_u32 s39, 0, s40
	s_subb_u32 s50, 0, s41
	v_mac_f32_e32 v2, 0x4f800000, v3
	v_rcp_f32_e32 v2, v2
	v_mul_f32_e32 v2, 0x5f7ffffc, v2
	v_mul_f32_e32 v3, 0x2f800000, v2
	v_trunc_f32_e32 v3, v3
	v_mac_f32_e32 v2, 0xcf800000, v3
	v_cvt_u32_f32_e32 v3, v3
	v_cvt_u32_f32_e32 v2, v2
	v_readfirstlane_b32 s51, v3
	v_readfirstlane_b32 s0, v2
	s_mul_i32 s1, s39, s51
	s_mul_hi_u32 s53, s39, s0
	s_mul_i32 s52, s50, s0
	s_add_i32 s1, s53, s1
	s_add_i32 s1, s1, s52
	s_mul_i32 s54, s39, s0
	s_mul_i32 s53, s0, s1
	s_mul_hi_u32 s55, s0, s54
	s_mul_hi_u32 s52, s0, s1
	s_add_u32 s53, s55, s53
	s_addc_u32 s52, 0, s52
	s_mul_hi_u32 s56, s51, s54
	s_mul_i32 s54, s51, s54
	s_add_u32 s53, s53, s54
	s_mul_hi_u32 s55, s51, s1
	s_addc_u32 s52, s52, s56
	s_addc_u32 s53, s55, 0
	s_mul_i32 s1, s51, s1
	s_add_u32 s1, s52, s1
	s_addc_u32 s52, 0, s53
	s_add_u32 s53, s0, s1
	s_cselect_b64 s[0:1], -1, 0
	s_cmp_lg_u64 s[0:1], 0
	s_addc_u32 s51, s51, s52
	s_mul_i32 s0, s39, s51
	s_mul_hi_u32 s1, s39, s53
	s_add_i32 s0, s1, s0
	s_mul_i32 s50, s50, s53
	s_add_i32 s0, s0, s50
	s_mul_i32 s39, s39, s53
	s_mul_hi_u32 s50, s51, s39
	s_mul_i32 s52, s51, s39
	s_mul_i32 s55, s53, s0
	s_mul_hi_u32 s39, s53, s39
	s_mul_hi_u32 s54, s53, s0
	s_add_u32 s39, s39, s55
	s_addc_u32 s54, 0, s54
	s_add_u32 s39, s39, s52
	s_mul_hi_u32 s1, s51, s0
	s_addc_u32 s39, s54, s50
	s_addc_u32 s1, s1, 0
	s_mul_i32 s0, s51, s0
	s_add_u32 s0, s39, s0
	s_addc_u32 s39, 0, s1
	s_add_u32 s50, s53, s0
	s_cselect_b64 s[0:1], -1, 0
	v_ashrrev_i32_e32 v3, 31, v1
	s_cmp_lg_u64 s[0:1], 0
	v_add_co_u32_e32 v2, vcc, v0, v3
	s_addc_u32 s39, s51, s39
	v_xor_b32_e32 v9, v2, v3
	v_addc_co_u32_e32 v5, vcc, v1, v3, vcc
	v_mad_u64_u32 v[1:2], s[0:1], v9, s39, 0
	v_mul_hi_u32 v11, v9, s50
	v_xor_b32_e32 v5, v5, v3
	v_xor_b32_e32 v3, s38, v3
	v_add_co_u32_e32 v13, vcc, v11, v1
	v_addc_co_u32_e32 v14, vcc, 0, v2, vcc
	v_mad_u64_u32 v[1:2], s[0:1], v5, s50, 0
	v_mad_u64_u32 v[11:12], s[0:1], v5, s39, 0
	v_add_co_u32_e32 v1, vcc, v13, v1
	v_addc_co_u32_e32 v1, vcc, v14, v2, vcc
	v_addc_co_u32_e32 v2, vcc, 0, v12, vcc
	v_add_co_u32_e32 v11, vcc, v1, v11
	v_addc_co_u32_e32 v12, vcc, 0, v2, vcc
	v_mul_lo_u32 v13, s41, v11
	v_mul_lo_u32 v14, s40, v12
	v_mad_u64_u32 v[1:2], s[0:1], s40, v11, 0
	v_add3_u32 v2, v2, v14, v13
	v_sub_u32_e32 v13, v5, v2
	v_mov_b32_e32 v14, s41
	v_sub_co_u32_e32 v1, vcc, v9, v1
	v_subb_co_u32_e64 v9, s[0:1], v13, v14, vcc
	v_subrev_co_u32_e64 v13, s[0:1], s40, v1
	v_subbrev_co_u32_e64 v9, s[0:1], 0, v9, s[0:1]
	v_cmp_le_u32_e64 s[0:1], s41, v9
	v_cndmask_b32_e64 v14, 0, -1, s[0:1]
	v_cmp_le_u32_e64 s[0:1], s40, v13
	v_cndmask_b32_e64 v13, 0, -1, s[0:1]
	v_cmp_eq_u32_e64 s[0:1], s41, v9
	v_cndmask_b32_e64 v9, v14, v13, s[0:1]
	v_add_co_u32_e64 v13, s[0:1], 2, v11
	v_subb_co_u32_e32 v2, vcc, v5, v2, vcc
	v_addc_co_u32_e64 v14, s[0:1], 0, v12, s[0:1]
	v_cmp_le_u32_e32 vcc, s41, v2
	v_add_co_u32_e64 v15, s[0:1], 1, v11
	v_cndmask_b32_e64 v5, 0, -1, vcc
	v_cmp_le_u32_e32 vcc, s40, v1
	v_addc_co_u32_e64 v16, s[0:1], 0, v12, s[0:1]
	v_cndmask_b32_e64 v1, 0, -1, vcc
	v_cmp_eq_u32_e32 vcc, s41, v2
	v_cmp_ne_u32_e64 s[0:1], 0, v9
	v_cndmask_b32_e32 v1, v5, v1, vcc
	v_cmp_ne_u32_e32 vcc, 0, v1
	v_cndmask_b32_e64 v2, v15, v13, s[0:1]
	v_cndmask_b32_e64 v9, v16, v14, s[0:1]
	v_cndmask_b32_e32 v2, v11, v2, vcc
	v_cndmask_b32_e32 v1, v12, v9, vcc
	v_xor_b32_e32 v2, v2, v3
	v_xor_b32_e32 v1, v1, v3
	v_sub_co_u32_e32 v2, vcc, v2, v3
	v_subb_co_u32_e32 v3, vcc, v1, v3, vcc
.LBB81_15:                              ;   in Loop: Header=BB81_13 Depth=2
	s_andn2_saveexec_b64 s[0:1], s[36:37]
	s_cbranch_execz .LBB81_17
; %bb.16:                               ;   in Loop: Header=BB81_13 Depth=2
	v_cvt_f32_u32_e32 v1, s49
	s_sub_i32 s36, 0, s49
	v_rcp_iflag_f32_e32 v1, v1
	v_mul_f32_e32 v1, 0x4f7ffffe, v1
	v_cvt_u32_f32_e32 v1, v1
	v_mul_lo_u32 v2, s36, v1
	v_mul_hi_u32 v2, v1, v2
	v_add_u32_e32 v1, v1, v2
	v_mul_hi_u32 v1, v0, v1
	v_mul_lo_u32 v2, v1, s49
	v_add_u32_e32 v3, 1, v1
	v_sub_u32_e32 v2, v0, v2
	v_subrev_u32_e32 v5, s49, v2
	v_cmp_le_u32_e32 vcc, s49, v2
	v_cndmask_b32_e32 v2, v2, v5, vcc
	v_cndmask_b32_e32 v1, v1, v3, vcc
	v_add_u32_e32 v3, 1, v1
	v_cmp_le_u32_e32 vcc, s49, v2
	v_cndmask_b32_e32 v2, v1, v3, vcc
	v_mov_b32_e32 v3, v4
.LBB81_17:                              ;   in Loop: Header=BB81_13 Depth=2
	s_or_b64 exec, exec, s[0:1]
	s_add_u32 s0, s4, s30
	s_addc_u32 s1, s5, s31
	v_mul_lo_u32 v1, v2, s49
	s_load_dword s34, s[34:35], 0x6c
	s_add_i32 s20, s20, -1
	s_load_dword s30, s[0:1], 0x6c
	v_sub_u32_e32 v0, v0, v1
	s_waitcnt lgkmcnt(0)
	v_mad_u64_u32 v[10:11], s[0:1], s34, v0, v[10:11]
	v_mad_u64_u32 v[8:9], s[0:1], s30, v0, v[8:9]
	s_xor_b32 s0, s48, s29
	s_add_i32 s29, s29, 1
	s_cmp_lg_u32 s0, 2
	s_cbranch_scc0 .LBB81_19
; %bb.18:                               ;   in Loop: Header=BB81_13 Depth=2
	v_mov_b32_e32 v0, v2
	v_mov_b32_e32 v1, v3
	s_branch .LBB81_13
.LBB81_19:                              ;   in Loop: Header=BB81_3 Depth=1
	v_mov_b32_e32 v0, v2
	s_mov_b32 s0, s20
	v_mov_b32_e32 v1, v3
.LBB81_20:                              ;   in Loop: Header=BB81_3 Depth=1
	s_and_b64 vcc, exec, s[24:25]
	s_mov_b32 s20, s0
	s_cbranch_vccz .LBB81_39
.LBB81_21:                              ;   Parent Loop BB81_3 Depth=1
                                        ; =>  This Inner Loop Header: Depth=2
	s_lshl_b64 s[30:31], s[20:21], 2
	s_add_u32 s34, s42, s30
	s_addc_u32 s35, s43, s31
	s_load_dword s29, s[34:35], 0x8
                                        ; implicit-def: $vgpr2_vgpr3
	s_waitcnt lgkmcnt(0)
	s_ashr_i32 s0, s29, 31
	v_or_b32_e32 v5, s0, v1
	v_cmp_ne_u64_e32 vcc, 0, v[4:5]
	s_and_saveexec_b64 s[36:37], vcc
	s_xor_b64 s[36:37], exec, s[36:37]
	s_cbranch_execz .LBB81_23
; %bb.22:                               ;   in Loop: Header=BB81_21 Depth=2
	s_ashr_i32 s38, s0, 31
	s_add_u32 s40, s29, s38
	s_mov_b32 s39, s38
	s_addc_u32 s41, s0, s38
	s_xor_b64 s[40:41], s[40:41], s[38:39]
	v_cvt_f32_u32_e32 v2, s40
	v_cvt_f32_u32_e32 v3, s41
	s_sub_u32 s39, 0, s40
	s_subb_u32 s49, 0, s41
	v_mac_f32_e32 v2, 0x4f800000, v3
	v_rcp_f32_e32 v2, v2
	v_mul_f32_e32 v2, 0x5f7ffffc, v2
	v_mul_f32_e32 v3, 0x2f800000, v2
	v_trunc_f32_e32 v3, v3
	v_mac_f32_e32 v2, 0xcf800000, v3
	v_cvt_u32_f32_e32 v3, v3
	v_cvt_u32_f32_e32 v2, v2
	v_readfirstlane_b32 s50, v3
	v_readfirstlane_b32 s0, v2
	s_mul_i32 s1, s39, s50
	s_mul_hi_u32 s52, s39, s0
	s_mul_i32 s51, s49, s0
	s_add_i32 s1, s52, s1
	s_add_i32 s1, s1, s51
	s_mul_i32 s53, s39, s0
	s_mul_i32 s52, s0, s1
	s_mul_hi_u32 s54, s0, s53
	s_mul_hi_u32 s51, s0, s1
	s_add_u32 s52, s54, s52
	s_addc_u32 s51, 0, s51
	s_mul_hi_u32 s55, s50, s53
	s_mul_i32 s53, s50, s53
	s_add_u32 s52, s52, s53
	s_mul_hi_u32 s54, s50, s1
	s_addc_u32 s51, s51, s55
	s_addc_u32 s52, s54, 0
	s_mul_i32 s1, s50, s1
	s_add_u32 s1, s51, s1
	s_addc_u32 s51, 0, s52
	s_add_u32 s52, s0, s1
	s_cselect_b64 s[0:1], -1, 0
	s_cmp_lg_u64 s[0:1], 0
	s_addc_u32 s50, s50, s51
	s_mul_i32 s0, s39, s50
	s_mul_hi_u32 s1, s39, s52
	s_add_i32 s0, s1, s0
	s_mul_i32 s49, s49, s52
	s_add_i32 s0, s0, s49
	s_mul_i32 s39, s39, s52
	s_mul_hi_u32 s49, s50, s39
	s_mul_i32 s51, s50, s39
	s_mul_i32 s54, s52, s0
	s_mul_hi_u32 s39, s52, s39
	s_mul_hi_u32 s53, s52, s0
	s_add_u32 s39, s39, s54
	s_addc_u32 s53, 0, s53
	s_add_u32 s39, s39, s51
	s_mul_hi_u32 s1, s50, s0
	s_addc_u32 s39, s53, s49
	s_addc_u32 s1, s1, 0
	s_mul_i32 s0, s50, s0
	s_add_u32 s0, s39, s0
	s_addc_u32 s39, 0, s1
	s_add_u32 s49, s52, s0
	s_cselect_b64 s[0:1], -1, 0
	v_ashrrev_i32_e32 v3, 31, v1
	s_cmp_lg_u64 s[0:1], 0
	v_add_co_u32_e32 v2, vcc, v0, v3
	s_addc_u32 s39, s50, s39
	v_xor_b32_e32 v9, v2, v3
	v_addc_co_u32_e32 v5, vcc, v1, v3, vcc
	v_mad_u64_u32 v[1:2], s[0:1], v9, s39, 0
	v_mul_hi_u32 v11, v9, s49
	v_xor_b32_e32 v5, v5, v3
	v_xor_b32_e32 v3, s38, v3
	v_add_co_u32_e32 v13, vcc, v11, v1
	v_addc_co_u32_e32 v14, vcc, 0, v2, vcc
	v_mad_u64_u32 v[1:2], s[0:1], v5, s49, 0
	v_mad_u64_u32 v[11:12], s[0:1], v5, s39, 0
	v_add_co_u32_e32 v1, vcc, v13, v1
	v_addc_co_u32_e32 v1, vcc, v14, v2, vcc
	v_addc_co_u32_e32 v2, vcc, 0, v12, vcc
	v_add_co_u32_e32 v11, vcc, v1, v11
	v_addc_co_u32_e32 v12, vcc, 0, v2, vcc
	v_mul_lo_u32 v13, s41, v11
	v_mul_lo_u32 v14, s40, v12
	v_mad_u64_u32 v[1:2], s[0:1], s40, v11, 0
	v_add3_u32 v2, v2, v14, v13
	v_sub_u32_e32 v13, v5, v2
	v_mov_b32_e32 v14, s41
	v_sub_co_u32_e32 v1, vcc, v9, v1
	v_subb_co_u32_e64 v9, s[0:1], v13, v14, vcc
	v_subrev_co_u32_e64 v13, s[0:1], s40, v1
	v_subbrev_co_u32_e64 v9, s[0:1], 0, v9, s[0:1]
	v_cmp_le_u32_e64 s[0:1], s41, v9
	v_cndmask_b32_e64 v14, 0, -1, s[0:1]
	v_cmp_le_u32_e64 s[0:1], s40, v13
	v_cndmask_b32_e64 v13, 0, -1, s[0:1]
	v_cmp_eq_u32_e64 s[0:1], s41, v9
	v_cndmask_b32_e64 v9, v14, v13, s[0:1]
	v_add_co_u32_e64 v13, s[0:1], 2, v11
	v_subb_co_u32_e32 v2, vcc, v5, v2, vcc
	v_addc_co_u32_e64 v14, s[0:1], 0, v12, s[0:1]
	v_cmp_le_u32_e32 vcc, s41, v2
	v_add_co_u32_e64 v15, s[0:1], 1, v11
	v_cndmask_b32_e64 v5, 0, -1, vcc
	v_cmp_le_u32_e32 vcc, s40, v1
	v_addc_co_u32_e64 v16, s[0:1], 0, v12, s[0:1]
	v_cndmask_b32_e64 v1, 0, -1, vcc
	v_cmp_eq_u32_e32 vcc, s41, v2
	v_cmp_ne_u32_e64 s[0:1], 0, v9
	v_cndmask_b32_e32 v1, v5, v1, vcc
	v_cmp_ne_u32_e32 vcc, 0, v1
	v_cndmask_b32_e64 v2, v15, v13, s[0:1]
	v_cndmask_b32_e64 v9, v16, v14, s[0:1]
	v_cndmask_b32_e32 v2, v11, v2, vcc
	v_cndmask_b32_e32 v1, v12, v9, vcc
	v_xor_b32_e32 v2, v2, v3
	v_xor_b32_e32 v1, v1, v3
	v_sub_co_u32_e32 v2, vcc, v2, v3
	v_subb_co_u32_e32 v3, vcc, v1, v3, vcc
.LBB81_23:                              ;   in Loop: Header=BB81_21 Depth=2
	s_andn2_saveexec_b64 s[0:1], s[36:37]
	s_cbranch_execz .LBB81_25
; %bb.24:                               ;   in Loop: Header=BB81_21 Depth=2
	v_cvt_f32_u32_e32 v1, s29
	s_sub_i32 s36, 0, s29
	v_rcp_iflag_f32_e32 v1, v1
	v_mul_f32_e32 v1, 0x4f7ffffe, v1
	v_cvt_u32_f32_e32 v1, v1
	v_mul_lo_u32 v2, s36, v1
	v_mul_hi_u32 v2, v1, v2
	v_add_u32_e32 v1, v1, v2
	v_mul_hi_u32 v1, v0, v1
	v_mul_lo_u32 v2, v1, s29
	v_add_u32_e32 v3, 1, v1
	v_sub_u32_e32 v2, v0, v2
	v_subrev_u32_e32 v5, s29, v2
	v_cmp_le_u32_e32 vcc, s29, v2
	v_cndmask_b32_e32 v2, v2, v5, vcc
	v_cndmask_b32_e32 v1, v1, v3, vcc
	v_add_u32_e32 v3, 1, v1
	v_cmp_le_u32_e32 vcc, s29, v2
	v_cndmask_b32_e32 v2, v1, v3, vcc
	v_mov_b32_e32 v3, v4
.LBB81_25:                              ;   in Loop: Header=BB81_21 Depth=2
	s_or_b64 exec, exec, s[0:1]
	s_add_u32 s0, s4, s30
	s_addc_u32 s1, s5, s31
	s_add_i32 s30, s20, -1
	s_mov_b32 s31, s21
	s_lshl_b64 s[36:37], s[30:31], 2
	s_add_u32 s30, s42, s36
	s_addc_u32 s31, s43, s37
	s_load_dword s51, s[30:31], 0x8
	s_load_dword s50, s[34:35], 0x6c
	;; [unrolled: 1-line block ×3, first 2 shown]
                                        ; implicit-def: $vgpr11_vgpr12
	s_waitcnt lgkmcnt(0)
	s_ashr_i32 s0, s51, 31
	v_or_b32_e32 v5, s0, v3
	v_cmp_ne_u64_e32 vcc, 0, v[4:5]
	s_and_saveexec_b64 s[34:35], vcc
	s_xor_b64 s[34:35], exec, s[34:35]
	s_cbranch_execz .LBB81_27
; %bb.26:                               ;   in Loop: Header=BB81_21 Depth=2
	s_ashr_i32 s38, s0, 31
	s_add_u32 s40, s51, s38
	s_mov_b32 s39, s38
	s_addc_u32 s41, s0, s38
	s_xor_b64 s[40:41], s[40:41], s[38:39]
	v_cvt_f32_u32_e32 v1, s40
	v_cvt_f32_u32_e32 v5, s41
	s_sub_u32 s39, 0, s40
	s_subb_u32 s52, 0, s41
	v_mac_f32_e32 v1, 0x4f800000, v5
	v_rcp_f32_e32 v1, v1
	v_mul_f32_e32 v1, 0x5f7ffffc, v1
	v_mul_f32_e32 v5, 0x2f800000, v1
	v_trunc_f32_e32 v5, v5
	v_mac_f32_e32 v1, 0xcf800000, v5
	v_cvt_u32_f32_e32 v5, v5
	v_cvt_u32_f32_e32 v1, v1
	v_readfirstlane_b32 s53, v5
	v_readfirstlane_b32 s0, v1
	s_mul_i32 s1, s39, s53
	s_mul_hi_u32 s55, s39, s0
	s_mul_i32 s54, s52, s0
	s_add_i32 s1, s55, s1
	s_add_i32 s1, s1, s54
	s_mul_i32 s56, s39, s0
	s_mul_i32 s55, s0, s1
	s_mul_hi_u32 s57, s0, s56
	s_mul_hi_u32 s54, s0, s1
	s_add_u32 s55, s57, s55
	s_addc_u32 s54, 0, s54
	s_mul_hi_u32 s58, s53, s56
	s_mul_i32 s56, s53, s56
	s_add_u32 s55, s55, s56
	s_mul_hi_u32 s57, s53, s1
	s_addc_u32 s54, s54, s58
	s_addc_u32 s55, s57, 0
	s_mul_i32 s1, s53, s1
	s_add_u32 s1, s54, s1
	s_addc_u32 s54, 0, s55
	s_add_u32 s55, s0, s1
	s_cselect_b64 s[0:1], -1, 0
	s_cmp_lg_u64 s[0:1], 0
	s_addc_u32 s53, s53, s54
	s_mul_i32 s0, s39, s53
	s_mul_hi_u32 s1, s39, s55
	s_add_i32 s0, s1, s0
	s_mul_i32 s52, s52, s55
	s_add_i32 s0, s0, s52
	s_mul_i32 s39, s39, s55
	s_mul_hi_u32 s52, s53, s39
	s_mul_i32 s54, s53, s39
	s_mul_i32 s57, s55, s0
	s_mul_hi_u32 s39, s55, s39
	s_mul_hi_u32 s56, s55, s0
	s_add_u32 s39, s39, s57
	s_addc_u32 s56, 0, s56
	s_add_u32 s39, s39, s54
	s_mul_hi_u32 s1, s53, s0
	s_addc_u32 s39, s56, s52
	s_addc_u32 s1, s1, 0
	s_mul_i32 s0, s53, s0
	s_add_u32 s0, s39, s0
	s_addc_u32 s39, 0, s1
	s_add_u32 s52, s55, s0
	s_cselect_b64 s[0:1], -1, 0
	v_ashrrev_i32_e32 v1, 31, v3
	s_cmp_lg_u64 s[0:1], 0
	v_add_co_u32_e32 v5, vcc, v2, v1
	s_addc_u32 s39, s53, s39
	v_xor_b32_e32 v5, v5, v1
	v_mad_u64_u32 v[11:12], s[0:1], v5, s39, 0
	v_mul_hi_u32 v9, v5, s52
	v_addc_co_u32_e32 v3, vcc, v3, v1, vcc
	v_xor_b32_e32 v3, v3, v1
	v_add_co_u32_e32 v9, vcc, v9, v11
	v_addc_co_u32_e32 v15, vcc, 0, v12, vcc
	v_mad_u64_u32 v[11:12], s[0:1], v3, s52, 0
	v_mad_u64_u32 v[13:14], s[0:1], v3, s39, 0
	v_add_co_u32_e32 v9, vcc, v9, v11
	v_addc_co_u32_e32 v9, vcc, v15, v12, vcc
	v_addc_co_u32_e32 v11, vcc, 0, v14, vcc
	v_add_co_u32_e32 v9, vcc, v9, v13
	v_addc_co_u32_e32 v13, vcc, 0, v11, vcc
	v_mul_lo_u32 v14, s41, v9
	v_mul_lo_u32 v15, s40, v13
	v_mad_u64_u32 v[11:12], s[0:1], s40, v9, 0
	v_xor_b32_e32 v1, s38, v1
	v_add3_u32 v12, v12, v15, v14
	v_sub_u32_e32 v14, v3, v12
	v_mov_b32_e32 v15, s41
	v_sub_co_u32_e32 v5, vcc, v5, v11
	v_subb_co_u32_e64 v11, s[0:1], v14, v15, vcc
	v_subrev_co_u32_e64 v14, s[0:1], s40, v5
	v_subbrev_co_u32_e64 v11, s[0:1], 0, v11, s[0:1]
	v_cmp_le_u32_e64 s[0:1], s41, v11
	v_cndmask_b32_e64 v15, 0, -1, s[0:1]
	v_cmp_le_u32_e64 s[0:1], s40, v14
	v_cndmask_b32_e64 v14, 0, -1, s[0:1]
	v_cmp_eq_u32_e64 s[0:1], s41, v11
	v_cndmask_b32_e64 v11, v15, v14, s[0:1]
	v_add_co_u32_e64 v14, s[0:1], 2, v9
	v_subb_co_u32_e32 v3, vcc, v3, v12, vcc
	v_addc_co_u32_e64 v15, s[0:1], 0, v13, s[0:1]
	v_cmp_le_u32_e32 vcc, s41, v3
	v_add_co_u32_e64 v16, s[0:1], 1, v9
	v_cndmask_b32_e64 v12, 0, -1, vcc
	v_cmp_le_u32_e32 vcc, s40, v5
	v_addc_co_u32_e64 v19, s[0:1], 0, v13, s[0:1]
	v_cndmask_b32_e64 v5, 0, -1, vcc
	v_cmp_eq_u32_e32 vcc, s41, v3
	v_cmp_ne_u32_e64 s[0:1], 0, v11
	v_cndmask_b32_e32 v3, v12, v5, vcc
	v_cmp_ne_u32_e32 vcc, 0, v3
	v_cndmask_b32_e64 v5, v16, v14, s[0:1]
	v_cndmask_b32_e64 v11, v19, v15, s[0:1]
	v_cndmask_b32_e32 v5, v9, v5, vcc
	v_cndmask_b32_e32 v3, v13, v11, vcc
	v_xor_b32_e32 v5, v5, v1
	v_xor_b32_e32 v3, v3, v1
	v_sub_co_u32_e32 v11, vcc, v5, v1
	v_subb_co_u32_e32 v12, vcc, v3, v1, vcc
.LBB81_27:                              ;   in Loop: Header=BB81_21 Depth=2
	s_andn2_saveexec_b64 s[0:1], s[34:35]
	s_cbranch_execz .LBB81_29
; %bb.28:                               ;   in Loop: Header=BB81_21 Depth=2
	v_cvt_f32_u32_e32 v1, s51
	s_sub_i32 s34, 0, s51
	v_mov_b32_e32 v12, v4
	v_rcp_iflag_f32_e32 v1, v1
	v_mul_f32_e32 v1, 0x4f7ffffe, v1
	v_cvt_u32_f32_e32 v1, v1
	v_mul_lo_u32 v3, s34, v1
	v_mul_hi_u32 v3, v1, v3
	v_add_u32_e32 v1, v1, v3
	v_mul_hi_u32 v1, v2, v1
	v_mul_lo_u32 v3, v1, s51
	v_add_u32_e32 v5, 1, v1
	v_sub_u32_e32 v3, v2, v3
	v_subrev_u32_e32 v9, s51, v3
	v_cmp_le_u32_e32 vcc, s51, v3
	v_cndmask_b32_e32 v3, v3, v9, vcc
	v_cndmask_b32_e32 v1, v1, v5, vcc
	v_add_u32_e32 v5, 1, v1
	v_cmp_le_u32_e32 vcc, s51, v3
	v_cndmask_b32_e32 v11, v1, v5, vcc
.LBB81_29:                              ;   in Loop: Header=BB81_21 Depth=2
	s_or_b64 exec, exec, s[0:1]
	s_add_u32 s0, s4, s36
	s_addc_u32 s1, s5, s37
	s_add_i32 s34, s20, -2
	s_mov_b32 s35, s21
	s_lshl_b64 s[34:35], s[34:35], 2
	s_add_u32 s36, s42, s34
	s_addc_u32 s37, s43, s35
	s_load_dword s53, s[36:37], 0x8
	s_load_dword s54, s[30:31], 0x6c
	;; [unrolled: 1-line block ×3, first 2 shown]
                                        ; implicit-def: $vgpr13_vgpr14
	s_waitcnt lgkmcnt(0)
	s_ashr_i32 s0, s53, 31
	v_or_b32_e32 v5, s0, v12
	v_cmp_ne_u64_e32 vcc, 0, v[4:5]
	s_and_saveexec_b64 s[30:31], vcc
	s_xor_b64 s[30:31], exec, s[30:31]
	s_cbranch_execz .LBB81_31
; %bb.30:                               ;   in Loop: Header=BB81_21 Depth=2
	s_ashr_i32 s38, s0, 31
	s_add_u32 s40, s53, s38
	s_mov_b32 s39, s38
	s_addc_u32 s41, s0, s38
	s_xor_b64 s[40:41], s[40:41], s[38:39]
	v_cvt_f32_u32_e32 v1, s40
	v_cvt_f32_u32_e32 v3, s41
	s_sub_u32 s39, 0, s40
	s_subb_u32 s55, 0, s41
	v_mac_f32_e32 v1, 0x4f800000, v3
	v_rcp_f32_e32 v1, v1
	v_mul_f32_e32 v1, 0x5f7ffffc, v1
	v_mul_f32_e32 v3, 0x2f800000, v1
	v_trunc_f32_e32 v3, v3
	v_mac_f32_e32 v1, 0xcf800000, v3
	v_cvt_u32_f32_e32 v3, v3
	v_cvt_u32_f32_e32 v1, v1
	v_readfirstlane_b32 s56, v3
	v_readfirstlane_b32 s0, v1
	s_mul_i32 s1, s39, s56
	s_mul_hi_u32 s58, s39, s0
	s_mul_i32 s57, s55, s0
	s_add_i32 s1, s58, s1
	s_add_i32 s1, s1, s57
	s_mul_i32 s59, s39, s0
	s_mul_i32 s58, s0, s1
	s_mul_hi_u32 s60, s0, s59
	s_mul_hi_u32 s57, s0, s1
	s_add_u32 s58, s60, s58
	s_addc_u32 s57, 0, s57
	s_mul_hi_u32 s61, s56, s59
	s_mul_i32 s59, s56, s59
	s_add_u32 s58, s58, s59
	s_mul_hi_u32 s60, s56, s1
	s_addc_u32 s57, s57, s61
	s_addc_u32 s58, s60, 0
	s_mul_i32 s1, s56, s1
	s_add_u32 s1, s57, s1
	s_addc_u32 s57, 0, s58
	s_add_u32 s58, s0, s1
	s_cselect_b64 s[0:1], -1, 0
	s_cmp_lg_u64 s[0:1], 0
	s_addc_u32 s56, s56, s57
	s_mul_i32 s0, s39, s56
	s_mul_hi_u32 s1, s39, s58
	s_add_i32 s0, s1, s0
	s_mul_i32 s55, s55, s58
	s_add_i32 s0, s0, s55
	s_mul_i32 s39, s39, s58
	s_mul_hi_u32 s55, s56, s39
	s_mul_i32 s57, s56, s39
	s_mul_i32 s60, s58, s0
	s_mul_hi_u32 s39, s58, s39
	s_mul_hi_u32 s59, s58, s0
	s_add_u32 s39, s39, s60
	s_addc_u32 s59, 0, s59
	s_add_u32 s39, s39, s57
	s_mul_hi_u32 s1, s56, s0
	s_addc_u32 s39, s59, s55
	s_addc_u32 s1, s1, 0
	s_mul_i32 s0, s56, s0
	s_add_u32 s0, s39, s0
	s_addc_u32 s39, 0, s1
	s_add_u32 s55, s58, s0
	s_cselect_b64 s[0:1], -1, 0
	v_ashrrev_i32_e32 v1, 31, v12
	s_cmp_lg_u64 s[0:1], 0
	v_add_co_u32_e32 v3, vcc, v11, v1
	s_addc_u32 s39, s56, s39
	v_xor_b32_e32 v3, v3, v1
	v_addc_co_u32_e32 v5, vcc, v12, v1, vcc
	v_mad_u64_u32 v[12:13], s[0:1], v3, s39, 0
	v_mul_hi_u32 v9, v3, s55
	v_xor_b32_e32 v5, v5, v1
	v_mad_u64_u32 v[14:15], s[0:1], v5, s39, 0
	v_add_co_u32_e32 v9, vcc, v9, v12
	v_addc_co_u32_e32 v16, vcc, 0, v13, vcc
	v_mad_u64_u32 v[12:13], s[0:1], v5, s55, 0
	v_xor_b32_e32 v1, s38, v1
	v_add_co_u32_e32 v9, vcc, v9, v12
	v_addc_co_u32_e32 v9, vcc, v16, v13, vcc
	v_addc_co_u32_e32 v12, vcc, 0, v15, vcc
	v_add_co_u32_e32 v9, vcc, v9, v14
	v_addc_co_u32_e32 v14, vcc, 0, v12, vcc
	v_mul_lo_u32 v15, s41, v9
	v_mul_lo_u32 v16, s40, v14
	v_mad_u64_u32 v[12:13], s[0:1], s40, v9, 0
	v_add3_u32 v13, v13, v16, v15
	v_sub_u32_e32 v15, v5, v13
	v_mov_b32_e32 v16, s41
	v_sub_co_u32_e32 v3, vcc, v3, v12
	v_subb_co_u32_e64 v12, s[0:1], v15, v16, vcc
	v_subrev_co_u32_e64 v15, s[0:1], s40, v3
	v_subbrev_co_u32_e64 v12, s[0:1], 0, v12, s[0:1]
	v_cmp_le_u32_e64 s[0:1], s41, v12
	v_cndmask_b32_e64 v16, 0, -1, s[0:1]
	v_cmp_le_u32_e64 s[0:1], s40, v15
	v_cndmask_b32_e64 v15, 0, -1, s[0:1]
	v_cmp_eq_u32_e64 s[0:1], s41, v12
	v_cndmask_b32_e64 v12, v16, v15, s[0:1]
	v_add_co_u32_e64 v15, s[0:1], 2, v9
	v_subb_co_u32_e32 v5, vcc, v5, v13, vcc
	v_addc_co_u32_e64 v16, s[0:1], 0, v14, s[0:1]
	v_cmp_le_u32_e32 vcc, s41, v5
	v_add_co_u32_e64 v19, s[0:1], 1, v9
	v_cndmask_b32_e64 v13, 0, -1, vcc
	v_cmp_le_u32_e32 vcc, s40, v3
	v_addc_co_u32_e64 v20, s[0:1], 0, v14, s[0:1]
	v_cndmask_b32_e64 v3, 0, -1, vcc
	v_cmp_eq_u32_e32 vcc, s41, v5
	v_cmp_ne_u32_e64 s[0:1], 0, v12
	v_cndmask_b32_e32 v3, v13, v3, vcc
	v_cmp_ne_u32_e32 vcc, 0, v3
	v_cndmask_b32_e64 v5, v19, v15, s[0:1]
	v_cndmask_b32_e64 v12, v20, v16, s[0:1]
	v_cndmask_b32_e32 v5, v9, v5, vcc
	v_cndmask_b32_e32 v3, v14, v12, vcc
	v_xor_b32_e32 v5, v5, v1
	v_xor_b32_e32 v3, v3, v1
	v_sub_co_u32_e32 v13, vcc, v5, v1
	v_subb_co_u32_e32 v14, vcc, v3, v1, vcc
.LBB81_31:                              ;   in Loop: Header=BB81_21 Depth=2
	s_andn2_saveexec_b64 s[0:1], s[30:31]
	s_cbranch_execz .LBB81_33
; %bb.32:                               ;   in Loop: Header=BB81_21 Depth=2
	v_cvt_f32_u32_e32 v1, s53
	s_sub_i32 s30, 0, s53
	v_mov_b32_e32 v14, v4
	v_rcp_iflag_f32_e32 v1, v1
	v_mul_f32_e32 v1, 0x4f7ffffe, v1
	v_cvt_u32_f32_e32 v1, v1
	v_mul_lo_u32 v3, s30, v1
	v_mul_hi_u32 v3, v1, v3
	v_add_u32_e32 v1, v1, v3
	v_mul_hi_u32 v1, v11, v1
	v_mul_lo_u32 v3, v1, s53
	v_add_u32_e32 v5, 1, v1
	v_sub_u32_e32 v3, v11, v3
	v_subrev_u32_e32 v9, s53, v3
	v_cmp_le_u32_e32 vcc, s53, v3
	v_cndmask_b32_e32 v3, v3, v9, vcc
	v_cndmask_b32_e32 v1, v1, v5, vcc
	v_add_u32_e32 v5, 1, v1
	v_cmp_le_u32_e32 vcc, s53, v3
	v_cndmask_b32_e32 v13, v1, v5, vcc
.LBB81_33:                              ;   in Loop: Header=BB81_21 Depth=2
	s_or_b64 exec, exec, s[0:1]
	s_add_u32 s0, s4, s34
	s_addc_u32 s1, s5, s35
	s_add_i32 s30, s20, -3
	s_mov_b32 s31, s21
	s_lshl_b64 s[30:31], s[30:31], 2
	s_add_u32 s34, s42, s30
	s_addc_u32 s35, s43, s31
	s_load_dword s56, s[34:35], 0x8
	s_load_dword s57, s[36:37], 0x6c
	s_load_dword s55, s[0:1], 0x6c
                                        ; implicit-def: $vgpr15_vgpr16
	s_waitcnt lgkmcnt(0)
	s_ashr_i32 s0, s56, 31
	v_or_b32_e32 v5, s0, v14
	v_cmp_ne_u64_e32 vcc, 0, v[4:5]
	s_and_saveexec_b64 s[36:37], vcc
	s_xor_b64 s[36:37], exec, s[36:37]
	s_cbranch_execz .LBB81_35
; %bb.34:                               ;   in Loop: Header=BB81_21 Depth=2
	s_ashr_i32 s38, s0, 31
	s_add_u32 s40, s56, s38
	s_mov_b32 s39, s38
	s_addc_u32 s41, s0, s38
	s_xor_b64 s[40:41], s[40:41], s[38:39]
	v_cvt_f32_u32_e32 v1, s40
	v_cvt_f32_u32_e32 v3, s41
	s_sub_u32 s39, 0, s40
	s_subb_u32 s58, 0, s41
	v_mac_f32_e32 v1, 0x4f800000, v3
	v_rcp_f32_e32 v1, v1
	v_mul_f32_e32 v1, 0x5f7ffffc, v1
	v_mul_f32_e32 v3, 0x2f800000, v1
	v_trunc_f32_e32 v3, v3
	v_mac_f32_e32 v1, 0xcf800000, v3
	v_cvt_u32_f32_e32 v3, v3
	v_cvt_u32_f32_e32 v1, v1
	v_readfirstlane_b32 s59, v3
	v_readfirstlane_b32 s0, v1
	s_mul_i32 s1, s39, s59
	s_mul_hi_u32 s61, s39, s0
	s_mul_i32 s60, s58, s0
	s_add_i32 s1, s61, s1
	s_add_i32 s1, s1, s60
	s_mul_i32 s62, s39, s0
	s_mul_i32 s61, s0, s1
	s_mul_hi_u32 s63, s0, s62
	s_mul_hi_u32 s60, s0, s1
	s_add_u32 s61, s63, s61
	s_addc_u32 s60, 0, s60
	s_mul_hi_u32 s64, s59, s62
	s_mul_i32 s62, s59, s62
	s_add_u32 s61, s61, s62
	s_mul_hi_u32 s63, s59, s1
	s_addc_u32 s60, s60, s64
	s_addc_u32 s61, s63, 0
	s_mul_i32 s1, s59, s1
	s_add_u32 s1, s60, s1
	s_addc_u32 s60, 0, s61
	s_add_u32 s61, s0, s1
	s_cselect_b64 s[0:1], -1, 0
	s_cmp_lg_u64 s[0:1], 0
	s_addc_u32 s59, s59, s60
	s_mul_i32 s0, s39, s59
	s_mul_hi_u32 s1, s39, s61
	s_add_i32 s0, s1, s0
	s_mul_i32 s58, s58, s61
	s_add_i32 s0, s0, s58
	s_mul_i32 s39, s39, s61
	s_mul_hi_u32 s58, s59, s39
	s_mul_i32 s60, s59, s39
	s_mul_i32 s63, s61, s0
	s_mul_hi_u32 s39, s61, s39
	s_mul_hi_u32 s62, s61, s0
	s_add_u32 s39, s39, s63
	s_addc_u32 s62, 0, s62
	s_add_u32 s39, s39, s60
	s_mul_hi_u32 s1, s59, s0
	s_addc_u32 s39, s62, s58
	s_addc_u32 s1, s1, 0
	s_mul_i32 s0, s59, s0
	s_add_u32 s0, s39, s0
	s_addc_u32 s39, 0, s1
	s_add_u32 s58, s61, s0
	s_cselect_b64 s[0:1], -1, 0
	v_ashrrev_i32_e32 v1, 31, v14
	s_cmp_lg_u64 s[0:1], 0
	v_add_co_u32_e32 v3, vcc, v13, v1
	s_addc_u32 s39, s59, s39
	v_xor_b32_e32 v3, v3, v1
	v_addc_co_u32_e32 v5, vcc, v14, v1, vcc
	v_mad_u64_u32 v[14:15], s[0:1], v3, s39, 0
	v_mul_hi_u32 v9, v3, s58
	v_xor_b32_e32 v5, v5, v1
	v_mad_u64_u32 v[19:20], s[0:1], v5, s39, 0
	v_add_co_u32_e32 v9, vcc, v9, v14
	v_addc_co_u32_e32 v12, vcc, 0, v15, vcc
	v_mad_u64_u32 v[14:15], s[0:1], v5, s58, 0
	v_xor_b32_e32 v1, s38, v1
	v_add_co_u32_e32 v9, vcc, v9, v14
	v_addc_co_u32_e32 v9, vcc, v12, v15, vcc
	v_addc_co_u32_e32 v12, vcc, 0, v20, vcc
	v_add_co_u32_e32 v9, vcc, v9, v19
	v_addc_co_u32_e32 v12, vcc, 0, v12, vcc
	v_mul_lo_u32 v16, s41, v9
	v_mul_lo_u32 v19, s40, v12
	v_mad_u64_u32 v[14:15], s[0:1], s40, v9, 0
	v_add3_u32 v15, v15, v19, v16
	v_sub_u32_e32 v16, v5, v15
	v_mov_b32_e32 v19, s41
	v_sub_co_u32_e32 v3, vcc, v3, v14
	v_subb_co_u32_e64 v14, s[0:1], v16, v19, vcc
	v_subrev_co_u32_e64 v16, s[0:1], s40, v3
	v_subbrev_co_u32_e64 v14, s[0:1], 0, v14, s[0:1]
	v_cmp_le_u32_e64 s[0:1], s41, v14
	v_cndmask_b32_e64 v19, 0, -1, s[0:1]
	v_cmp_le_u32_e64 s[0:1], s40, v16
	v_cndmask_b32_e64 v16, 0, -1, s[0:1]
	v_cmp_eq_u32_e64 s[0:1], s41, v14
	v_cndmask_b32_e64 v14, v19, v16, s[0:1]
	v_add_co_u32_e64 v16, s[0:1], 2, v9
	v_subb_co_u32_e32 v5, vcc, v5, v15, vcc
	v_addc_co_u32_e64 v19, s[0:1], 0, v12, s[0:1]
	v_cmp_le_u32_e32 vcc, s41, v5
	v_add_co_u32_e64 v20, s[0:1], 1, v9
	v_cndmask_b32_e64 v15, 0, -1, vcc
	v_cmp_le_u32_e32 vcc, s40, v3
	v_addc_co_u32_e64 v21, s[0:1], 0, v12, s[0:1]
	v_cndmask_b32_e64 v3, 0, -1, vcc
	v_cmp_eq_u32_e32 vcc, s41, v5
	v_cmp_ne_u32_e64 s[0:1], 0, v14
	v_cndmask_b32_e32 v3, v15, v3, vcc
	v_cmp_ne_u32_e32 vcc, 0, v3
	v_cndmask_b32_e64 v5, v20, v16, s[0:1]
	v_cndmask_b32_e64 v14, v21, v19, s[0:1]
	v_cndmask_b32_e32 v5, v9, v5, vcc
	v_cndmask_b32_e32 v3, v12, v14, vcc
	v_xor_b32_e32 v5, v5, v1
	v_xor_b32_e32 v3, v3, v1
	v_sub_co_u32_e32 v15, vcc, v5, v1
	v_subb_co_u32_e32 v16, vcc, v3, v1, vcc
.LBB81_35:                              ;   in Loop: Header=BB81_21 Depth=2
	s_andn2_saveexec_b64 s[0:1], s[36:37]
	s_cbranch_execz .LBB81_37
; %bb.36:                               ;   in Loop: Header=BB81_21 Depth=2
	v_cvt_f32_u32_e32 v1, s56
	s_sub_i32 s36, 0, s56
	v_mov_b32_e32 v16, v4
	v_rcp_iflag_f32_e32 v1, v1
	v_mul_f32_e32 v1, 0x4f7ffffe, v1
	v_cvt_u32_f32_e32 v1, v1
	v_mul_lo_u32 v3, s36, v1
	v_mul_hi_u32 v3, v1, v3
	v_add_u32_e32 v1, v1, v3
	v_mul_hi_u32 v1, v13, v1
	v_mul_lo_u32 v3, v1, s56
	v_add_u32_e32 v5, 1, v1
	v_sub_u32_e32 v3, v13, v3
	v_subrev_u32_e32 v9, s56, v3
	v_cmp_le_u32_e32 vcc, s56, v3
	v_cndmask_b32_e32 v3, v3, v9, vcc
	v_cndmask_b32_e32 v1, v1, v5, vcc
	v_add_u32_e32 v5, 1, v1
	v_cmp_le_u32_e32 vcc, s56, v3
	v_cndmask_b32_e32 v15, v1, v5, vcc
.LBB81_37:                              ;   in Loop: Header=BB81_21 Depth=2
	s_or_b64 exec, exec, s[0:1]
	v_mul_lo_u32 v1, v2, s29
	v_mul_lo_u32 v3, v11, s51
	s_add_u32 s0, s4, s30
	s_addc_u32 s1, s5, s31
	v_sub_u32_e32 v0, v0, v1
	v_sub_u32_e32 v1, v2, v3
	v_mul_lo_u32 v2, s50, v0
	v_mul_lo_u32 v3, s54, v1
	;; [unrolled: 1-line block ×4, first 2 shown]
	s_load_dword s29, s[34:35], 0x6c
	v_mul_lo_u32 v0, s49, v0
	s_load_dword s0, s[0:1], 0x6c
	v_mul_lo_u32 v1, s52, v1
	v_add3_u32 v2, v2, v10, v3
	v_sub_u32_e32 v3, v11, v5
	v_sub_u32_e32 v9, v13, v9
	v_mul_lo_u32 v5, s57, v3
	s_waitcnt lgkmcnt(0)
	v_mul_lo_u32 v10, s29, v9
	v_add3_u32 v0, v0, v8, v1
	v_mul_lo_u32 v1, s55, v3
	v_mul_lo_u32 v3, s0, v9
	s_add_i32 s20, s20, -4
	v_add3_u32 v10, v5, v2, v10
	s_cmp_eq_u32 s20, -1
	v_add3_u32 v8, v1, v0, v3
	s_cbranch_scc1 .LBB81_39
; %bb.38:                               ;   in Loop: Header=BB81_21 Depth=2
	v_mov_b32_e32 v0, v15
	v_mov_b32_e32 v1, v16
	s_branch .LBB81_21
.LBB81_39:                              ;   in Loop: Header=BB81_3 Depth=1
	v_sub_u32_e32 v9, v17, v18
	v_add_u32_e32 v0, 1, v9
	v_ashrrev_i32_e32 v1, 31, v0
	v_cmp_le_i64_e32 vcc, s[8:9], v[0:1]
	v_mov_b32_e32 v2, 0
	v_mov_b32_e32 v0, 0
	;; [unrolled: 1-line block ×4, first 2 shown]
	s_and_saveexec_b64 s[0:1], vcc
	s_cbranch_execz .LBB81_43
; %bb.40:                               ;   in Loop: Header=BB81_3 Depth=1
	v_mov_b32_e32 v0, 0
	v_mov_b32_e32 v2, 0
	;; [unrolled: 1-line block ×4, first 2 shown]
	v_cmp_gt_i32_e32 vcc, s7, v17
	s_and_saveexec_b64 s[30:31], vcc
	s_cbranch_execz .LBB81_42
; %bb.41:                               ;   in Loop: Header=BB81_3 Depth=1
	v_ashrrev_i32_e32 v11, 31, v10
	v_lshlrev_b64 v[0:1], 4, v[10:11]
	v_mov_b32_e32 v2, s3
	v_add_co_u32_e32 v0, vcc, s2, v0
	v_addc_co_u32_e32 v1, vcc, v2, v1, vcc
	global_load_dwordx4 v[0:3], v[0:1], off
.LBB81_42:                              ;   in Loop: Header=BB81_3 Depth=1
	s_or_b64 exec, exec, s[30:31]
	v_ashrrev_i32_e32 v10, 31, v9
	v_cmp_gt_i64_e32 vcc, s[8:9], v[9:10]
	s_waitcnt vmcnt(0)
	v_cndmask_b32_e64 v1, v1, 0, vcc
	v_cndmask_b32_e64 v0, v0, 0, vcc
	;; [unrolled: 1-line block ×4, first 2 shown]
.LBB81_43:                              ;   in Loop: Header=BB81_3 Depth=1
	s_or_b64 exec, exec, s[0:1]
	v_cmp_gt_i32_e32 vcc, s7, v17
	s_and_saveexec_b64 s[0:1], vcc
	s_cbranch_execz .LBB81_2
; %bb.44:                               ;   in Loop: Header=BB81_3 Depth=1
	v_ashrrev_i32_e32 v9, 31, v8
	v_lshlrev_b64 v[8:9], 4, v[8:9]
	v_mov_b32_e32 v5, s19
	v_add_co_u32_e32 v8, vcc, s18, v8
	v_addc_co_u32_e32 v9, vcc, v5, v9, vcc
	global_store_dwordx4 v[8:9], v[0:3], off
	s_branch .LBB81_2
.LBB81_45:
	s_endpgm
	.section	.rodata,"a",@progbits
	.p2align	6, 0x0
	.amdhsa_kernel _ZN2at6native16triu_tril_kernelIN3c107complexIdEEiLb1ELi1ELb0EEEvNS_4cuda6detail10TensorInfoIT_T0_EENS7_IKS8_S9_EEllS9_
		.amdhsa_group_segment_fixed_size 0
		.amdhsa_private_segment_fixed_size 0
		.amdhsa_kernarg_size 712
		.amdhsa_user_sgpr_count 6
		.amdhsa_user_sgpr_private_segment_buffer 1
		.amdhsa_user_sgpr_dispatch_ptr 0
		.amdhsa_user_sgpr_queue_ptr 0
		.amdhsa_user_sgpr_kernarg_segment_ptr 1
		.amdhsa_user_sgpr_dispatch_id 0
		.amdhsa_user_sgpr_flat_scratch_init 0
		.amdhsa_user_sgpr_private_segment_size 0
		.amdhsa_uses_dynamic_stack 0
		.amdhsa_system_sgpr_private_segment_wavefront_offset 0
		.amdhsa_system_sgpr_workgroup_id_x 1
		.amdhsa_system_sgpr_workgroup_id_y 0
		.amdhsa_system_sgpr_workgroup_id_z 0
		.amdhsa_system_sgpr_workgroup_info 0
		.amdhsa_system_vgpr_workitem_id 0
		.amdhsa_next_free_vgpr 22
		.amdhsa_next_free_sgpr 65
		.amdhsa_reserve_vcc 1
		.amdhsa_reserve_flat_scratch 0
		.amdhsa_float_round_mode_32 0
		.amdhsa_float_round_mode_16_64 0
		.amdhsa_float_denorm_mode_32 3
		.amdhsa_float_denorm_mode_16_64 3
		.amdhsa_dx10_clamp 1
		.amdhsa_ieee_mode 1
		.amdhsa_fp16_overflow 0
		.amdhsa_exception_fp_ieee_invalid_op 0
		.amdhsa_exception_fp_denorm_src 0
		.amdhsa_exception_fp_ieee_div_zero 0
		.amdhsa_exception_fp_ieee_overflow 0
		.amdhsa_exception_fp_ieee_underflow 0
		.amdhsa_exception_fp_ieee_inexact 0
		.amdhsa_exception_int_div_zero 0
	.end_amdhsa_kernel
	.section	.text._ZN2at6native16triu_tril_kernelIN3c107complexIdEEiLb1ELi1ELb0EEEvNS_4cuda6detail10TensorInfoIT_T0_EENS7_IKS8_S9_EEllS9_,"axG",@progbits,_ZN2at6native16triu_tril_kernelIN3c107complexIdEEiLb1ELi1ELb0EEEvNS_4cuda6detail10TensorInfoIT_T0_EENS7_IKS8_S9_EEllS9_,comdat
.Lfunc_end81:
	.size	_ZN2at6native16triu_tril_kernelIN3c107complexIdEEiLb1ELi1ELb0EEEvNS_4cuda6detail10TensorInfoIT_T0_EENS7_IKS8_S9_EEllS9_, .Lfunc_end81-_ZN2at6native16triu_tril_kernelIN3c107complexIdEEiLb1ELi1ELb0EEEvNS_4cuda6detail10TensorInfoIT_T0_EENS7_IKS8_S9_EEllS9_
                                        ; -- End function
	.set _ZN2at6native16triu_tril_kernelIN3c107complexIdEEiLb1ELi1ELb0EEEvNS_4cuda6detail10TensorInfoIT_T0_EENS7_IKS8_S9_EEllS9_.num_vgpr, 22
	.set _ZN2at6native16triu_tril_kernelIN3c107complexIdEEiLb1ELi1ELb0EEEvNS_4cuda6detail10TensorInfoIT_T0_EENS7_IKS8_S9_EEllS9_.num_agpr, 0
	.set _ZN2at6native16triu_tril_kernelIN3c107complexIdEEiLb1ELi1ELb0EEEvNS_4cuda6detail10TensorInfoIT_T0_EENS7_IKS8_S9_EEllS9_.numbered_sgpr, 65
	.set _ZN2at6native16triu_tril_kernelIN3c107complexIdEEiLb1ELi1ELb0EEEvNS_4cuda6detail10TensorInfoIT_T0_EENS7_IKS8_S9_EEllS9_.num_named_barrier, 0
	.set _ZN2at6native16triu_tril_kernelIN3c107complexIdEEiLb1ELi1ELb0EEEvNS_4cuda6detail10TensorInfoIT_T0_EENS7_IKS8_S9_EEllS9_.private_seg_size, 0
	.set _ZN2at6native16triu_tril_kernelIN3c107complexIdEEiLb1ELi1ELb0EEEvNS_4cuda6detail10TensorInfoIT_T0_EENS7_IKS8_S9_EEllS9_.uses_vcc, 1
	.set _ZN2at6native16triu_tril_kernelIN3c107complexIdEEiLb1ELi1ELb0EEEvNS_4cuda6detail10TensorInfoIT_T0_EENS7_IKS8_S9_EEllS9_.uses_flat_scratch, 0
	.set _ZN2at6native16triu_tril_kernelIN3c107complexIdEEiLb1ELi1ELb0EEEvNS_4cuda6detail10TensorInfoIT_T0_EENS7_IKS8_S9_EEllS9_.has_dyn_sized_stack, 0
	.set _ZN2at6native16triu_tril_kernelIN3c107complexIdEEiLb1ELi1ELb0EEEvNS_4cuda6detail10TensorInfoIT_T0_EENS7_IKS8_S9_EEllS9_.has_recursion, 0
	.set _ZN2at6native16triu_tril_kernelIN3c107complexIdEEiLb1ELi1ELb0EEEvNS_4cuda6detail10TensorInfoIT_T0_EENS7_IKS8_S9_EEllS9_.has_indirect_call, 0
	.section	.AMDGPU.csdata,"",@progbits
; Kernel info:
; codeLenInByte = 6252
; TotalNumSgprs: 69
; NumVgprs: 22
; ScratchSize: 0
; MemoryBound: 1
; FloatMode: 240
; IeeeMode: 1
; LDSByteSize: 0 bytes/workgroup (compile time only)
; SGPRBlocks: 8
; VGPRBlocks: 5
; NumSGPRsForWavesPerEU: 69
; NumVGPRsForWavesPerEU: 22
; Occupancy: 10
; WaveLimiterHint : 1
; COMPUTE_PGM_RSRC2:SCRATCH_EN: 0
; COMPUTE_PGM_RSRC2:USER_SGPR: 6
; COMPUTE_PGM_RSRC2:TRAP_HANDLER: 0
; COMPUTE_PGM_RSRC2:TGID_X_EN: 1
; COMPUTE_PGM_RSRC2:TGID_Y_EN: 0
; COMPUTE_PGM_RSRC2:TGID_Z_EN: 0
; COMPUTE_PGM_RSRC2:TIDIG_COMP_CNT: 0
	.section	.text._ZN2at6native16triu_tril_kernelIN3c107complexIdEElLb1ELi1ELb1EEEvNS_4cuda6detail10TensorInfoIT_T0_EENS7_IKS8_S9_EEllS9_,"axG",@progbits,_ZN2at6native16triu_tril_kernelIN3c107complexIdEElLb1ELi1ELb1EEEvNS_4cuda6detail10TensorInfoIT_T0_EENS7_IKS8_S9_EEllS9_,comdat
	.protected	_ZN2at6native16triu_tril_kernelIN3c107complexIdEElLb1ELi1ELb1EEEvNS_4cuda6detail10TensorInfoIT_T0_EENS7_IKS8_S9_EEllS9_ ; -- Begin function _ZN2at6native16triu_tril_kernelIN3c107complexIdEElLb1ELi1ELb1EEEvNS_4cuda6detail10TensorInfoIT_T0_EENS7_IKS8_S9_EEllS9_
	.globl	_ZN2at6native16triu_tril_kernelIN3c107complexIdEElLb1ELi1ELb1EEEvNS_4cuda6detail10TensorInfoIT_T0_EENS7_IKS8_S9_EEllS9_
	.p2align	8
	.type	_ZN2at6native16triu_tril_kernelIN3c107complexIdEElLb1ELi1ELb1EEEvNS_4cuda6detail10TensorInfoIT_T0_EENS7_IKS8_S9_EEllS9_,@function
_ZN2at6native16triu_tril_kernelIN3c107complexIdEElLb1ELi1ELb1EEEvNS_4cuda6detail10TensorInfoIT_T0_EENS7_IKS8_S9_EEllS9_: ; @_ZN2at6native16triu_tril_kernelIN3c107complexIdEElLb1ELi1ELb1EEEvNS_4cuda6detail10TensorInfoIT_T0_EENS7_IKS8_S9_EEllS9_
; %bb.0:
	s_load_dword s2, s[4:5], 0x364
	s_load_dwordx4 s[8:11], s[4:5], 0x340
	s_add_u32 s0, s4, 0x358
	v_mov_b32_e32 v2, 0
	s_addc_u32 s1, s5, 0
	s_waitcnt lgkmcnt(0)
	s_and_b32 s22, s2, 0xffff
	v_mov_b32_e32 v1, v2
	v_mov_b32_e32 v3, s6
	v_mad_u64_u32 v[0:1], s[2:3], s22, v3, v[0:1]
	v_cmp_gt_i64_e32 vcc, s[10:11], v[0:1]
	s_and_saveexec_b64 s[2:3], vcc
	s_cbranch_execz .LBB82_40
; %bb.1:
	s_load_dword s18, s[4:5], 0x338
	s_add_u32 s30, s4, 0x1a0
	s_addc_u32 s31, s5, 0
	s_load_dword s23, s[0:1], 0x0
	s_load_dwordx2 s[2:3], s[4:5], 0x350
	s_load_dwordx2 s[6:7], s[4:5], 0x0
	s_waitcnt lgkmcnt(0)
	s_add_i32 s0, s18, -2
	s_ashr_i32 s1, s0, 31
	s_ashr_i32 s19, s18, 31
	s_lshl_b64 s[14:15], s[0:1], 3
	s_add_u32 s14, s30, s14
	s_addc_u32 s15, s31, s15
	s_lshl_b64 s[20:21], s[18:19], 3
	s_add_u32 s16, s4, s20
	v_cmp_gt_i64_e64 s[12:13], s[18:19], 2
	s_addc_u32 s17, s5, s21
	s_add_i32 s18, s18, -3
	s_ashr_i32 s19, s18, 31
	s_add_u32 s20, s30, s20
	s_addc_u32 s21, s31, s21
	s_mul_i32 s33, s23, s22
	s_and_b32 s22, s0, 3
	s_and_b32 s0, s18, 3
	s_cmp_lg_u32 s0, 3
	s_cselect_b64 s[24:25], -1, 0
	s_cmp_gt_u32 s18, 2
	s_cselect_b64 s[26:27], -1, 0
	s_lshl_b64 s[0:1], s[18:19], 3
	s_add_u32 s28, s4, s0
	s_addc_u32 s29, s5, s1
	s_add_u32 s28, s28, 0xd0
	s_addc_u32 s29, s29, 0
	;; [unrolled: 2-line block ×3, first 2 shown]
	s_add_u32 s30, s0, 8
	s_load_dwordx2 s[14:15], s[14:15], 0x8
	s_addc_u32 s31, s1, 0
	s_add_u32 s62, s4, 0xb8
	s_addc_u32 s63, s5, 0
	s_add_u32 s64, s4, 0x190
	s_mov_b32 s23, 0
	s_addc_u32 s65, s5, 0
	s_mov_b64 s[4:5], 0
	s_branch .LBB82_3
.LBB82_2:                               ;   in Loop: Header=BB82_3 Depth=1
	s_or_b64 exec, exec, s[34:35]
	v_add_co_u32_e32 v0, vcc, s33, v0
	v_addc_co_u32_e32 v1, vcc, 0, v1, vcc
	v_cmp_le_i64_e32 vcc, s[10:11], v[0:1]
	s_or_b64 s[4:5], vcc, s[4:5]
	s_andn2_b64 exec, exec, s[4:5]
	s_cbranch_execz .LBB82_40
.LBB82_3:                               ; =>This Loop Header: Depth=1
                                        ;     Child Loop BB82_17 Depth 2
                                        ;     Child Loop BB82_22 Depth 2
	v_or_b32_e32 v3, s3, v1
	v_cmp_ne_u64_e32 vcc, 0, v[2:3]
                                        ; implicit-def: $vgpr6_vgpr7
	s_and_saveexec_b64 s[0:1], vcc
	s_xor_b64 s[34:35], exec, s[0:1]
	s_cbranch_execz .LBB82_5
; %bb.4:                                ;   in Loop: Header=BB82_3 Depth=1
	s_ashr_i32 s36, s3, 31
	s_add_u32 s0, s2, s36
	s_mov_b32 s37, s36
	s_addc_u32 s1, s3, s36
	s_xor_b64 s[38:39], s[0:1], s[36:37]
	v_cvt_f32_u32_e32 v3, s38
	v_cvt_f32_u32_e32 v4, s39
	s_sub_u32 s37, 0, s38
	s_subb_u32 s40, 0, s39
	v_ashrrev_i32_e32 v7, 31, v1
	v_mac_f32_e32 v3, 0x4f800000, v4
	v_rcp_f32_e32 v3, v3
	v_mul_f32_e32 v3, 0x5f7ffffc, v3
	v_mul_f32_e32 v4, 0x2f800000, v3
	v_trunc_f32_e32 v4, v4
	v_mac_f32_e32 v3, 0xcf800000, v4
	v_cvt_u32_f32_e32 v4, v4
	v_cvt_u32_f32_e32 v3, v3
	v_readfirstlane_b32 s41, v4
	v_readfirstlane_b32 s0, v3
	s_mul_i32 s1, s37, s41
	s_mul_hi_u32 s43, s37, s0
	s_mul_i32 s42, s40, s0
	s_add_i32 s1, s43, s1
	s_add_i32 s1, s1, s42
	s_mul_i32 s44, s37, s0
	s_mul_i32 s43, s0, s1
	s_mul_hi_u32 s45, s0, s44
	s_mul_hi_u32 s42, s0, s1
	s_add_u32 s43, s45, s43
	s_addc_u32 s42, 0, s42
	s_mul_hi_u32 s46, s41, s44
	s_mul_i32 s44, s41, s44
	s_add_u32 s43, s43, s44
	s_mul_hi_u32 s45, s41, s1
	s_addc_u32 s42, s42, s46
	s_addc_u32 s43, s45, 0
	s_mul_i32 s1, s41, s1
	s_add_u32 s1, s42, s1
	s_addc_u32 s42, 0, s43
	s_add_u32 s43, s0, s1
	s_cselect_b64 s[0:1], -1, 0
	s_cmp_lg_u64 s[0:1], 0
	s_addc_u32 s41, s41, s42
	s_mul_i32 s0, s37, s41
	s_mul_hi_u32 s1, s37, s43
	s_add_i32 s0, s1, s0
	s_mul_i32 s40, s40, s43
	s_add_i32 s0, s0, s40
	s_mul_i32 s37, s37, s43
	s_mul_hi_u32 s40, s41, s37
	s_mul_i32 s42, s41, s37
	s_mul_i32 s45, s43, s0
	s_mul_hi_u32 s37, s43, s37
	s_mul_hi_u32 s44, s43, s0
	s_add_u32 s37, s37, s45
	s_addc_u32 s44, 0, s44
	s_add_u32 s37, s37, s42
	s_mul_hi_u32 s1, s41, s0
	s_addc_u32 s37, s44, s40
	s_addc_u32 s1, s1, 0
	s_mul_i32 s0, s41, s0
	s_add_u32 s0, s37, s0
	s_addc_u32 s37, 0, s1
	s_add_u32 s40, s43, s0
	s_cselect_b64 s[0:1], -1, 0
	s_cmp_lg_u64 s[0:1], 0
	v_add_co_u32_e32 v3, vcc, v0, v7
	s_addc_u32 s37, s41, s37
	v_xor_b32_e32 v8, v3, v7
	v_mad_u64_u32 v[3:4], s[0:1], v8, s37, 0
	v_mul_hi_u32 v6, v8, s40
	v_addc_co_u32_e32 v5, vcc, v1, v7, vcc
	v_xor_b32_e32 v9, v5, v7
	v_add_co_u32_e32 v10, vcc, v6, v3
	v_addc_co_u32_e32 v11, vcc, 0, v4, vcc
	v_mad_u64_u32 v[3:4], s[0:1], v9, s40, 0
	v_mad_u64_u32 v[5:6], s[0:1], v9, s37, 0
	v_add_co_u32_e32 v3, vcc, v10, v3
	v_addc_co_u32_e32 v3, vcc, v11, v4, vcc
	v_addc_co_u32_e32 v4, vcc, 0, v6, vcc
	v_add_co_u32_e32 v5, vcc, v3, v5
	v_addc_co_u32_e32 v6, vcc, 0, v4, vcc
	v_mul_lo_u32 v10, s39, v5
	v_mul_lo_u32 v11, s38, v6
	v_mad_u64_u32 v[3:4], s[0:1], s38, v5, 0
	v_add3_u32 v4, v4, v11, v10
	v_sub_u32_e32 v10, v9, v4
	v_mov_b32_e32 v11, s39
	v_sub_co_u32_e32 v3, vcc, v8, v3
	v_subb_co_u32_e64 v8, s[0:1], v10, v11, vcc
	v_subrev_co_u32_e64 v10, s[0:1], s38, v3
	v_subbrev_co_u32_e64 v8, s[0:1], 0, v8, s[0:1]
	v_cmp_le_u32_e64 s[0:1], s39, v8
	v_cndmask_b32_e64 v11, 0, -1, s[0:1]
	v_cmp_le_u32_e64 s[0:1], s38, v10
	v_cndmask_b32_e64 v10, 0, -1, s[0:1]
	v_cmp_eq_u32_e64 s[0:1], s39, v8
	v_cndmask_b32_e64 v8, v11, v10, s[0:1]
	v_add_co_u32_e64 v10, s[0:1], 2, v5
	v_subb_co_u32_e32 v4, vcc, v9, v4, vcc
	v_addc_co_u32_e64 v11, s[0:1], 0, v6, s[0:1]
	v_cmp_le_u32_e32 vcc, s39, v4
	v_add_co_u32_e64 v12, s[0:1], 1, v5
	v_cndmask_b32_e64 v9, 0, -1, vcc
	v_cmp_le_u32_e32 vcc, s38, v3
	v_addc_co_u32_e64 v13, s[0:1], 0, v6, s[0:1]
	v_cndmask_b32_e64 v3, 0, -1, vcc
	v_cmp_eq_u32_e32 vcc, s39, v4
	v_cmp_ne_u32_e64 s[0:1], 0, v8
	v_cndmask_b32_e32 v3, v9, v3, vcc
	v_cmp_ne_u32_e32 vcc, 0, v3
	v_cndmask_b32_e64 v4, v12, v10, s[0:1]
	v_cndmask_b32_e64 v8, v13, v11, s[0:1]
	v_cndmask_b32_e32 v4, v5, v4, vcc
	v_xor_b32_e32 v5, s36, v7
	v_cndmask_b32_e32 v3, v6, v8, vcc
	v_xor_b32_e32 v4, v4, v5
	v_xor_b32_e32 v3, v3, v5
	v_sub_co_u32_e32 v6, vcc, v4, v5
	v_subb_co_u32_e32 v7, vcc, v3, v5, vcc
.LBB82_5:                               ;   in Loop: Header=BB82_3 Depth=1
	s_andn2_saveexec_b64 s[0:1], s[34:35]
	s_cbranch_execz .LBB82_7
; %bb.6:                                ;   in Loop: Header=BB82_3 Depth=1
	v_cvt_f32_u32_e32 v3, s2
	s_sub_i32 s34, 0, s2
	v_mov_b32_e32 v7, v2
	v_rcp_iflag_f32_e32 v3, v3
	v_mul_f32_e32 v3, 0x4f7ffffe, v3
	v_cvt_u32_f32_e32 v3, v3
	v_mul_lo_u32 v4, s34, v3
	v_mul_hi_u32 v4, v3, v4
	v_add_u32_e32 v3, v3, v4
	v_mul_hi_u32 v3, v0, v3
	v_mul_lo_u32 v4, v3, s2
	v_add_u32_e32 v5, 1, v3
	v_sub_u32_e32 v4, v0, v4
	v_subrev_u32_e32 v6, s2, v4
	v_cmp_le_u32_e32 vcc, s2, v4
	v_cndmask_b32_e32 v4, v4, v6, vcc
	v_cndmask_b32_e32 v3, v3, v5, vcc
	v_add_u32_e32 v5, 1, v3
	v_cmp_le_u32_e32 vcc, s2, v4
	v_cndmask_b32_e32 v6, v3, v5, vcc
.LBB82_7:                               ;   in Loop: Header=BB82_3 Depth=1
	s_or_b64 exec, exec, s[0:1]
	s_waitcnt lgkmcnt(0)
	v_or_b32_e32 v3, s15, v7
	v_cmp_ne_u64_e32 vcc, 0, v[2:3]
                                        ; implicit-def: $vgpr8_vgpr9
	s_and_saveexec_b64 s[0:1], vcc
	s_xor_b64 s[34:35], exec, s[0:1]
	s_cbranch_execz .LBB82_9
; %bb.8:                                ;   in Loop: Header=BB82_3 Depth=1
	s_ashr_i32 s36, s15, 31
	s_add_u32 s0, s14, s36
	s_mov_b32 s37, s36
	s_addc_u32 s1, s15, s36
	s_xor_b64 s[38:39], s[0:1], s[36:37]
	v_cvt_f32_u32_e32 v3, s38
	v_cvt_f32_u32_e32 v4, s39
	s_sub_u32 s37, 0, s38
	s_subb_u32 s40, 0, s39
	v_ashrrev_i32_e32 v5, 31, v7
	v_mac_f32_e32 v3, 0x4f800000, v4
	v_rcp_f32_e32 v3, v3
	v_mul_f32_e32 v3, 0x5f7ffffc, v3
	v_mul_f32_e32 v4, 0x2f800000, v3
	v_trunc_f32_e32 v4, v4
	v_mac_f32_e32 v3, 0xcf800000, v4
	v_cvt_u32_f32_e32 v4, v4
	v_cvt_u32_f32_e32 v3, v3
	v_readfirstlane_b32 s41, v4
	v_readfirstlane_b32 s0, v3
	s_mul_i32 s1, s37, s41
	s_mul_hi_u32 s43, s37, s0
	s_mul_i32 s42, s40, s0
	s_add_i32 s1, s43, s1
	s_add_i32 s1, s1, s42
	s_mul_i32 s44, s37, s0
	s_mul_i32 s43, s0, s1
	s_mul_hi_u32 s45, s0, s44
	s_mul_hi_u32 s42, s0, s1
	s_add_u32 s43, s45, s43
	s_addc_u32 s42, 0, s42
	s_mul_hi_u32 s46, s41, s44
	s_mul_i32 s44, s41, s44
	s_add_u32 s43, s43, s44
	s_mul_hi_u32 s45, s41, s1
	s_addc_u32 s42, s42, s46
	s_addc_u32 s43, s45, 0
	s_mul_i32 s1, s41, s1
	s_add_u32 s1, s42, s1
	s_addc_u32 s42, 0, s43
	s_add_u32 s43, s0, s1
	s_cselect_b64 s[0:1], -1, 0
	s_cmp_lg_u64 s[0:1], 0
	s_addc_u32 s41, s41, s42
	s_mul_i32 s0, s37, s41
	s_mul_hi_u32 s1, s37, s43
	s_add_i32 s0, s1, s0
	s_mul_i32 s40, s40, s43
	s_add_i32 s0, s0, s40
	s_mul_i32 s37, s37, s43
	s_mul_hi_u32 s40, s41, s37
	s_mul_i32 s42, s41, s37
	s_mul_i32 s45, s43, s0
	s_mul_hi_u32 s37, s43, s37
	s_mul_hi_u32 s44, s43, s0
	s_add_u32 s37, s37, s45
	s_addc_u32 s44, 0, s44
	s_add_u32 s37, s37, s42
	s_mul_hi_u32 s1, s41, s0
	s_addc_u32 s37, s44, s40
	s_addc_u32 s1, s1, 0
	s_mul_i32 s0, s41, s0
	s_add_u32 s0, s37, s0
	s_addc_u32 s37, 0, s1
	s_add_u32 s40, s43, s0
	s_cselect_b64 s[0:1], -1, 0
	s_cmp_lg_u64 s[0:1], 0
	v_add_co_u32_e32 v3, vcc, v6, v5
	s_addc_u32 s37, s41, s37
	v_xor_b32_e32 v10, v3, v5
	v_mad_u64_u32 v[3:4], s[0:1], v10, s37, 0
	v_mul_hi_u32 v9, v10, s40
	v_addc_co_u32_e32 v8, vcc, v7, v5, vcc
	v_xor_b32_e32 v11, v8, v5
	v_add_co_u32_e32 v12, vcc, v9, v3
	v_addc_co_u32_e32 v13, vcc, 0, v4, vcc
	v_mad_u64_u32 v[3:4], s[0:1], v11, s40, 0
	v_mad_u64_u32 v[8:9], s[0:1], v11, s37, 0
	v_add_co_u32_e32 v3, vcc, v12, v3
	v_addc_co_u32_e32 v3, vcc, v13, v4, vcc
	v_addc_co_u32_e32 v4, vcc, 0, v9, vcc
	v_add_co_u32_e32 v8, vcc, v3, v8
	v_addc_co_u32_e32 v9, vcc, 0, v4, vcc
	v_mul_lo_u32 v12, s39, v8
	v_mul_lo_u32 v13, s38, v9
	v_mad_u64_u32 v[3:4], s[0:1], s38, v8, 0
	v_xor_b32_e32 v5, s36, v5
	v_add3_u32 v4, v4, v13, v12
	v_sub_u32_e32 v12, v11, v4
	v_mov_b32_e32 v13, s39
	v_sub_co_u32_e32 v3, vcc, v10, v3
	v_subb_co_u32_e64 v10, s[0:1], v12, v13, vcc
	v_subrev_co_u32_e64 v12, s[0:1], s38, v3
	v_subbrev_co_u32_e64 v10, s[0:1], 0, v10, s[0:1]
	v_cmp_le_u32_e64 s[0:1], s39, v10
	v_cndmask_b32_e64 v13, 0, -1, s[0:1]
	v_cmp_le_u32_e64 s[0:1], s38, v12
	v_cndmask_b32_e64 v12, 0, -1, s[0:1]
	v_cmp_eq_u32_e64 s[0:1], s39, v10
	v_cndmask_b32_e64 v10, v13, v12, s[0:1]
	v_add_co_u32_e64 v12, s[0:1], 2, v8
	v_subb_co_u32_e32 v4, vcc, v11, v4, vcc
	v_addc_co_u32_e64 v13, s[0:1], 0, v9, s[0:1]
	v_cmp_le_u32_e32 vcc, s39, v4
	v_add_co_u32_e64 v14, s[0:1], 1, v8
	v_cndmask_b32_e64 v11, 0, -1, vcc
	v_cmp_le_u32_e32 vcc, s38, v3
	v_addc_co_u32_e64 v15, s[0:1], 0, v9, s[0:1]
	v_cndmask_b32_e64 v3, 0, -1, vcc
	v_cmp_eq_u32_e32 vcc, s39, v4
	v_cmp_ne_u32_e64 s[0:1], 0, v10
	v_cndmask_b32_e32 v3, v11, v3, vcc
	v_cmp_ne_u32_e32 vcc, 0, v3
	v_cndmask_b32_e64 v4, v14, v12, s[0:1]
	v_cndmask_b32_e64 v10, v15, v13, s[0:1]
	v_cndmask_b32_e32 v4, v8, v4, vcc
	v_cndmask_b32_e32 v3, v9, v10, vcc
	v_xor_b32_e32 v4, v4, v5
	v_xor_b32_e32 v3, v3, v5
	v_sub_co_u32_e32 v8, vcc, v4, v5
	v_subb_co_u32_e32 v9, vcc, v3, v5, vcc
.LBB82_9:                               ;   in Loop: Header=BB82_3 Depth=1
	s_andn2_saveexec_b64 s[0:1], s[34:35]
	s_cbranch_execz .LBB82_11
; %bb.10:                               ;   in Loop: Header=BB82_3 Depth=1
	v_cvt_f32_u32_e32 v3, s14
	s_sub_i32 s34, 0, s14
	v_mov_b32_e32 v9, v2
	v_rcp_iflag_f32_e32 v3, v3
	v_mul_f32_e32 v3, 0x4f7ffffe, v3
	v_cvt_u32_f32_e32 v3, v3
	v_mul_lo_u32 v4, s34, v3
	v_mul_hi_u32 v4, v3, v4
	v_add_u32_e32 v3, v3, v4
	v_mul_hi_u32 v3, v6, v3
	v_mul_lo_u32 v4, v3, s14
	v_add_u32_e32 v5, 1, v3
	v_sub_u32_e32 v4, v6, v4
	v_subrev_u32_e32 v8, s14, v4
	v_cmp_le_u32_e32 vcc, s14, v4
	v_cndmask_b32_e32 v4, v4, v8, vcc
	v_cndmask_b32_e32 v3, v3, v5, vcc
	v_add_u32_e32 v5, 1, v3
	v_cmp_le_u32_e32 vcc, s14, v4
	v_cndmask_b32_e32 v8, v3, v5, vcc
.LBB82_11:                              ;   in Loop: Header=BB82_3 Depth=1
	s_or_b64 exec, exec, s[0:1]
	v_mul_lo_u32 v5, v7, s2
	v_mul_lo_u32 v10, v6, s3
	v_mad_u64_u32 v[3:4], s[0:1], v6, s2, 0
	v_mul_lo_u32 v12, v9, s14
	v_mul_lo_u32 v13, v8, s15
	v_add3_u32 v5, v4, v10, v5
	v_mad_u64_u32 v[10:11], s[0:1], v8, s14, 0
	v_sub_co_u32_e32 v4, vcc, v0, v3
	v_subb_co_u32_e32 v5, vcc, v1, v5, vcc
	v_add3_u32 v11, v11, v13, v12
	v_sub_co_u32_e32 v3, vcc, v6, v10
	v_subb_co_u32_e32 v6, vcc, v7, v11, vcc
	v_sub_co_u32_e32 v10, vcc, v4, v3
	v_subb_co_u32_e32 v11, vcc, v5, v6, vcc
	v_cmp_gt_i64_e32 vcc, s[8:9], v[10:11]
	s_and_saveexec_b64 s[34:35], vcc
	s_cbranch_execz .LBB82_2
; %bb.12:                               ;   in Loop: Header=BB82_3 Depth=1
	s_load_dwordx4 s[36:39], s[16:17], 0xc0
	s_andn2_b64 vcc, exec, s[12:13]
	s_waitcnt lgkmcnt(0)
	v_mul_lo_u32 v7, s39, v4
	v_mul_lo_u32 v12, s38, v5
	v_mad_u64_u32 v[10:11], s[0:1], s38, v4, 0
	v_mul_lo_u32 v13, s36, v6
	v_add3_u32 v11, v11, v12, v7
	v_mad_u64_u32 v[6:7], s[0:1], s36, v3, v[10:11]
	v_mul_lo_u32 v3, s37, v3
	v_add3_u32 v7, v3, v7, v13
	s_cbranch_vccnz .LBB82_38
; %bb.13:                               ;   in Loop: Header=BB82_3 Depth=1
	s_andn2_b64 vcc, exec, s[24:25]
	s_mov_b64 s[36:37], s[22:23]
	s_mov_b64 s[38:39], s[30:31]
	;; [unrolled: 1-line block ×4, first 2 shown]
	s_cbranch_vccz .LBB82_17
.LBB82_14:                              ;   in Loop: Header=BB82_3 Depth=1
	s_andn2_b64 vcc, exec, s[26:27]
	s_cbranch_vccnz .LBB82_38
; %bb.15:                               ;   in Loop: Header=BB82_3 Depth=1
	s_lshl_b64 s[0:1], s[40:41], 3
	s_add_u32 s36, s62, s0
	s_addc_u32 s37, s63, s1
	s_add_u32 s38, s64, s0
	s_addc_u32 s39, s65, s1
	;; [unrolled: 2-line block ×3, first 2 shown]
	s_branch .LBB82_22
.LBB82_16:                              ;   in Loop: Header=BB82_17 Depth=2
	s_or_b64 exec, exec, s[0:1]
	v_mul_lo_u32 v3, v11, s44
	v_mul_lo_u32 v14, v10, s45
	v_mad_u64_u32 v[12:13], s[0:1], v10, s44, 0
	s_load_dwordx2 s[0:1], s[42:43], 0x0
	s_add_u32 s40, s40, -1
	v_add3_u32 v3, v13, v14, v3
	v_sub_co_u32_e32 v8, vcc, v8, v12
	s_addc_u32 s41, s41, -1
	v_subb_co_u32_e32 v3, vcc, v9, v3, vcc
	s_add_u32 s42, s42, -8
	s_waitcnt lgkmcnt(0)
	v_mul_lo_u32 v3, s0, v3
	v_mul_lo_u32 v9, s1, v8
	v_mad_u64_u32 v[6:7], s[0:1], s0, v8, v[6:7]
	s_addc_u32 s43, s43, -1
	s_add_u32 s38, s38, -8
	s_addc_u32 s39, s39, -1
	s_add_u32 s36, s36, -1
	s_addc_u32 s37, s37, -1
	v_add3_u32 v7, v9, v7, v3
	v_mov_b32_e32 v8, v10
	s_cmp_lg_u64 s[36:37], 0
	v_mov_b32_e32 v9, v11
	s_cbranch_scc0 .LBB82_14
.LBB82_17:                              ;   Parent Loop BB82_3 Depth=1
                                        ; =>  This Inner Loop Header: Depth=2
	s_load_dwordx2 s[44:45], s[38:39], 0x0
                                        ; implicit-def: $vgpr10_vgpr11
	s_waitcnt lgkmcnt(0)
	v_or_b32_e32 v3, s45, v9
	v_cmp_ne_u64_e32 vcc, 0, v[2:3]
	s_and_saveexec_b64 s[0:1], vcc
	s_xor_b64 s[46:47], exec, s[0:1]
	s_cbranch_execz .LBB82_19
; %bb.18:                               ;   in Loop: Header=BB82_17 Depth=2
	s_ashr_i32 s48, s45, 31
	s_add_u32 s0, s44, s48
	s_mov_b32 s49, s48
	s_addc_u32 s1, s45, s48
	s_xor_b64 s[50:51], s[0:1], s[48:49]
	v_cvt_f32_u32_e32 v3, s50
	v_cvt_f32_u32_e32 v10, s51
	s_sub_u32 s49, 0, s50
	s_subb_u32 s52, 0, s51
	v_mac_f32_e32 v3, 0x4f800000, v10
	v_rcp_f32_e32 v3, v3
	v_mul_f32_e32 v3, 0x5f7ffffc, v3
	v_mul_f32_e32 v10, 0x2f800000, v3
	v_trunc_f32_e32 v10, v10
	v_mac_f32_e32 v3, 0xcf800000, v10
	v_cvt_u32_f32_e32 v10, v10
	v_cvt_u32_f32_e32 v3, v3
	v_readfirstlane_b32 s53, v10
	v_readfirstlane_b32 s0, v3
	s_mul_i32 s1, s49, s53
	s_mul_hi_u32 s55, s49, s0
	s_mul_i32 s54, s52, s0
	s_add_i32 s1, s55, s1
	s_add_i32 s1, s1, s54
	s_mul_i32 s56, s49, s0
	s_mul_i32 s55, s0, s1
	s_mul_hi_u32 s57, s0, s56
	s_mul_hi_u32 s54, s0, s1
	s_add_u32 s55, s57, s55
	s_addc_u32 s54, 0, s54
	s_mul_hi_u32 s58, s53, s56
	s_mul_i32 s56, s53, s56
	s_add_u32 s55, s55, s56
	s_mul_hi_u32 s57, s53, s1
	s_addc_u32 s54, s54, s58
	s_addc_u32 s55, s57, 0
	s_mul_i32 s1, s53, s1
	s_add_u32 s1, s54, s1
	s_addc_u32 s54, 0, s55
	s_add_u32 s55, s0, s1
	s_cselect_b64 s[0:1], -1, 0
	s_cmp_lg_u64 s[0:1], 0
	s_addc_u32 s53, s53, s54
	s_mul_i32 s0, s49, s53
	s_mul_hi_u32 s1, s49, s55
	s_add_i32 s0, s1, s0
	s_mul_i32 s52, s52, s55
	s_add_i32 s0, s0, s52
	s_mul_i32 s49, s49, s55
	s_mul_hi_u32 s52, s53, s49
	s_mul_i32 s54, s53, s49
	s_mul_i32 s57, s55, s0
	s_mul_hi_u32 s49, s55, s49
	s_mul_hi_u32 s56, s55, s0
	s_add_u32 s49, s49, s57
	s_addc_u32 s56, 0, s56
	s_add_u32 s49, s49, s54
	s_mul_hi_u32 s1, s53, s0
	s_addc_u32 s49, s56, s52
	s_addc_u32 s1, s1, 0
	s_mul_i32 s0, s53, s0
	s_add_u32 s0, s49, s0
	s_addc_u32 s49, 0, s1
	s_add_u32 s52, s55, s0
	s_cselect_b64 s[0:1], -1, 0
	v_ashrrev_i32_e32 v3, 31, v9
	s_cmp_lg_u64 s[0:1], 0
	v_add_co_u32_e32 v10, vcc, v8, v3
	s_addc_u32 s49, s53, s49
	v_xor_b32_e32 v14, v10, v3
	v_mad_u64_u32 v[10:11], s[0:1], v14, s49, 0
	v_mul_hi_u32 v13, v14, s52
	v_addc_co_u32_e32 v12, vcc, v9, v3, vcc
	v_xor_b32_e32 v15, v12, v3
	v_add_co_u32_e32 v16, vcc, v13, v10
	v_addc_co_u32_e32 v17, vcc, 0, v11, vcc
	v_mad_u64_u32 v[10:11], s[0:1], v15, s52, 0
	v_mad_u64_u32 v[12:13], s[0:1], v15, s49, 0
	v_add_co_u32_e32 v10, vcc, v16, v10
	v_addc_co_u32_e32 v10, vcc, v17, v11, vcc
	v_addc_co_u32_e32 v11, vcc, 0, v13, vcc
	v_add_co_u32_e32 v12, vcc, v10, v12
	v_addc_co_u32_e32 v13, vcc, 0, v11, vcc
	v_mul_lo_u32 v16, s51, v12
	v_mul_lo_u32 v17, s50, v13
	v_mad_u64_u32 v[10:11], s[0:1], s50, v12, 0
	v_xor_b32_e32 v3, s48, v3
	v_add3_u32 v11, v11, v17, v16
	v_sub_u32_e32 v16, v15, v11
	v_mov_b32_e32 v17, s51
	v_sub_co_u32_e32 v10, vcc, v14, v10
	v_subb_co_u32_e64 v14, s[0:1], v16, v17, vcc
	v_subrev_co_u32_e64 v16, s[0:1], s50, v10
	v_subbrev_co_u32_e64 v14, s[0:1], 0, v14, s[0:1]
	v_cmp_le_u32_e64 s[0:1], s51, v14
	v_cndmask_b32_e64 v17, 0, -1, s[0:1]
	v_cmp_le_u32_e64 s[0:1], s50, v16
	v_cndmask_b32_e64 v16, 0, -1, s[0:1]
	v_cmp_eq_u32_e64 s[0:1], s51, v14
	v_cndmask_b32_e64 v14, v17, v16, s[0:1]
	v_add_co_u32_e64 v16, s[0:1], 2, v12
	v_subb_co_u32_e32 v11, vcc, v15, v11, vcc
	v_addc_co_u32_e64 v17, s[0:1], 0, v13, s[0:1]
	v_cmp_le_u32_e32 vcc, s51, v11
	v_add_co_u32_e64 v18, s[0:1], 1, v12
	v_cndmask_b32_e64 v15, 0, -1, vcc
	v_cmp_le_u32_e32 vcc, s50, v10
	v_addc_co_u32_e64 v19, s[0:1], 0, v13, s[0:1]
	v_cndmask_b32_e64 v10, 0, -1, vcc
	v_cmp_eq_u32_e32 vcc, s51, v11
	v_cmp_ne_u32_e64 s[0:1], 0, v14
	v_cndmask_b32_e32 v10, v15, v10, vcc
	v_cndmask_b32_e64 v14, v19, v17, s[0:1]
	v_cmp_ne_u32_e32 vcc, 0, v10
	v_cndmask_b32_e64 v11, v18, v16, s[0:1]
	v_cndmask_b32_e32 v10, v13, v14, vcc
	v_cndmask_b32_e32 v11, v12, v11, vcc
	v_xor_b32_e32 v12, v10, v3
	v_xor_b32_e32 v10, v11, v3
	v_sub_co_u32_e32 v10, vcc, v10, v3
	v_subb_co_u32_e32 v11, vcc, v12, v3, vcc
.LBB82_19:                              ;   in Loop: Header=BB82_17 Depth=2
	s_andn2_saveexec_b64 s[0:1], s[46:47]
	s_cbranch_execz .LBB82_16
; %bb.20:                               ;   in Loop: Header=BB82_17 Depth=2
	v_cvt_f32_u32_e32 v3, s44
	s_sub_i32 s46, 0, s44
	v_rcp_iflag_f32_e32 v3, v3
	v_mul_f32_e32 v3, 0x4f7ffffe, v3
	v_cvt_u32_f32_e32 v3, v3
	v_mul_lo_u32 v10, s46, v3
	v_mul_hi_u32 v10, v3, v10
	v_add_u32_e32 v3, v3, v10
	v_mul_hi_u32 v3, v8, v3
	v_mul_lo_u32 v10, v3, s44
	v_add_u32_e32 v11, 1, v3
	v_sub_u32_e32 v10, v8, v10
	v_subrev_u32_e32 v12, s44, v10
	v_cmp_le_u32_e32 vcc, s44, v10
	v_cndmask_b32_e32 v10, v10, v12, vcc
	v_cndmask_b32_e32 v3, v3, v11, vcc
	v_add_u32_e32 v11, 1, v3
	v_cmp_le_u32_e32 vcc, s44, v10
	v_cndmask_b32_e32 v10, v3, v11, vcc
	v_mov_b32_e32 v11, v2
	s_branch .LBB82_16
.LBB82_21:                              ;   in Loop: Header=BB82_22 Depth=2
	s_or_b64 exec, exec, s[0:1]
	v_mul_lo_u32 v3, v11, s42
	v_mul_lo_u32 v20, v10, s43
	v_mad_u64_u32 v[18:19], s[0:1], v10, s42, 0
	v_add3_u32 v3, v19, v20, v3
	v_sub_co_u32_e32 v8, vcc, v8, v18
	v_subb_co_u32_e32 v3, vcc, v9, v3, vcc
	v_mul_lo_u32 v3, s46, v3
	v_mul_lo_u32 v18, s47, v8
	v_mad_u64_u32 v[6:7], s[0:1], s46, v8, v[6:7]
	v_mul_lo_u32 v19, v13, s44
	v_mul_lo_u32 v20, v12, s45
	v_mad_u64_u32 v[8:9], s[0:1], v12, s44, 0
	v_add3_u32 v7, v18, v7, v3
	v_mul_lo_u32 v18, v14, s49
	v_add3_u32 v3, v9, v20, v19
	v_sub_co_u32_e32 v8, vcc, v10, v8
	v_subb_co_u32_e32 v3, vcc, v11, v3, vcc
	v_mad_u64_u32 v[6:7], s[0:1], s50, v8, v[6:7]
	v_mul_lo_u32 v3, s50, v3
	v_mul_lo_u32 v10, s51, v8
	;; [unrolled: 1-line block ×3, first 2 shown]
	v_mad_u64_u32 v[8:9], s[0:1], v14, s48, 0
	v_add3_u32 v7, v10, v7, v3
	v_add3_u32 v3, v9, v18, v11
	v_sub_co_u32_e32 v8, vcc, v12, v8
	v_subb_co_u32_e32 v3, vcc, v13, v3, vcc
	v_mad_u64_u32 v[6:7], s[0:1], s54, v8, v[6:7]
	v_mul_lo_u32 v3, s54, v3
	v_mul_lo_u32 v10, s55, v8
	;; [unrolled: 1-line block ×4, first 2 shown]
	v_mad_u64_u32 v[8:9], s[0:1], v16, s52, 0
	s_load_dwordx2 s[0:1], s[36:37], 0x0
	v_add3_u32 v7, v10, v7, v3
	v_add3_u32 v3, v9, v12, v11
	v_sub_co_u32_e32 v8, vcc, v14, v8
	v_subb_co_u32_e32 v3, vcc, v15, v3, vcc
	s_add_u32 s36, s36, 0xffffffe0
	s_waitcnt lgkmcnt(0)
	v_mad_u64_u32 v[6:7], s[42:43], s0, v8, v[6:7]
	v_mul_lo_u32 v3, s0, v3
	v_mul_lo_u32 v8, s1, v8
	s_addc_u32 s37, s37, -1
	s_add_u32 s38, s38, 0xffffffe0
	s_addc_u32 s39, s39, -1
	s_add_u32 s40, s40, -4
	v_add3_u32 v7, v8, v7, v3
	s_addc_u32 s41, s41, -1
	v_mov_b32_e32 v8, v16
	s_cmp_eq_u64 s[40:41], 0
	v_mov_b32_e32 v9, v17
	s_cbranch_scc1 .LBB82_38
.LBB82_22:                              ;   Parent Loop BB82_3 Depth=1
                                        ; =>  This Inner Loop Header: Depth=2
	s_load_dwordx2 s[42:43], s[38:39], 0x18
                                        ; implicit-def: $vgpr10_vgpr11
	s_waitcnt lgkmcnt(0)
	v_or_b32_e32 v3, s43, v9
	v_cmp_ne_u64_e32 vcc, 0, v[2:3]
	s_and_saveexec_b64 s[0:1], vcc
	s_xor_b64 s[44:45], exec, s[0:1]
	s_cbranch_execz .LBB82_24
; %bb.23:                               ;   in Loop: Header=BB82_22 Depth=2
	s_ashr_i32 s46, s43, 31
	s_add_u32 s0, s42, s46
	s_mov_b32 s47, s46
	s_addc_u32 s1, s43, s46
	s_xor_b64 s[48:49], s[0:1], s[46:47]
	v_cvt_f32_u32_e32 v3, s48
	v_cvt_f32_u32_e32 v10, s49
	s_sub_u32 s47, 0, s48
	s_subb_u32 s50, 0, s49
	v_mac_f32_e32 v3, 0x4f800000, v10
	v_rcp_f32_e32 v3, v3
	v_mul_f32_e32 v3, 0x5f7ffffc, v3
	v_mul_f32_e32 v10, 0x2f800000, v3
	v_trunc_f32_e32 v10, v10
	v_mac_f32_e32 v3, 0xcf800000, v10
	v_cvt_u32_f32_e32 v10, v10
	v_cvt_u32_f32_e32 v3, v3
	v_readfirstlane_b32 s51, v10
	v_readfirstlane_b32 s0, v3
	s_mul_i32 s1, s47, s51
	s_mul_hi_u32 s53, s47, s0
	s_mul_i32 s52, s50, s0
	s_add_i32 s1, s53, s1
	s_add_i32 s1, s1, s52
	s_mul_i32 s54, s47, s0
	s_mul_i32 s53, s0, s1
	s_mul_hi_u32 s55, s0, s54
	s_mul_hi_u32 s52, s0, s1
	s_add_u32 s53, s55, s53
	s_addc_u32 s52, 0, s52
	s_mul_hi_u32 s56, s51, s54
	s_mul_i32 s54, s51, s54
	s_add_u32 s53, s53, s54
	s_mul_hi_u32 s55, s51, s1
	s_addc_u32 s52, s52, s56
	s_addc_u32 s53, s55, 0
	s_mul_i32 s1, s51, s1
	s_add_u32 s1, s52, s1
	s_addc_u32 s52, 0, s53
	s_add_u32 s53, s0, s1
	s_cselect_b64 s[0:1], -1, 0
	s_cmp_lg_u64 s[0:1], 0
	s_addc_u32 s51, s51, s52
	s_mul_i32 s0, s47, s51
	s_mul_hi_u32 s1, s47, s53
	s_add_i32 s0, s1, s0
	s_mul_i32 s50, s50, s53
	s_add_i32 s0, s0, s50
	s_mul_i32 s47, s47, s53
	s_mul_hi_u32 s50, s51, s47
	s_mul_i32 s52, s51, s47
	s_mul_i32 s55, s53, s0
	s_mul_hi_u32 s47, s53, s47
	s_mul_hi_u32 s54, s53, s0
	s_add_u32 s47, s47, s55
	s_addc_u32 s54, 0, s54
	s_add_u32 s47, s47, s52
	s_mul_hi_u32 s1, s51, s0
	s_addc_u32 s47, s54, s50
	s_addc_u32 s1, s1, 0
	s_mul_i32 s0, s51, s0
	s_add_u32 s0, s47, s0
	s_addc_u32 s47, 0, s1
	s_add_u32 s50, s53, s0
	s_cselect_b64 s[0:1], -1, 0
	v_ashrrev_i32_e32 v3, 31, v9
	s_cmp_lg_u64 s[0:1], 0
	v_add_co_u32_e32 v10, vcc, v8, v3
	s_addc_u32 s47, s51, s47
	v_xor_b32_e32 v14, v10, v3
	v_mad_u64_u32 v[10:11], s[0:1], v14, s47, 0
	v_mul_hi_u32 v13, v14, s50
	v_addc_co_u32_e32 v12, vcc, v9, v3, vcc
	v_xor_b32_e32 v15, v12, v3
	v_add_co_u32_e32 v16, vcc, v13, v10
	v_addc_co_u32_e32 v17, vcc, 0, v11, vcc
	v_mad_u64_u32 v[10:11], s[0:1], v15, s50, 0
	v_mad_u64_u32 v[12:13], s[0:1], v15, s47, 0
	v_add_co_u32_e32 v10, vcc, v16, v10
	v_addc_co_u32_e32 v10, vcc, v17, v11, vcc
	v_addc_co_u32_e32 v11, vcc, 0, v13, vcc
	v_add_co_u32_e32 v12, vcc, v10, v12
	v_addc_co_u32_e32 v13, vcc, 0, v11, vcc
	v_mul_lo_u32 v16, s49, v12
	v_mul_lo_u32 v17, s48, v13
	v_mad_u64_u32 v[10:11], s[0:1], s48, v12, 0
	v_xor_b32_e32 v3, s46, v3
	v_add3_u32 v11, v11, v17, v16
	v_sub_u32_e32 v16, v15, v11
	v_mov_b32_e32 v17, s49
	v_sub_co_u32_e32 v10, vcc, v14, v10
	v_subb_co_u32_e64 v14, s[0:1], v16, v17, vcc
	v_subrev_co_u32_e64 v16, s[0:1], s48, v10
	v_subbrev_co_u32_e64 v14, s[0:1], 0, v14, s[0:1]
	v_cmp_le_u32_e64 s[0:1], s49, v14
	v_cndmask_b32_e64 v17, 0, -1, s[0:1]
	v_cmp_le_u32_e64 s[0:1], s48, v16
	v_cndmask_b32_e64 v16, 0, -1, s[0:1]
	v_cmp_eq_u32_e64 s[0:1], s49, v14
	v_cndmask_b32_e64 v14, v17, v16, s[0:1]
	v_add_co_u32_e64 v16, s[0:1], 2, v12
	v_subb_co_u32_e32 v11, vcc, v15, v11, vcc
	v_addc_co_u32_e64 v17, s[0:1], 0, v13, s[0:1]
	v_cmp_le_u32_e32 vcc, s49, v11
	v_add_co_u32_e64 v18, s[0:1], 1, v12
	v_cndmask_b32_e64 v15, 0, -1, vcc
	v_cmp_le_u32_e32 vcc, s48, v10
	v_addc_co_u32_e64 v19, s[0:1], 0, v13, s[0:1]
	v_cndmask_b32_e64 v10, 0, -1, vcc
	v_cmp_eq_u32_e32 vcc, s49, v11
	v_cmp_ne_u32_e64 s[0:1], 0, v14
	v_cndmask_b32_e32 v10, v15, v10, vcc
	v_cndmask_b32_e64 v14, v19, v17, s[0:1]
	v_cmp_ne_u32_e32 vcc, 0, v10
	v_cndmask_b32_e64 v11, v18, v16, s[0:1]
	v_cndmask_b32_e32 v10, v13, v14, vcc
	v_cndmask_b32_e32 v11, v12, v11, vcc
	v_xor_b32_e32 v12, v10, v3
	v_xor_b32_e32 v10, v11, v3
	v_sub_co_u32_e32 v10, vcc, v10, v3
	v_subb_co_u32_e32 v11, vcc, v12, v3, vcc
.LBB82_24:                              ;   in Loop: Header=BB82_22 Depth=2
	s_andn2_saveexec_b64 s[0:1], s[44:45]
	s_cbranch_execz .LBB82_26
; %bb.25:                               ;   in Loop: Header=BB82_22 Depth=2
	v_cvt_f32_u32_e32 v3, s42
	s_sub_i32 s44, 0, s42
	v_rcp_iflag_f32_e32 v3, v3
	v_mul_f32_e32 v3, 0x4f7ffffe, v3
	v_cvt_u32_f32_e32 v3, v3
	v_mul_lo_u32 v10, s44, v3
	v_mul_hi_u32 v10, v3, v10
	v_add_u32_e32 v3, v3, v10
	v_mul_hi_u32 v3, v8, v3
	v_mul_lo_u32 v10, v3, s42
	v_add_u32_e32 v11, 1, v3
	v_sub_u32_e32 v10, v8, v10
	v_subrev_u32_e32 v12, s42, v10
	v_cmp_le_u32_e32 vcc, s42, v10
	v_cndmask_b32_e32 v10, v10, v12, vcc
	v_cndmask_b32_e32 v3, v3, v11, vcc
	v_add_u32_e32 v11, 1, v3
	v_cmp_le_u32_e32 vcc, s42, v10
	v_cndmask_b32_e32 v10, v3, v11, vcc
	v_mov_b32_e32 v11, v2
.LBB82_26:                              ;   in Loop: Header=BB82_22 Depth=2
	s_or_b64 exec, exec, s[0:1]
	s_load_dwordx2 s[44:45], s[38:39], 0x10
	s_load_dwordx2 s[46:47], s[36:37], 0x18
                                        ; implicit-def: $vgpr12_vgpr13
	s_waitcnt lgkmcnt(0)
	v_or_b32_e32 v3, s45, v11
	v_cmp_ne_u64_e32 vcc, 0, v[2:3]
	s_and_saveexec_b64 s[0:1], vcc
	s_xor_b64 s[48:49], exec, s[0:1]
	s_cbranch_execz .LBB82_28
; %bb.27:                               ;   in Loop: Header=BB82_22 Depth=2
	s_ashr_i32 s50, s45, 31
	s_add_u32 s0, s44, s50
	s_mov_b32 s51, s50
	s_addc_u32 s1, s45, s50
	s_xor_b64 s[52:53], s[0:1], s[50:51]
	v_cvt_f32_u32_e32 v3, s52
	v_cvt_f32_u32_e32 v12, s53
	s_sub_u32 s51, 0, s52
	s_subb_u32 s54, 0, s53
	v_mac_f32_e32 v3, 0x4f800000, v12
	v_rcp_f32_e32 v3, v3
	v_mul_f32_e32 v3, 0x5f7ffffc, v3
	v_mul_f32_e32 v12, 0x2f800000, v3
	v_trunc_f32_e32 v12, v12
	v_mac_f32_e32 v3, 0xcf800000, v12
	v_cvt_u32_f32_e32 v12, v12
	v_cvt_u32_f32_e32 v3, v3
	v_readfirstlane_b32 s55, v12
	v_readfirstlane_b32 s0, v3
	s_mul_i32 s1, s51, s55
	s_mul_hi_u32 s57, s51, s0
	s_mul_i32 s56, s54, s0
	s_add_i32 s1, s57, s1
	s_add_i32 s1, s1, s56
	s_mul_i32 s58, s51, s0
	s_mul_i32 s57, s0, s1
	s_mul_hi_u32 s59, s0, s58
	s_mul_hi_u32 s56, s0, s1
	s_add_u32 s57, s59, s57
	s_addc_u32 s56, 0, s56
	s_mul_hi_u32 s60, s55, s58
	s_mul_i32 s58, s55, s58
	s_add_u32 s57, s57, s58
	s_mul_hi_u32 s59, s55, s1
	s_addc_u32 s56, s56, s60
	s_addc_u32 s57, s59, 0
	s_mul_i32 s1, s55, s1
	s_add_u32 s1, s56, s1
	s_addc_u32 s56, 0, s57
	s_add_u32 s57, s0, s1
	s_cselect_b64 s[0:1], -1, 0
	s_cmp_lg_u64 s[0:1], 0
	s_addc_u32 s55, s55, s56
	s_mul_i32 s0, s51, s55
	s_mul_hi_u32 s1, s51, s57
	s_add_i32 s0, s1, s0
	s_mul_i32 s54, s54, s57
	s_add_i32 s0, s0, s54
	s_mul_i32 s51, s51, s57
	s_mul_hi_u32 s54, s55, s51
	s_mul_i32 s56, s55, s51
	s_mul_i32 s59, s57, s0
	s_mul_hi_u32 s51, s57, s51
	s_mul_hi_u32 s58, s57, s0
	s_add_u32 s51, s51, s59
	s_addc_u32 s58, 0, s58
	s_add_u32 s51, s51, s56
	s_mul_hi_u32 s1, s55, s0
	s_addc_u32 s51, s58, s54
	s_addc_u32 s1, s1, 0
	s_mul_i32 s0, s55, s0
	s_add_u32 s0, s51, s0
	s_addc_u32 s51, 0, s1
	s_add_u32 s54, s57, s0
	s_cselect_b64 s[0:1], -1, 0
	v_ashrrev_i32_e32 v3, 31, v11
	s_cmp_lg_u64 s[0:1], 0
	v_add_co_u32_e32 v12, vcc, v10, v3
	s_addc_u32 s51, s55, s51
	v_xor_b32_e32 v16, v12, v3
	v_mad_u64_u32 v[12:13], s[0:1], v16, s51, 0
	v_mul_hi_u32 v15, v16, s54
	v_addc_co_u32_e32 v14, vcc, v11, v3, vcc
	v_xor_b32_e32 v17, v14, v3
	v_add_co_u32_e32 v18, vcc, v15, v12
	v_addc_co_u32_e32 v19, vcc, 0, v13, vcc
	v_mad_u64_u32 v[12:13], s[0:1], v17, s54, 0
	v_mad_u64_u32 v[14:15], s[0:1], v17, s51, 0
	v_add_co_u32_e32 v12, vcc, v18, v12
	v_addc_co_u32_e32 v12, vcc, v19, v13, vcc
	v_addc_co_u32_e32 v13, vcc, 0, v15, vcc
	v_add_co_u32_e32 v14, vcc, v12, v14
	v_addc_co_u32_e32 v15, vcc, 0, v13, vcc
	v_mul_lo_u32 v18, s53, v14
	v_mul_lo_u32 v19, s52, v15
	v_mad_u64_u32 v[12:13], s[0:1], s52, v14, 0
	v_xor_b32_e32 v3, s50, v3
	v_add3_u32 v13, v13, v19, v18
	v_sub_u32_e32 v18, v17, v13
	v_mov_b32_e32 v19, s53
	v_sub_co_u32_e32 v12, vcc, v16, v12
	v_subb_co_u32_e64 v16, s[0:1], v18, v19, vcc
	v_subrev_co_u32_e64 v18, s[0:1], s52, v12
	v_subbrev_co_u32_e64 v16, s[0:1], 0, v16, s[0:1]
	v_cmp_le_u32_e64 s[0:1], s53, v16
	v_cndmask_b32_e64 v19, 0, -1, s[0:1]
	v_cmp_le_u32_e64 s[0:1], s52, v18
	v_cndmask_b32_e64 v18, 0, -1, s[0:1]
	v_cmp_eq_u32_e64 s[0:1], s53, v16
	v_cndmask_b32_e64 v16, v19, v18, s[0:1]
	v_add_co_u32_e64 v18, s[0:1], 2, v14
	v_subb_co_u32_e32 v13, vcc, v17, v13, vcc
	v_addc_co_u32_e64 v19, s[0:1], 0, v15, s[0:1]
	v_cmp_le_u32_e32 vcc, s53, v13
	v_add_co_u32_e64 v20, s[0:1], 1, v14
	v_cndmask_b32_e64 v17, 0, -1, vcc
	v_cmp_le_u32_e32 vcc, s52, v12
	v_addc_co_u32_e64 v21, s[0:1], 0, v15, s[0:1]
	v_cndmask_b32_e64 v12, 0, -1, vcc
	v_cmp_eq_u32_e32 vcc, s53, v13
	v_cmp_ne_u32_e64 s[0:1], 0, v16
	v_cndmask_b32_e32 v12, v17, v12, vcc
	v_cndmask_b32_e64 v16, v21, v19, s[0:1]
	v_cmp_ne_u32_e32 vcc, 0, v12
	v_cndmask_b32_e64 v13, v20, v18, s[0:1]
	v_cndmask_b32_e32 v12, v15, v16, vcc
	v_cndmask_b32_e32 v13, v14, v13, vcc
	v_xor_b32_e32 v14, v12, v3
	v_xor_b32_e32 v12, v13, v3
	v_sub_co_u32_e32 v12, vcc, v12, v3
	v_subb_co_u32_e32 v13, vcc, v14, v3, vcc
.LBB82_28:                              ;   in Loop: Header=BB82_22 Depth=2
	s_andn2_saveexec_b64 s[0:1], s[48:49]
	s_cbranch_execz .LBB82_30
; %bb.29:                               ;   in Loop: Header=BB82_22 Depth=2
	v_cvt_f32_u32_e32 v3, s44
	s_sub_i32 s48, 0, s44
	v_rcp_iflag_f32_e32 v3, v3
	v_mul_f32_e32 v3, 0x4f7ffffe, v3
	v_cvt_u32_f32_e32 v3, v3
	v_mul_lo_u32 v12, s48, v3
	v_mul_hi_u32 v12, v3, v12
	v_add_u32_e32 v3, v3, v12
	v_mul_hi_u32 v3, v10, v3
	v_mul_lo_u32 v12, v3, s44
	v_add_u32_e32 v13, 1, v3
	v_sub_u32_e32 v12, v10, v12
	v_subrev_u32_e32 v14, s44, v12
	v_cmp_le_u32_e32 vcc, s44, v12
	v_cndmask_b32_e32 v12, v12, v14, vcc
	v_cndmask_b32_e32 v3, v3, v13, vcc
	v_add_u32_e32 v13, 1, v3
	v_cmp_le_u32_e32 vcc, s44, v12
	v_cndmask_b32_e32 v12, v3, v13, vcc
	v_mov_b32_e32 v13, v2
.LBB82_30:                              ;   in Loop: Header=BB82_22 Depth=2
	s_or_b64 exec, exec, s[0:1]
	s_load_dwordx2 s[48:49], s[38:39], 0x8
	s_load_dwordx2 s[50:51], s[36:37], 0x10
                                        ; implicit-def: $vgpr14_vgpr15
	s_waitcnt lgkmcnt(0)
	v_or_b32_e32 v3, s49, v13
	v_cmp_ne_u64_e32 vcc, 0, v[2:3]
	s_and_saveexec_b64 s[0:1], vcc
	s_xor_b64 s[52:53], exec, s[0:1]
	s_cbranch_execz .LBB82_32
; %bb.31:                               ;   in Loop: Header=BB82_22 Depth=2
	s_ashr_i32 s54, s49, 31
	s_add_u32 s0, s48, s54
	s_mov_b32 s55, s54
	s_addc_u32 s1, s49, s54
	s_xor_b64 s[56:57], s[0:1], s[54:55]
	v_cvt_f32_u32_e32 v3, s56
	v_cvt_f32_u32_e32 v14, s57
	s_sub_u32 s55, 0, s56
	s_subb_u32 s58, 0, s57
	v_mac_f32_e32 v3, 0x4f800000, v14
	v_rcp_f32_e32 v3, v3
	v_mul_f32_e32 v3, 0x5f7ffffc, v3
	v_mul_f32_e32 v14, 0x2f800000, v3
	v_trunc_f32_e32 v14, v14
	v_mac_f32_e32 v3, 0xcf800000, v14
	v_cvt_u32_f32_e32 v14, v14
	v_cvt_u32_f32_e32 v3, v3
	v_readfirstlane_b32 s59, v14
	v_readfirstlane_b32 s0, v3
	s_mul_i32 s1, s55, s59
	s_mul_hi_u32 s61, s55, s0
	s_mul_i32 s60, s58, s0
	s_add_i32 s1, s61, s1
	s_add_i32 s1, s1, s60
	s_mul_i32 s66, s55, s0
	s_mul_i32 s61, s0, s1
	s_mul_hi_u32 s67, s0, s66
	s_mul_hi_u32 s60, s0, s1
	s_add_u32 s61, s67, s61
	s_addc_u32 s60, 0, s60
	s_mul_hi_u32 s68, s59, s66
	s_mul_i32 s66, s59, s66
	s_add_u32 s61, s61, s66
	s_mul_hi_u32 s67, s59, s1
	s_addc_u32 s60, s60, s68
	s_addc_u32 s61, s67, 0
	s_mul_i32 s1, s59, s1
	s_add_u32 s1, s60, s1
	s_addc_u32 s60, 0, s61
	s_add_u32 s61, s0, s1
	s_cselect_b64 s[0:1], -1, 0
	s_cmp_lg_u64 s[0:1], 0
	s_addc_u32 s59, s59, s60
	s_mul_i32 s0, s55, s59
	s_mul_hi_u32 s1, s55, s61
	s_add_i32 s0, s1, s0
	s_mul_i32 s58, s58, s61
	s_add_i32 s0, s0, s58
	s_mul_i32 s55, s55, s61
	s_mul_hi_u32 s58, s59, s55
	s_mul_i32 s60, s59, s55
	s_mul_i32 s67, s61, s0
	s_mul_hi_u32 s55, s61, s55
	s_mul_hi_u32 s66, s61, s0
	s_add_u32 s55, s55, s67
	s_addc_u32 s66, 0, s66
	s_add_u32 s55, s55, s60
	s_mul_hi_u32 s1, s59, s0
	s_addc_u32 s55, s66, s58
	s_addc_u32 s1, s1, 0
	s_mul_i32 s0, s59, s0
	s_add_u32 s0, s55, s0
	s_addc_u32 s55, 0, s1
	s_add_u32 s58, s61, s0
	s_cselect_b64 s[0:1], -1, 0
	v_ashrrev_i32_e32 v3, 31, v13
	s_cmp_lg_u64 s[0:1], 0
	v_add_co_u32_e32 v14, vcc, v12, v3
	s_addc_u32 s55, s59, s55
	v_xor_b32_e32 v18, v14, v3
	v_mad_u64_u32 v[14:15], s[0:1], v18, s55, 0
	v_mul_hi_u32 v17, v18, s58
	v_addc_co_u32_e32 v16, vcc, v13, v3, vcc
	v_xor_b32_e32 v19, v16, v3
	v_add_co_u32_e32 v20, vcc, v17, v14
	v_addc_co_u32_e32 v21, vcc, 0, v15, vcc
	v_mad_u64_u32 v[14:15], s[0:1], v19, s58, 0
	v_mad_u64_u32 v[16:17], s[0:1], v19, s55, 0
	v_add_co_u32_e32 v14, vcc, v20, v14
	v_addc_co_u32_e32 v14, vcc, v21, v15, vcc
	v_addc_co_u32_e32 v15, vcc, 0, v17, vcc
	v_add_co_u32_e32 v16, vcc, v14, v16
	v_addc_co_u32_e32 v17, vcc, 0, v15, vcc
	v_mul_lo_u32 v20, s57, v16
	v_mul_lo_u32 v21, s56, v17
	v_mad_u64_u32 v[14:15], s[0:1], s56, v16, 0
	v_xor_b32_e32 v3, s54, v3
	v_add3_u32 v15, v15, v21, v20
	v_sub_u32_e32 v20, v19, v15
	v_mov_b32_e32 v21, s57
	v_sub_co_u32_e32 v14, vcc, v18, v14
	v_subb_co_u32_e64 v18, s[0:1], v20, v21, vcc
	v_subrev_co_u32_e64 v20, s[0:1], s56, v14
	v_subbrev_co_u32_e64 v18, s[0:1], 0, v18, s[0:1]
	v_cmp_le_u32_e64 s[0:1], s57, v18
	v_cndmask_b32_e64 v21, 0, -1, s[0:1]
	v_cmp_le_u32_e64 s[0:1], s56, v20
	v_cndmask_b32_e64 v20, 0, -1, s[0:1]
	v_cmp_eq_u32_e64 s[0:1], s57, v18
	v_cndmask_b32_e64 v18, v21, v20, s[0:1]
	v_add_co_u32_e64 v20, s[0:1], 2, v16
	v_subb_co_u32_e32 v15, vcc, v19, v15, vcc
	v_addc_co_u32_e64 v21, s[0:1], 0, v17, s[0:1]
	v_cmp_le_u32_e32 vcc, s57, v15
	v_add_co_u32_e64 v22, s[0:1], 1, v16
	v_cndmask_b32_e64 v19, 0, -1, vcc
	v_cmp_le_u32_e32 vcc, s56, v14
	v_addc_co_u32_e64 v23, s[0:1], 0, v17, s[0:1]
	v_cndmask_b32_e64 v14, 0, -1, vcc
	v_cmp_eq_u32_e32 vcc, s57, v15
	v_cmp_ne_u32_e64 s[0:1], 0, v18
	v_cndmask_b32_e32 v14, v19, v14, vcc
	v_cndmask_b32_e64 v18, v23, v21, s[0:1]
	v_cmp_ne_u32_e32 vcc, 0, v14
	v_cndmask_b32_e64 v15, v22, v20, s[0:1]
	v_cndmask_b32_e32 v14, v17, v18, vcc
	v_cndmask_b32_e32 v15, v16, v15, vcc
	v_xor_b32_e32 v16, v14, v3
	v_xor_b32_e32 v14, v15, v3
	v_sub_co_u32_e32 v14, vcc, v14, v3
	v_subb_co_u32_e32 v15, vcc, v16, v3, vcc
.LBB82_32:                              ;   in Loop: Header=BB82_22 Depth=2
	s_andn2_saveexec_b64 s[0:1], s[52:53]
	s_cbranch_execz .LBB82_34
; %bb.33:                               ;   in Loop: Header=BB82_22 Depth=2
	v_cvt_f32_u32_e32 v3, s48
	s_sub_i32 s52, 0, s48
	v_rcp_iflag_f32_e32 v3, v3
	v_mul_f32_e32 v3, 0x4f7ffffe, v3
	v_cvt_u32_f32_e32 v3, v3
	v_mul_lo_u32 v14, s52, v3
	v_mul_hi_u32 v14, v3, v14
	v_add_u32_e32 v3, v3, v14
	v_mul_hi_u32 v3, v12, v3
	v_mul_lo_u32 v14, v3, s48
	v_add_u32_e32 v15, 1, v3
	v_sub_u32_e32 v14, v12, v14
	v_subrev_u32_e32 v16, s48, v14
	v_cmp_le_u32_e32 vcc, s48, v14
	v_cndmask_b32_e32 v14, v14, v16, vcc
	v_cndmask_b32_e32 v3, v3, v15, vcc
	v_add_u32_e32 v15, 1, v3
	v_cmp_le_u32_e32 vcc, s48, v14
	v_cndmask_b32_e32 v14, v3, v15, vcc
	v_mov_b32_e32 v15, v2
.LBB82_34:                              ;   in Loop: Header=BB82_22 Depth=2
	s_or_b64 exec, exec, s[0:1]
	s_load_dwordx2 s[52:53], s[38:39], 0x0
	s_load_dwordx2 s[54:55], s[36:37], 0x8
                                        ; implicit-def: $vgpr16_vgpr17
	s_waitcnt lgkmcnt(0)
	v_or_b32_e32 v3, s53, v15
	v_cmp_ne_u64_e32 vcc, 0, v[2:3]
	s_and_saveexec_b64 s[0:1], vcc
	s_xor_b64 s[56:57], exec, s[0:1]
	s_cbranch_execz .LBB82_36
; %bb.35:                               ;   in Loop: Header=BB82_22 Depth=2
	s_ashr_i32 s58, s53, 31
	s_add_u32 s0, s52, s58
	s_mov_b32 s59, s58
	s_addc_u32 s1, s53, s58
	s_xor_b64 s[60:61], s[0:1], s[58:59]
	v_cvt_f32_u32_e32 v3, s60
	v_cvt_f32_u32_e32 v16, s61
	s_sub_u32 s59, 0, s60
	s_subb_u32 s66, 0, s61
	v_mac_f32_e32 v3, 0x4f800000, v16
	v_rcp_f32_e32 v3, v3
	v_mul_f32_e32 v3, 0x5f7ffffc, v3
	v_mul_f32_e32 v16, 0x2f800000, v3
	v_trunc_f32_e32 v16, v16
	v_mac_f32_e32 v3, 0xcf800000, v16
	v_cvt_u32_f32_e32 v16, v16
	v_cvt_u32_f32_e32 v3, v3
	v_readfirstlane_b32 s67, v16
	v_readfirstlane_b32 s0, v3
	s_mul_i32 s1, s59, s67
	s_mul_hi_u32 s69, s59, s0
	s_mul_i32 s68, s66, s0
	s_add_i32 s1, s69, s1
	s_add_i32 s1, s1, s68
	s_mul_i32 s70, s59, s0
	s_mul_i32 s69, s0, s1
	s_mul_hi_u32 s71, s0, s70
	s_mul_hi_u32 s68, s0, s1
	s_add_u32 s69, s71, s69
	s_addc_u32 s68, 0, s68
	s_mul_hi_u32 s72, s67, s70
	s_mul_i32 s70, s67, s70
	s_add_u32 s69, s69, s70
	s_mul_hi_u32 s71, s67, s1
	s_addc_u32 s68, s68, s72
	s_addc_u32 s69, s71, 0
	s_mul_i32 s1, s67, s1
	s_add_u32 s1, s68, s1
	s_addc_u32 s68, 0, s69
	s_add_u32 s69, s0, s1
	s_cselect_b64 s[0:1], -1, 0
	s_cmp_lg_u64 s[0:1], 0
	s_addc_u32 s67, s67, s68
	s_mul_i32 s0, s59, s67
	s_mul_hi_u32 s1, s59, s69
	s_add_i32 s0, s1, s0
	s_mul_i32 s66, s66, s69
	s_add_i32 s0, s0, s66
	s_mul_i32 s59, s59, s69
	s_mul_hi_u32 s66, s67, s59
	s_mul_i32 s68, s67, s59
	s_mul_i32 s71, s69, s0
	s_mul_hi_u32 s59, s69, s59
	s_mul_hi_u32 s70, s69, s0
	s_add_u32 s59, s59, s71
	s_addc_u32 s70, 0, s70
	s_add_u32 s59, s59, s68
	s_mul_hi_u32 s1, s67, s0
	s_addc_u32 s59, s70, s66
	s_addc_u32 s1, s1, 0
	s_mul_i32 s0, s67, s0
	s_add_u32 s0, s59, s0
	s_addc_u32 s59, 0, s1
	s_add_u32 s66, s69, s0
	s_cselect_b64 s[0:1], -1, 0
	v_ashrrev_i32_e32 v3, 31, v15
	s_cmp_lg_u64 s[0:1], 0
	v_add_co_u32_e32 v16, vcc, v14, v3
	s_addc_u32 s59, s67, s59
	v_xor_b32_e32 v20, v16, v3
	v_mad_u64_u32 v[16:17], s[0:1], v20, s59, 0
	v_mul_hi_u32 v19, v20, s66
	v_addc_co_u32_e32 v18, vcc, v15, v3, vcc
	v_xor_b32_e32 v21, v18, v3
	v_add_co_u32_e32 v22, vcc, v19, v16
	v_addc_co_u32_e32 v23, vcc, 0, v17, vcc
	v_mad_u64_u32 v[16:17], s[0:1], v21, s66, 0
	v_mad_u64_u32 v[18:19], s[0:1], v21, s59, 0
	v_add_co_u32_e32 v16, vcc, v22, v16
	v_addc_co_u32_e32 v16, vcc, v23, v17, vcc
	v_addc_co_u32_e32 v17, vcc, 0, v19, vcc
	v_add_co_u32_e32 v18, vcc, v16, v18
	v_addc_co_u32_e32 v19, vcc, 0, v17, vcc
	v_mul_lo_u32 v22, s61, v18
	v_mul_lo_u32 v23, s60, v19
	v_mad_u64_u32 v[16:17], s[0:1], s60, v18, 0
	v_xor_b32_e32 v3, s58, v3
	v_add3_u32 v17, v17, v23, v22
	v_sub_u32_e32 v22, v21, v17
	v_mov_b32_e32 v23, s61
	v_sub_co_u32_e32 v16, vcc, v20, v16
	v_subb_co_u32_e64 v20, s[0:1], v22, v23, vcc
	v_subrev_co_u32_e64 v22, s[0:1], s60, v16
	v_subbrev_co_u32_e64 v20, s[0:1], 0, v20, s[0:1]
	v_cmp_le_u32_e64 s[0:1], s61, v20
	v_cndmask_b32_e64 v23, 0, -1, s[0:1]
	v_cmp_le_u32_e64 s[0:1], s60, v22
	v_cndmask_b32_e64 v22, 0, -1, s[0:1]
	v_cmp_eq_u32_e64 s[0:1], s61, v20
	v_cndmask_b32_e64 v20, v23, v22, s[0:1]
	v_add_co_u32_e64 v22, s[0:1], 2, v18
	v_subb_co_u32_e32 v17, vcc, v21, v17, vcc
	v_addc_co_u32_e64 v23, s[0:1], 0, v19, s[0:1]
	v_cmp_le_u32_e32 vcc, s61, v17
	v_add_co_u32_e64 v24, s[0:1], 1, v18
	v_cndmask_b32_e64 v21, 0, -1, vcc
	v_cmp_le_u32_e32 vcc, s60, v16
	v_addc_co_u32_e64 v25, s[0:1], 0, v19, s[0:1]
	v_cndmask_b32_e64 v16, 0, -1, vcc
	v_cmp_eq_u32_e32 vcc, s61, v17
	v_cmp_ne_u32_e64 s[0:1], 0, v20
	v_cndmask_b32_e32 v16, v21, v16, vcc
	v_cndmask_b32_e64 v20, v25, v23, s[0:1]
	v_cmp_ne_u32_e32 vcc, 0, v16
	v_cndmask_b32_e64 v17, v24, v22, s[0:1]
	v_cndmask_b32_e32 v16, v19, v20, vcc
	v_cndmask_b32_e32 v17, v18, v17, vcc
	v_xor_b32_e32 v18, v16, v3
	v_xor_b32_e32 v16, v17, v3
	v_sub_co_u32_e32 v16, vcc, v16, v3
	v_subb_co_u32_e32 v17, vcc, v18, v3, vcc
.LBB82_36:                              ;   in Loop: Header=BB82_22 Depth=2
	s_andn2_saveexec_b64 s[0:1], s[56:57]
	s_cbranch_execz .LBB82_21
; %bb.37:                               ;   in Loop: Header=BB82_22 Depth=2
	v_cvt_f32_u32_e32 v3, s52
	s_sub_i32 s56, 0, s52
	v_rcp_iflag_f32_e32 v3, v3
	v_mul_f32_e32 v3, 0x4f7ffffe, v3
	v_cvt_u32_f32_e32 v3, v3
	v_mul_lo_u32 v16, s56, v3
	v_mul_hi_u32 v16, v3, v16
	v_add_u32_e32 v3, v3, v16
	v_mul_hi_u32 v3, v14, v3
	v_mul_lo_u32 v16, v3, s52
	v_add_u32_e32 v17, 1, v3
	v_sub_u32_e32 v16, v14, v16
	v_subrev_u32_e32 v18, s52, v16
	v_cmp_le_u32_e32 vcc, s52, v16
	v_cndmask_b32_e32 v16, v16, v18, vcc
	v_cndmask_b32_e32 v3, v3, v17, vcc
	v_add_u32_e32 v17, 1, v3
	v_cmp_le_u32_e32 vcc, s52, v16
	v_cndmask_b32_e32 v16, v3, v17, vcc
	v_mov_b32_e32 v17, v2
	s_branch .LBB82_21
.LBB82_38:                              ;   in Loop: Header=BB82_3 Depth=1
	s_load_dwordx2 s[0:1], s[20:21], 0x0
	s_waitcnt lgkmcnt(0)
	v_cmp_gt_i64_e32 vcc, s[0:1], v[4:5]
	s_and_b64 exec, exec, vcc
	s_cbranch_execz .LBB82_2
; %bb.39:                               ;   in Loop: Header=BB82_3 Depth=1
	v_lshlrev_b64 v[3:4], 4, v[6:7]
	v_mov_b32_e32 v5, s7
	v_add_co_u32_e32 v6, vcc, s6, v3
	v_addc_co_u32_e32 v7, vcc, v5, v4, vcc
	v_mov_b32_e32 v3, v2
	v_mov_b32_e32 v4, v2
	;; [unrolled: 1-line block ×3, first 2 shown]
	global_store_dwordx4 v[6:7], v[2:5], off
	s_branch .LBB82_2
.LBB82_40:
	s_endpgm
	.section	.rodata,"a",@progbits
	.p2align	6, 0x0
	.amdhsa_kernel _ZN2at6native16triu_tril_kernelIN3c107complexIdEElLb1ELi1ELb1EEEvNS_4cuda6detail10TensorInfoIT_T0_EENS7_IKS8_S9_EEllS9_
		.amdhsa_group_segment_fixed_size 0
		.amdhsa_private_segment_fixed_size 0
		.amdhsa_kernarg_size 1112
		.amdhsa_user_sgpr_count 6
		.amdhsa_user_sgpr_private_segment_buffer 1
		.amdhsa_user_sgpr_dispatch_ptr 0
		.amdhsa_user_sgpr_queue_ptr 0
		.amdhsa_user_sgpr_kernarg_segment_ptr 1
		.amdhsa_user_sgpr_dispatch_id 0
		.amdhsa_user_sgpr_flat_scratch_init 0
		.amdhsa_user_sgpr_private_segment_size 0
		.amdhsa_uses_dynamic_stack 0
		.amdhsa_system_sgpr_private_segment_wavefront_offset 0
		.amdhsa_system_sgpr_workgroup_id_x 1
		.amdhsa_system_sgpr_workgroup_id_y 0
		.amdhsa_system_sgpr_workgroup_id_z 0
		.amdhsa_system_sgpr_workgroup_info 0
		.amdhsa_system_vgpr_workitem_id 0
		.amdhsa_next_free_vgpr 26
		.amdhsa_next_free_sgpr 73
		.amdhsa_reserve_vcc 1
		.amdhsa_reserve_flat_scratch 0
		.amdhsa_float_round_mode_32 0
		.amdhsa_float_round_mode_16_64 0
		.amdhsa_float_denorm_mode_32 3
		.amdhsa_float_denorm_mode_16_64 3
		.amdhsa_dx10_clamp 1
		.amdhsa_ieee_mode 1
		.amdhsa_fp16_overflow 0
		.amdhsa_exception_fp_ieee_invalid_op 0
		.amdhsa_exception_fp_denorm_src 0
		.amdhsa_exception_fp_ieee_div_zero 0
		.amdhsa_exception_fp_ieee_overflow 0
		.amdhsa_exception_fp_ieee_underflow 0
		.amdhsa_exception_fp_ieee_inexact 0
		.amdhsa_exception_int_div_zero 0
	.end_amdhsa_kernel
	.section	.text._ZN2at6native16triu_tril_kernelIN3c107complexIdEElLb1ELi1ELb1EEEvNS_4cuda6detail10TensorInfoIT_T0_EENS7_IKS8_S9_EEllS9_,"axG",@progbits,_ZN2at6native16triu_tril_kernelIN3c107complexIdEElLb1ELi1ELb1EEEvNS_4cuda6detail10TensorInfoIT_T0_EENS7_IKS8_S9_EEllS9_,comdat
.Lfunc_end82:
	.size	_ZN2at6native16triu_tril_kernelIN3c107complexIdEElLb1ELi1ELb1EEEvNS_4cuda6detail10TensorInfoIT_T0_EENS7_IKS8_S9_EEllS9_, .Lfunc_end82-_ZN2at6native16triu_tril_kernelIN3c107complexIdEElLb1ELi1ELb1EEEvNS_4cuda6detail10TensorInfoIT_T0_EENS7_IKS8_S9_EEllS9_
                                        ; -- End function
	.set _ZN2at6native16triu_tril_kernelIN3c107complexIdEElLb1ELi1ELb1EEEvNS_4cuda6detail10TensorInfoIT_T0_EENS7_IKS8_S9_EEllS9_.num_vgpr, 26
	.set _ZN2at6native16triu_tril_kernelIN3c107complexIdEElLb1ELi1ELb1EEEvNS_4cuda6detail10TensorInfoIT_T0_EENS7_IKS8_S9_EEllS9_.num_agpr, 0
	.set _ZN2at6native16triu_tril_kernelIN3c107complexIdEElLb1ELi1ELb1EEEvNS_4cuda6detail10TensorInfoIT_T0_EENS7_IKS8_S9_EEllS9_.numbered_sgpr, 73
	.set _ZN2at6native16triu_tril_kernelIN3c107complexIdEElLb1ELi1ELb1EEEvNS_4cuda6detail10TensorInfoIT_T0_EENS7_IKS8_S9_EEllS9_.num_named_barrier, 0
	.set _ZN2at6native16triu_tril_kernelIN3c107complexIdEElLb1ELi1ELb1EEEvNS_4cuda6detail10TensorInfoIT_T0_EENS7_IKS8_S9_EEllS9_.private_seg_size, 0
	.set _ZN2at6native16triu_tril_kernelIN3c107complexIdEElLb1ELi1ELb1EEEvNS_4cuda6detail10TensorInfoIT_T0_EENS7_IKS8_S9_EEllS9_.uses_vcc, 1
	.set _ZN2at6native16triu_tril_kernelIN3c107complexIdEElLb1ELi1ELb1EEEvNS_4cuda6detail10TensorInfoIT_T0_EENS7_IKS8_S9_EEllS9_.uses_flat_scratch, 0
	.set _ZN2at6native16triu_tril_kernelIN3c107complexIdEElLb1ELi1ELb1EEEvNS_4cuda6detail10TensorInfoIT_T0_EENS7_IKS8_S9_EEllS9_.has_dyn_sized_stack, 0
	.set _ZN2at6native16triu_tril_kernelIN3c107complexIdEElLb1ELi1ELb1EEEvNS_4cuda6detail10TensorInfoIT_T0_EENS7_IKS8_S9_EEllS9_.has_recursion, 0
	.set _ZN2at6native16triu_tril_kernelIN3c107complexIdEElLb1ELi1ELb1EEEvNS_4cuda6detail10TensorInfoIT_T0_EENS7_IKS8_S9_EEllS9_.has_indirect_call, 0
	.section	.AMDGPU.csdata,"",@progbits
; Kernel info:
; codeLenInByte = 6368
; TotalNumSgprs: 77
; NumVgprs: 26
; ScratchSize: 0
; MemoryBound: 0
; FloatMode: 240
; IeeeMode: 1
; LDSByteSize: 0 bytes/workgroup (compile time only)
; SGPRBlocks: 9
; VGPRBlocks: 6
; NumSGPRsForWavesPerEU: 77
; NumVGPRsForWavesPerEU: 26
; Occupancy: 9
; WaveLimiterHint : 0
; COMPUTE_PGM_RSRC2:SCRATCH_EN: 0
; COMPUTE_PGM_RSRC2:USER_SGPR: 6
; COMPUTE_PGM_RSRC2:TRAP_HANDLER: 0
; COMPUTE_PGM_RSRC2:TGID_X_EN: 1
; COMPUTE_PGM_RSRC2:TGID_Y_EN: 0
; COMPUTE_PGM_RSRC2:TGID_Z_EN: 0
; COMPUTE_PGM_RSRC2:TIDIG_COMP_CNT: 0
	.section	.text._ZN2at6native16triu_tril_kernelIN3c107complexIdEElLb1ELi1ELb0EEEvNS_4cuda6detail10TensorInfoIT_T0_EENS7_IKS8_S9_EEllS9_,"axG",@progbits,_ZN2at6native16triu_tril_kernelIN3c107complexIdEElLb1ELi1ELb0EEEvNS_4cuda6detail10TensorInfoIT_T0_EENS7_IKS8_S9_EEllS9_,comdat
	.protected	_ZN2at6native16triu_tril_kernelIN3c107complexIdEElLb1ELi1ELb0EEEvNS_4cuda6detail10TensorInfoIT_T0_EENS7_IKS8_S9_EEllS9_ ; -- Begin function _ZN2at6native16triu_tril_kernelIN3c107complexIdEElLb1ELi1ELb0EEEvNS_4cuda6detail10TensorInfoIT_T0_EENS7_IKS8_S9_EEllS9_
	.globl	_ZN2at6native16triu_tril_kernelIN3c107complexIdEElLb1ELi1ELb0EEEvNS_4cuda6detail10TensorInfoIT_T0_EENS7_IKS8_S9_EEllS9_
	.p2align	8
	.type	_ZN2at6native16triu_tril_kernelIN3c107complexIdEElLb1ELi1ELb0EEEvNS_4cuda6detail10TensorInfoIT_T0_EENS7_IKS8_S9_EEllS9_,@function
_ZN2at6native16triu_tril_kernelIN3c107complexIdEElLb1ELi1ELb0EEEvNS_4cuda6detail10TensorInfoIT_T0_EENS7_IKS8_S9_EEllS9_: ; @_ZN2at6native16triu_tril_kernelIN3c107complexIdEElLb1ELi1ELb0EEEvNS_4cuda6detail10TensorInfoIT_T0_EENS7_IKS8_S9_EEllS9_
; %bb.0:
	s_load_dword s2, s[4:5], 0x364
	s_load_dwordx4 s[8:11], s[4:5], 0x340
	s_add_u32 s0, s4, 0x358
	v_mov_b32_e32 v4, 0
	s_addc_u32 s1, s5, 0
	s_waitcnt lgkmcnt(0)
	s_and_b32 s30, s2, 0xffff
	v_mov_b32_e32 v1, v4
	v_mov_b32_e32 v2, s6
	v_mad_u64_u32 v[6:7], s[2:3], s30, v2, v[0:1]
	v_cmp_gt_i64_e32 vcc, s[10:11], v[6:7]
	s_and_saveexec_b64 s[2:3], vcc
	s_cbranch_execz .LBB83_35
; %bb.1:
	s_load_dword s24, s[4:5], 0x338
	s_add_u32 s33, s4, 0x1a0
	s_addc_u32 s62, s5, 0
	s_load_dword s31, s[0:1], 0x0
	s_load_dwordx2 s[2:3], s[4:5], 0x1a0
	s_waitcnt lgkmcnt(0)
	s_ashr_i32 s25, s24, 31
	s_lshl_b64 s[0:1], s[24:25], 3
	s_add_u32 s20, s33, s0
	s_addc_u32 s21, s62, s1
	s_add_u32 s22, s20, -8
	s_addc_u32 s23, s21, -1
	s_add_u32 s0, s4, s0
	v_cmp_gt_i64_e64 s[6:7], s[24:25], 2
	s_addc_u32 s1, s5, s1
	s_add_i32 s24, s24, -3
	s_ashr_i32 s25, s24, 31
	s_bitcmp0_b32 s24, 0
	s_load_dwordx4 s[12:15], s[22:23], 0x0
	s_load_dwordx4 s[16:19], s[20:21], 0xc0
	s_mul_i32 s63, s31, s30
	s_load_dwordx4 s[20:23], s[0:1], 0xc0
	s_cselect_b64 s[30:31], -1, 0
	s_lshl_b64 s[0:1], s[24:25], 3
	s_add_u32 s34, s33, s0
	s_addc_u32 s35, s62, s1
	s_add_u32 s36, s4, s0
	s_addc_u32 s37, s5, s1
	s_load_dwordx2 s[26:27], s[4:5], 0x350
	s_load_dwordx2 s[28:29], s[4:5], 0x0
	s_add_u32 s38, s24, -1
	s_addc_u32 s39, s25, -1
	s_cmp_lg_u32 s24, 0
	s_cselect_b64 s[40:41], -1, 0
	s_add_u32 s64, s4, 0xc8
	s_addc_u32 s65, s5, 0
	s_mov_b64 s[4:5], 0
	s_branch .LBB83_3
.LBB83_2:                               ;   in Loop: Header=BB83_3 Depth=1
	s_or_b64 exec, exec, s[0:1]
	v_add_co_u32_e32 v6, vcc, s63, v6
	v_addc_co_u32_e32 v7, vcc, 0, v7, vcc
	v_cmp_le_i64_e32 vcc, s[10:11], v[6:7]
	s_or_b64 s[4:5], vcc, s[4:5]
	s_andn2_b64 exec, exec, s[4:5]
	s_cbranch_execz .LBB83_35
.LBB83_3:                               ; =>This Loop Header: Depth=1
                                        ;     Child Loop BB83_21 Depth 2
	s_waitcnt lgkmcnt(0)
	v_or_b32_e32 v5, s27, v7
	v_cmp_ne_u64_e32 vcc, 0, v[4:5]
                                        ; implicit-def: $vgpr2_vgpr3
	s_and_saveexec_b64 s[0:1], vcc
	s_xor_b64 s[42:43], exec, s[0:1]
	s_cbranch_execz .LBB83_5
; %bb.4:                                ;   in Loop: Header=BB83_3 Depth=1
	s_ashr_i32 s44, s27, 31
	s_add_u32 s0, s26, s44
	s_mov_b32 s45, s44
	s_addc_u32 s1, s27, s44
	s_xor_b64 s[46:47], s[0:1], s[44:45]
	v_cvt_f32_u32_e32 v0, s46
	v_cvt_f32_u32_e32 v1, s47
	s_sub_u32 s45, 0, s46
	s_subb_u32 s48, 0, s47
	v_ashrrev_i32_e32 v5, 31, v7
	v_mac_f32_e32 v0, 0x4f800000, v1
	v_rcp_f32_e32 v0, v0
	v_mul_f32_e32 v0, 0x5f7ffffc, v0
	v_mul_f32_e32 v1, 0x2f800000, v0
	v_trunc_f32_e32 v1, v1
	v_mac_f32_e32 v0, 0xcf800000, v1
	v_cvt_u32_f32_e32 v1, v1
	v_cvt_u32_f32_e32 v0, v0
	v_readfirstlane_b32 s49, v1
	v_readfirstlane_b32 s0, v0
	s_mul_i32 s1, s45, s49
	s_mul_hi_u32 s51, s45, s0
	s_mul_i32 s50, s48, s0
	s_add_i32 s1, s51, s1
	s_add_i32 s1, s1, s50
	s_mul_i32 s52, s45, s0
	s_mul_i32 s51, s0, s1
	s_mul_hi_u32 s53, s0, s52
	s_mul_hi_u32 s50, s0, s1
	s_add_u32 s51, s53, s51
	s_addc_u32 s50, 0, s50
	s_mul_hi_u32 s54, s49, s52
	s_mul_i32 s52, s49, s52
	s_add_u32 s51, s51, s52
	s_mul_hi_u32 s53, s49, s1
	s_addc_u32 s50, s50, s54
	s_addc_u32 s51, s53, 0
	s_mul_i32 s1, s49, s1
	s_add_u32 s1, s50, s1
	s_addc_u32 s50, 0, s51
	s_add_u32 s51, s0, s1
	s_cselect_b64 s[0:1], -1, 0
	s_cmp_lg_u64 s[0:1], 0
	s_addc_u32 s49, s49, s50
	s_mul_i32 s0, s45, s49
	s_mul_hi_u32 s1, s45, s51
	s_add_i32 s0, s1, s0
	s_mul_i32 s48, s48, s51
	s_add_i32 s0, s0, s48
	s_mul_i32 s45, s45, s51
	s_mul_hi_u32 s48, s49, s45
	s_mul_i32 s50, s49, s45
	s_mul_i32 s53, s51, s0
	s_mul_hi_u32 s45, s51, s45
	s_mul_hi_u32 s52, s51, s0
	s_add_u32 s45, s45, s53
	s_addc_u32 s52, 0, s52
	s_add_u32 s45, s45, s50
	s_mul_hi_u32 s1, s49, s0
	s_addc_u32 s45, s52, s48
	s_addc_u32 s1, s1, 0
	s_mul_i32 s0, s49, s0
	s_add_u32 s0, s45, s0
	s_addc_u32 s45, 0, s1
	s_add_u32 s48, s51, s0
	s_cselect_b64 s[0:1], -1, 0
	s_cmp_lg_u64 s[0:1], 0
	v_add_co_u32_e32 v0, vcc, v6, v5
	s_addc_u32 s45, s49, s45
	v_xor_b32_e32 v8, v0, v5
	v_mad_u64_u32 v[0:1], s[0:1], v8, s45, 0
	v_mul_hi_u32 v3, v8, s48
	v_addc_co_u32_e32 v2, vcc, v7, v5, vcc
	v_xor_b32_e32 v9, v2, v5
	v_add_co_u32_e32 v10, vcc, v3, v0
	v_addc_co_u32_e32 v11, vcc, 0, v1, vcc
	v_mad_u64_u32 v[0:1], s[0:1], v9, s48, 0
	v_mad_u64_u32 v[2:3], s[0:1], v9, s45, 0
	v_add_co_u32_e32 v0, vcc, v10, v0
	v_addc_co_u32_e32 v0, vcc, v11, v1, vcc
	v_addc_co_u32_e32 v1, vcc, 0, v3, vcc
	v_add_co_u32_e32 v2, vcc, v0, v2
	v_addc_co_u32_e32 v3, vcc, 0, v1, vcc
	v_mul_lo_u32 v10, s47, v2
	v_mul_lo_u32 v11, s46, v3
	v_mad_u64_u32 v[0:1], s[0:1], s46, v2, 0
	v_add3_u32 v1, v1, v11, v10
	v_sub_u32_e32 v10, v9, v1
	v_mov_b32_e32 v11, s47
	v_sub_co_u32_e32 v0, vcc, v8, v0
	v_subb_co_u32_e64 v8, s[0:1], v10, v11, vcc
	v_subrev_co_u32_e64 v10, s[0:1], s46, v0
	v_subbrev_co_u32_e64 v8, s[0:1], 0, v8, s[0:1]
	v_cmp_le_u32_e64 s[0:1], s47, v8
	v_cndmask_b32_e64 v11, 0, -1, s[0:1]
	v_cmp_le_u32_e64 s[0:1], s46, v10
	v_cndmask_b32_e64 v10, 0, -1, s[0:1]
	v_cmp_eq_u32_e64 s[0:1], s47, v8
	v_cndmask_b32_e64 v8, v11, v10, s[0:1]
	v_add_co_u32_e64 v10, s[0:1], 2, v2
	v_subb_co_u32_e32 v1, vcc, v9, v1, vcc
	v_addc_co_u32_e64 v11, s[0:1], 0, v3, s[0:1]
	v_cmp_le_u32_e32 vcc, s47, v1
	v_add_co_u32_e64 v12, s[0:1], 1, v2
	v_cndmask_b32_e64 v9, 0, -1, vcc
	v_cmp_le_u32_e32 vcc, s46, v0
	v_addc_co_u32_e64 v13, s[0:1], 0, v3, s[0:1]
	v_cndmask_b32_e64 v0, 0, -1, vcc
	v_cmp_eq_u32_e32 vcc, s47, v1
	v_cmp_ne_u32_e64 s[0:1], 0, v8
	v_cndmask_b32_e32 v0, v9, v0, vcc
	v_cndmask_b32_e64 v8, v13, v11, s[0:1]
	v_cmp_ne_u32_e32 vcc, 0, v0
	v_cndmask_b32_e64 v1, v12, v10, s[0:1]
	v_cndmask_b32_e32 v0, v3, v8, vcc
	v_cndmask_b32_e32 v1, v2, v1, vcc
	v_xor_b32_e32 v3, s44, v5
	v_xor_b32_e32 v1, v1, v3
	;; [unrolled: 1-line block ×3, first 2 shown]
	v_sub_co_u32_e32 v2, vcc, v1, v3
	v_subb_co_u32_e32 v3, vcc, v0, v3, vcc
.LBB83_5:                               ;   in Loop: Header=BB83_3 Depth=1
	s_andn2_saveexec_b64 s[0:1], s[42:43]
	s_cbranch_execz .LBB83_7
; %bb.6:                                ;   in Loop: Header=BB83_3 Depth=1
	v_cvt_f32_u32_e32 v0, s26
	s_sub_i32 s42, 0, s26
	v_rcp_iflag_f32_e32 v0, v0
	v_mul_f32_e32 v0, 0x4f7ffffe, v0
	v_cvt_u32_f32_e32 v0, v0
	v_mul_lo_u32 v1, s42, v0
	v_mul_hi_u32 v1, v0, v1
	v_add_u32_e32 v0, v0, v1
	v_mul_hi_u32 v0, v6, v0
	v_mul_lo_u32 v1, v0, s26
	v_add_u32_e32 v2, 1, v0
	v_sub_u32_e32 v1, v6, v1
	v_subrev_u32_e32 v3, s26, v1
	v_cmp_le_u32_e32 vcc, s26, v1
	v_cndmask_b32_e32 v1, v1, v3, vcc
	v_cndmask_b32_e32 v0, v0, v2, vcc
	v_add_u32_e32 v2, 1, v0
	v_cmp_le_u32_e32 vcc, s26, v1
	v_cndmask_b32_e32 v2, v0, v2, vcc
	v_mov_b32_e32 v3, v4
.LBB83_7:                               ;   in Loop: Header=BB83_3 Depth=1
	s_or_b64 exec, exec, s[0:1]
	v_or_b32_e32 v5, s13, v3
	v_cmp_ne_u64_e32 vcc, 0, v[4:5]
                                        ; implicit-def: $vgpr0_vgpr1
	s_and_saveexec_b64 s[0:1], vcc
	s_xor_b64 s[42:43], exec, s[0:1]
	s_cbranch_execz .LBB83_9
; %bb.8:                                ;   in Loop: Header=BB83_3 Depth=1
	s_ashr_i32 s44, s13, 31
	s_add_u32 s0, s12, s44
	s_mov_b32 s45, s44
	s_addc_u32 s1, s13, s44
	s_xor_b64 s[46:47], s[0:1], s[44:45]
	v_cvt_f32_u32_e32 v0, s46
	v_cvt_f32_u32_e32 v1, s47
	s_sub_u32 s45, 0, s46
	s_subb_u32 s48, 0, s47
	v_ashrrev_i32_e32 v5, 31, v3
	v_mac_f32_e32 v0, 0x4f800000, v1
	v_rcp_f32_e32 v0, v0
	v_mul_f32_e32 v0, 0x5f7ffffc, v0
	v_mul_f32_e32 v1, 0x2f800000, v0
	v_trunc_f32_e32 v1, v1
	v_mac_f32_e32 v0, 0xcf800000, v1
	v_cvt_u32_f32_e32 v1, v1
	v_cvt_u32_f32_e32 v0, v0
	v_readfirstlane_b32 s49, v1
	v_readfirstlane_b32 s0, v0
	s_mul_i32 s1, s45, s49
	s_mul_hi_u32 s51, s45, s0
	s_mul_i32 s50, s48, s0
	s_add_i32 s1, s51, s1
	s_add_i32 s1, s1, s50
	s_mul_i32 s52, s45, s0
	s_mul_i32 s51, s0, s1
	s_mul_hi_u32 s53, s0, s52
	s_mul_hi_u32 s50, s0, s1
	s_add_u32 s51, s53, s51
	s_addc_u32 s50, 0, s50
	s_mul_hi_u32 s54, s49, s52
	s_mul_i32 s52, s49, s52
	s_add_u32 s51, s51, s52
	s_mul_hi_u32 s53, s49, s1
	s_addc_u32 s50, s50, s54
	s_addc_u32 s51, s53, 0
	s_mul_i32 s1, s49, s1
	s_add_u32 s1, s50, s1
	s_addc_u32 s50, 0, s51
	s_add_u32 s51, s0, s1
	s_cselect_b64 s[0:1], -1, 0
	s_cmp_lg_u64 s[0:1], 0
	s_addc_u32 s49, s49, s50
	s_mul_i32 s0, s45, s49
	s_mul_hi_u32 s1, s45, s51
	s_add_i32 s0, s1, s0
	s_mul_i32 s48, s48, s51
	s_add_i32 s0, s0, s48
	s_mul_i32 s45, s45, s51
	s_mul_hi_u32 s48, s49, s45
	s_mul_i32 s50, s49, s45
	s_mul_i32 s53, s51, s0
	s_mul_hi_u32 s45, s51, s45
	s_mul_hi_u32 s52, s51, s0
	s_add_u32 s45, s45, s53
	s_addc_u32 s52, 0, s52
	s_add_u32 s45, s45, s50
	s_mul_hi_u32 s1, s49, s0
	s_addc_u32 s45, s52, s48
	s_addc_u32 s1, s1, 0
	s_mul_i32 s0, s49, s0
	s_add_u32 s0, s45, s0
	s_addc_u32 s45, 0, s1
	s_add_u32 s48, s51, s0
	s_cselect_b64 s[0:1], -1, 0
	s_cmp_lg_u64 s[0:1], 0
	v_add_co_u32_e32 v0, vcc, v2, v5
	s_addc_u32 s45, s49, s45
	v_xor_b32_e32 v10, v0, v5
	v_mad_u64_u32 v[0:1], s[0:1], v10, s45, 0
	v_mul_hi_u32 v9, v10, s48
	v_addc_co_u32_e32 v8, vcc, v3, v5, vcc
	v_xor_b32_e32 v11, v8, v5
	v_add_co_u32_e32 v12, vcc, v9, v0
	v_addc_co_u32_e32 v13, vcc, 0, v1, vcc
	v_mad_u64_u32 v[0:1], s[0:1], v11, s48, 0
	v_mad_u64_u32 v[8:9], s[0:1], v11, s45, 0
	v_add_co_u32_e32 v0, vcc, v12, v0
	v_addc_co_u32_e32 v0, vcc, v13, v1, vcc
	v_addc_co_u32_e32 v1, vcc, 0, v9, vcc
	v_add_co_u32_e32 v8, vcc, v0, v8
	v_addc_co_u32_e32 v9, vcc, 0, v1, vcc
	v_mul_lo_u32 v12, s47, v8
	v_mul_lo_u32 v13, s46, v9
	v_mad_u64_u32 v[0:1], s[0:1], s46, v8, 0
	v_xor_b32_e32 v5, s44, v5
	v_add3_u32 v1, v1, v13, v12
	v_sub_u32_e32 v12, v11, v1
	v_mov_b32_e32 v13, s47
	v_sub_co_u32_e32 v0, vcc, v10, v0
	v_subb_co_u32_e64 v10, s[0:1], v12, v13, vcc
	v_subrev_co_u32_e64 v12, s[0:1], s46, v0
	v_subbrev_co_u32_e64 v10, s[0:1], 0, v10, s[0:1]
	v_cmp_le_u32_e64 s[0:1], s47, v10
	v_cndmask_b32_e64 v13, 0, -1, s[0:1]
	v_cmp_le_u32_e64 s[0:1], s46, v12
	v_cndmask_b32_e64 v12, 0, -1, s[0:1]
	v_cmp_eq_u32_e64 s[0:1], s47, v10
	v_cndmask_b32_e64 v10, v13, v12, s[0:1]
	v_add_co_u32_e64 v12, s[0:1], 2, v8
	v_subb_co_u32_e32 v1, vcc, v11, v1, vcc
	v_addc_co_u32_e64 v13, s[0:1], 0, v9, s[0:1]
	v_cmp_le_u32_e32 vcc, s47, v1
	v_add_co_u32_e64 v14, s[0:1], 1, v8
	v_cndmask_b32_e64 v11, 0, -1, vcc
	v_cmp_le_u32_e32 vcc, s46, v0
	v_addc_co_u32_e64 v15, s[0:1], 0, v9, s[0:1]
	v_cndmask_b32_e64 v0, 0, -1, vcc
	v_cmp_eq_u32_e32 vcc, s47, v1
	v_cmp_ne_u32_e64 s[0:1], 0, v10
	v_cndmask_b32_e32 v0, v11, v0, vcc
	v_cndmask_b32_e64 v10, v15, v13, s[0:1]
	v_cmp_ne_u32_e32 vcc, 0, v0
	v_cndmask_b32_e64 v1, v14, v12, s[0:1]
	v_cndmask_b32_e32 v0, v9, v10, vcc
	v_cndmask_b32_e32 v1, v8, v1, vcc
	v_xor_b32_e32 v8, v0, v5
	v_xor_b32_e32 v0, v1, v5
	v_sub_co_u32_e32 v0, vcc, v0, v5
	v_subb_co_u32_e32 v1, vcc, v8, v5, vcc
.LBB83_9:                               ;   in Loop: Header=BB83_3 Depth=1
	s_andn2_saveexec_b64 s[0:1], s[42:43]
	s_cbranch_execz .LBB83_11
; %bb.10:                               ;   in Loop: Header=BB83_3 Depth=1
	v_cvt_f32_u32_e32 v0, s12
	s_sub_i32 s42, 0, s12
	v_rcp_iflag_f32_e32 v0, v0
	v_mul_f32_e32 v0, 0x4f7ffffe, v0
	v_cvt_u32_f32_e32 v0, v0
	v_mul_lo_u32 v1, s42, v0
	v_mul_hi_u32 v1, v0, v1
	v_add_u32_e32 v0, v0, v1
	v_mul_hi_u32 v0, v2, v0
	v_mul_lo_u32 v1, v0, s12
	v_add_u32_e32 v5, 1, v0
	v_sub_u32_e32 v1, v2, v1
	v_subrev_u32_e32 v8, s12, v1
	v_cmp_le_u32_e32 vcc, s12, v1
	v_cndmask_b32_e32 v1, v1, v8, vcc
	v_cndmask_b32_e32 v0, v0, v5, vcc
	v_add_u32_e32 v5, 1, v0
	v_cmp_le_u32_e32 vcc, s12, v1
	v_cndmask_b32_e32 v0, v0, v5, vcc
	v_mov_b32_e32 v1, v4
.LBB83_11:                              ;   in Loop: Header=BB83_3 Depth=1
	s_or_b64 exec, exec, s[0:1]
	v_mul_lo_u32 v5, v3, s26
	v_mul_lo_u32 v10, v2, s27
	v_mad_u64_u32 v[8:9], s[0:1], v2, s26, 0
	v_mul_lo_u32 v12, v1, s12
	v_mul_lo_u32 v13, v0, s13
	v_add3_u32 v5, v9, v10, v5
	v_mad_u64_u32 v[10:11], s[0:1], v0, s12, 0
	v_sub_co_u32_e32 v8, vcc, v6, v8
	v_subb_co_u32_e32 v9, vcc, v7, v5, vcc
	v_add3_u32 v5, v11, v13, v12
	v_mul_lo_u32 v13, s19, v8
	v_mul_lo_u32 v14, s18, v9
	v_mad_u64_u32 v[11:12], s[0:1], s18, v8, 0
	v_sub_co_u32_e32 v16, vcc, v2, v10
	v_subb_co_u32_e32 v17, vcc, v3, v5, vcc
	v_add3_u32 v12, v12, v14, v13
	v_mul_lo_u32 v5, s23, v8
	v_mul_lo_u32 v10, s22, v9
	v_mad_u64_u32 v[2:3], s[0:1], s22, v8, 0
	v_mad_u64_u32 v[12:13], s[0:1], s16, v16, v[11:12]
	v_mul_lo_u32 v11, s16, v17
	v_mul_lo_u32 v14, s17, v16
	v_add3_u32 v3, v3, v10, v5
	s_andn2_b64 vcc, exec, s[6:7]
	v_add3_u32 v13, v14, v13, v11
	v_mad_u64_u32 v[10:11], s[0:1], s20, v16, v[2:3]
	v_mul_lo_u32 v2, s20, v17
	v_mul_lo_u32 v3, s21, v16
	v_add3_u32 v11, v3, v11, v2
	s_cbranch_vccnz .LBB83_29
; %bb.12:                               ;   in Loop: Header=BB83_3 Depth=1
	s_andn2_b64 vcc, exec, s[30:31]
	s_cbranch_vccnz .LBB83_18
; %bb.13:                               ;   in Loop: Header=BB83_3 Depth=1
	s_load_dwordx2 s[42:43], s[34:35], 0x8
                                        ; implicit-def: $vgpr2_vgpr3
	s_waitcnt lgkmcnt(0)
	v_or_b32_e32 v5, s43, v1
	v_cmp_ne_u64_e32 vcc, 0, v[4:5]
	s_and_saveexec_b64 s[0:1], vcc
	s_xor_b64 s[44:45], exec, s[0:1]
	s_cbranch_execz .LBB83_15
; %bb.14:                               ;   in Loop: Header=BB83_3 Depth=1
	s_ashr_i32 s46, s43, 31
	s_add_u32 s0, s42, s46
	s_mov_b32 s47, s46
	s_addc_u32 s1, s43, s46
	s_xor_b64 s[48:49], s[0:1], s[46:47]
	v_cvt_f32_u32_e32 v2, s48
	v_cvt_f32_u32_e32 v3, s49
	s_sub_u32 s47, 0, s48
	s_subb_u32 s50, 0, s49
	v_ashrrev_i32_e32 v5, 31, v1
	v_mac_f32_e32 v2, 0x4f800000, v3
	v_rcp_f32_e32 v2, v2
	v_mul_f32_e32 v2, 0x5f7ffffc, v2
	v_mul_f32_e32 v3, 0x2f800000, v2
	v_trunc_f32_e32 v3, v3
	v_mac_f32_e32 v2, 0xcf800000, v3
	v_cvt_u32_f32_e32 v3, v3
	v_cvt_u32_f32_e32 v2, v2
	v_readfirstlane_b32 s51, v3
	v_readfirstlane_b32 s0, v2
	s_mul_i32 s1, s47, s51
	s_mul_hi_u32 s53, s47, s0
	s_mul_i32 s52, s50, s0
	s_add_i32 s1, s53, s1
	s_add_i32 s1, s1, s52
	s_mul_i32 s54, s47, s0
	s_mul_i32 s53, s0, s1
	s_mul_hi_u32 s55, s0, s54
	s_mul_hi_u32 s52, s0, s1
	s_add_u32 s53, s55, s53
	s_addc_u32 s52, 0, s52
	s_mul_hi_u32 s56, s51, s54
	s_mul_i32 s54, s51, s54
	s_add_u32 s53, s53, s54
	s_mul_hi_u32 s55, s51, s1
	s_addc_u32 s52, s52, s56
	s_addc_u32 s53, s55, 0
	s_mul_i32 s1, s51, s1
	s_add_u32 s1, s52, s1
	s_addc_u32 s52, 0, s53
	s_add_u32 s53, s0, s1
	s_cselect_b64 s[0:1], -1, 0
	s_cmp_lg_u64 s[0:1], 0
	s_addc_u32 s51, s51, s52
	s_mul_i32 s0, s47, s51
	s_mul_hi_u32 s1, s47, s53
	s_add_i32 s0, s1, s0
	s_mul_i32 s50, s50, s53
	s_add_i32 s0, s0, s50
	s_mul_i32 s47, s47, s53
	s_mul_hi_u32 s50, s51, s47
	s_mul_i32 s52, s51, s47
	s_mul_i32 s55, s53, s0
	s_mul_hi_u32 s47, s53, s47
	s_mul_hi_u32 s54, s53, s0
	s_add_u32 s47, s47, s55
	s_addc_u32 s54, 0, s54
	s_add_u32 s47, s47, s52
	s_mul_hi_u32 s1, s51, s0
	s_addc_u32 s47, s54, s50
	s_addc_u32 s1, s1, 0
	s_mul_i32 s0, s51, s0
	s_add_u32 s0, s47, s0
	s_addc_u32 s47, 0, s1
	s_add_u32 s50, s53, s0
	s_cselect_b64 s[0:1], -1, 0
	s_cmp_lg_u64 s[0:1], 0
	v_add_co_u32_e32 v2, vcc, v0, v5
	s_addc_u32 s47, s51, s47
	v_xor_b32_e32 v18, v2, v5
	v_mad_u64_u32 v[2:3], s[0:1], v18, s47, 0
	v_mul_hi_u32 v15, v18, s50
	v_addc_co_u32_e32 v14, vcc, v1, v5, vcc
	v_xor_b32_e32 v19, v14, v5
	v_add_co_u32_e32 v20, vcc, v15, v2
	v_addc_co_u32_e32 v21, vcc, 0, v3, vcc
	v_mad_u64_u32 v[2:3], s[0:1], v19, s50, 0
	v_mad_u64_u32 v[14:15], s[0:1], v19, s47, 0
	v_add_co_u32_e32 v2, vcc, v20, v2
	v_addc_co_u32_e32 v2, vcc, v21, v3, vcc
	v_addc_co_u32_e32 v3, vcc, 0, v15, vcc
	v_add_co_u32_e32 v14, vcc, v2, v14
	v_addc_co_u32_e32 v15, vcc, 0, v3, vcc
	v_mul_lo_u32 v20, s49, v14
	v_mul_lo_u32 v21, s48, v15
	v_mad_u64_u32 v[2:3], s[0:1], s48, v14, 0
	v_xor_b32_e32 v5, s46, v5
	v_add3_u32 v3, v3, v21, v20
	v_sub_u32_e32 v20, v19, v3
	v_mov_b32_e32 v21, s49
	v_sub_co_u32_e32 v2, vcc, v18, v2
	v_subb_co_u32_e64 v18, s[0:1], v20, v21, vcc
	v_subrev_co_u32_e64 v20, s[0:1], s48, v2
	v_subbrev_co_u32_e64 v18, s[0:1], 0, v18, s[0:1]
	v_cmp_le_u32_e64 s[0:1], s49, v18
	v_cndmask_b32_e64 v21, 0, -1, s[0:1]
	v_cmp_le_u32_e64 s[0:1], s48, v20
	v_cndmask_b32_e64 v20, 0, -1, s[0:1]
	v_cmp_eq_u32_e64 s[0:1], s49, v18
	v_cndmask_b32_e64 v18, v21, v20, s[0:1]
	v_add_co_u32_e64 v20, s[0:1], 2, v14
	v_subb_co_u32_e32 v3, vcc, v19, v3, vcc
	v_addc_co_u32_e64 v21, s[0:1], 0, v15, s[0:1]
	v_cmp_le_u32_e32 vcc, s49, v3
	v_add_co_u32_e64 v22, s[0:1], 1, v14
	v_cndmask_b32_e64 v19, 0, -1, vcc
	v_cmp_le_u32_e32 vcc, s48, v2
	v_addc_co_u32_e64 v23, s[0:1], 0, v15, s[0:1]
	v_cndmask_b32_e64 v2, 0, -1, vcc
	v_cmp_eq_u32_e32 vcc, s49, v3
	v_cmp_ne_u32_e64 s[0:1], 0, v18
	v_cndmask_b32_e32 v2, v19, v2, vcc
	v_cndmask_b32_e64 v18, v23, v21, s[0:1]
	v_cmp_ne_u32_e32 vcc, 0, v2
	v_cndmask_b32_e64 v3, v22, v20, s[0:1]
	v_cndmask_b32_e32 v2, v15, v18, vcc
	v_cndmask_b32_e32 v3, v14, v3, vcc
	v_xor_b32_e32 v14, v2, v5
	v_xor_b32_e32 v2, v3, v5
	v_sub_co_u32_e32 v2, vcc, v2, v5
	v_subb_co_u32_e32 v3, vcc, v14, v5, vcc
.LBB83_15:                              ;   in Loop: Header=BB83_3 Depth=1
	s_andn2_saveexec_b64 s[0:1], s[44:45]
	s_cbranch_execz .LBB83_17
; %bb.16:                               ;   in Loop: Header=BB83_3 Depth=1
	v_cvt_f32_u32_e32 v2, s42
	s_sub_i32 s44, 0, s42
	v_rcp_iflag_f32_e32 v2, v2
	v_mul_f32_e32 v2, 0x4f7ffffe, v2
	v_cvt_u32_f32_e32 v2, v2
	v_mul_lo_u32 v3, s44, v2
	v_mul_hi_u32 v3, v2, v3
	v_add_u32_e32 v2, v2, v3
	v_mul_hi_u32 v2, v0, v2
	v_mul_lo_u32 v3, v2, s42
	v_add_u32_e32 v5, 1, v2
	v_sub_u32_e32 v3, v0, v3
	v_subrev_u32_e32 v14, s42, v3
	v_cmp_le_u32_e32 vcc, s42, v3
	v_cndmask_b32_e32 v3, v3, v14, vcc
	v_cndmask_b32_e32 v2, v2, v5, vcc
	v_add_u32_e32 v5, 1, v2
	v_cmp_le_u32_e32 vcc, s42, v3
	v_cndmask_b32_e32 v2, v2, v5, vcc
	v_mov_b32_e32 v3, v4
.LBB83_17:                              ;   in Loop: Header=BB83_3 Depth=1
	s_or_b64 exec, exec, s[0:1]
	v_mul_lo_u32 v5, v3, s42
	v_mul_lo_u32 v18, v2, s43
	v_mad_u64_u32 v[14:15], s[0:1], v2, s42, 0
	s_load_dwordx2 s[0:1], s[34:35], 0xd0
	s_load_dwordx2 s[42:43], s[36:37], 0xd0
	v_add3_u32 v5, v15, v18, v5
	v_sub_co_u32_e32 v0, vcc, v0, v14
	v_subb_co_u32_e32 v1, vcc, v1, v5, vcc
	s_waitcnt lgkmcnt(0)
	v_mul_lo_u32 v5, s0, v1
	v_mul_lo_u32 v14, s1, v0
	v_mad_u64_u32 v[12:13], s[0:1], s0, v0, v[12:13]
	v_mul_lo_u32 v1, s42, v1
	v_mul_lo_u32 v15, s43, v0
	v_mad_u64_u32 v[10:11], s[0:1], s42, v0, v[10:11]
	v_add3_u32 v13, v14, v13, v5
	s_mov_b64 s[0:1], s[38:39]
	v_add3_u32 v11, v15, v11, v1
	v_mov_b32_e32 v0, v2
	v_mov_b32_e32 v1, v3
	s_andn2_b64 vcc, exec, s[40:41]
	s_cbranch_vccz .LBB83_19
	s_branch .LBB83_29
.LBB83_18:                              ;   in Loop: Header=BB83_3 Depth=1
	s_mov_b64 s[0:1], s[24:25]
	s_andn2_b64 vcc, exec, s[40:41]
	s_cbranch_vccnz .LBB83_29
.LBB83_19:                              ;   in Loop: Header=BB83_3 Depth=1
	s_lshl_b64 s[44:45], s[0:1], 3
	s_add_u32 s42, s64, s44
	s_addc_u32 s43, s65, s45
	s_add_u32 s44, s33, s44
	s_addc_u32 s45, s62, s45
	;; [unrolled: 2-line block ×3, first 2 shown]
	s_branch .LBB83_21
.LBB83_20:                              ;   in Loop: Header=BB83_21 Depth=2
	s_or_b64 exec, exec, s[0:1]
	v_mul_lo_u32 v5, v3, s48
	v_mul_lo_u32 v20, v2, s49
	v_mad_u64_u32 v[18:19], s[0:1], v2, s48, 0
	v_mul_lo_u32 v22, v14, s51
	s_load_dwordx2 s[48:49], s[42:43], 0x0
	v_add3_u32 v5, v19, v20, v5
	v_sub_co_u32_e32 v18, vcc, v0, v18
	v_subb_co_u32_e32 v5, vcc, v1, v5, vcc
	v_mul_lo_u32 v19, s54, v5
	v_mul_lo_u32 v20, s55, v18
	v_mad_u64_u32 v[0:1], s[0:1], s54, v18, v[12:13]
	v_mul_lo_u32 v5, s52, v5
	v_mul_lo_u32 v21, s53, v18
	v_mad_u64_u32 v[10:11], s[0:1], s52, v18, v[10:11]
	v_mul_lo_u32 v18, v15, s50
	v_mad_u64_u32 v[12:13], s[0:1], v14, s50, 0
	s_load_dwordx2 s[0:1], s[44:45], 0xc8
	v_add3_u32 v11, v21, v11, v5
	v_add3_u32 v5, v13, v22, v18
	v_sub_co_u32_e32 v2, vcc, v2, v12
	v_add3_u32 v1, v20, v1, v19
	v_subb_co_u32_e32 v3, vcc, v3, v5, vcc
	s_add_u32 s42, s42, -16
	s_waitcnt lgkmcnt(0)
	v_mad_u64_u32 v[12:13], s[50:51], s0, v2, v[0:1]
	v_mul_lo_u32 v0, s0, v3
	v_mul_lo_u32 v1, s1, v2
	s_addc_u32 s43, s43, -1
	v_mad_u64_u32 v[10:11], s[0:1], s48, v2, v[10:11]
	v_mul_lo_u32 v3, s48, v3
	v_mul_lo_u32 v2, s49, v2
	s_add_u32 s44, s44, -16
	s_addc_u32 s45, s45, -1
	s_add_u32 s46, s46, -2
	v_add3_u32 v13, v1, v13, v0
	s_addc_u32 s47, s47, -1
	v_mov_b32_e32 v0, v14
	v_add3_u32 v11, v2, v11, v3
	s_cmp_eq_u64 s[46:47], 0
	v_mov_b32_e32 v1, v15
	s_cbranch_scc1 .LBB83_29
.LBB83_21:                              ;   Parent Loop BB83_3 Depth=1
                                        ; =>  This Inner Loop Header: Depth=2
	s_load_dwordx2 s[48:49], s[44:45], 0x8
                                        ; implicit-def: $vgpr2_vgpr3
	s_waitcnt lgkmcnt(0)
	v_or_b32_e32 v5, s49, v1
	v_cmp_ne_u64_e32 vcc, 0, v[4:5]
	s_and_saveexec_b64 s[0:1], vcc
	s_xor_b64 s[50:51], exec, s[0:1]
	s_cbranch_execz .LBB83_23
; %bb.22:                               ;   in Loop: Header=BB83_21 Depth=2
	s_ashr_i32 s52, s49, 31
	s_add_u32 s0, s48, s52
	s_mov_b32 s53, s52
	s_addc_u32 s1, s49, s52
	s_xor_b64 s[54:55], s[0:1], s[52:53]
	v_cvt_f32_u32_e32 v2, s54
	v_cvt_f32_u32_e32 v3, s55
	s_sub_u32 s53, 0, s54
	s_subb_u32 s56, 0, s55
	v_ashrrev_i32_e32 v5, 31, v1
	v_mac_f32_e32 v2, 0x4f800000, v3
	v_rcp_f32_e32 v2, v2
	v_mul_f32_e32 v2, 0x5f7ffffc, v2
	v_mul_f32_e32 v3, 0x2f800000, v2
	v_trunc_f32_e32 v3, v3
	v_mac_f32_e32 v2, 0xcf800000, v3
	v_cvt_u32_f32_e32 v3, v3
	v_cvt_u32_f32_e32 v2, v2
	v_readfirstlane_b32 s57, v3
	v_readfirstlane_b32 s0, v2
	s_mul_i32 s1, s53, s57
	s_mul_hi_u32 s59, s53, s0
	s_mul_i32 s58, s56, s0
	s_add_i32 s1, s59, s1
	s_add_i32 s1, s1, s58
	s_mul_i32 s60, s53, s0
	s_mul_i32 s59, s0, s1
	s_mul_hi_u32 s61, s0, s60
	s_mul_hi_u32 s58, s0, s1
	s_add_u32 s59, s61, s59
	s_addc_u32 s58, 0, s58
	s_mul_hi_u32 s66, s57, s60
	s_mul_i32 s60, s57, s60
	s_add_u32 s59, s59, s60
	s_mul_hi_u32 s61, s57, s1
	s_addc_u32 s58, s58, s66
	s_addc_u32 s59, s61, 0
	s_mul_i32 s1, s57, s1
	s_add_u32 s1, s58, s1
	s_addc_u32 s58, 0, s59
	s_add_u32 s59, s0, s1
	s_cselect_b64 s[0:1], -1, 0
	s_cmp_lg_u64 s[0:1], 0
	s_addc_u32 s57, s57, s58
	s_mul_i32 s0, s53, s57
	s_mul_hi_u32 s1, s53, s59
	s_add_i32 s0, s1, s0
	s_mul_i32 s56, s56, s59
	s_add_i32 s0, s0, s56
	s_mul_i32 s53, s53, s59
	s_mul_hi_u32 s56, s57, s53
	s_mul_i32 s58, s57, s53
	s_mul_i32 s61, s59, s0
	s_mul_hi_u32 s53, s59, s53
	s_mul_hi_u32 s60, s59, s0
	s_add_u32 s53, s53, s61
	s_addc_u32 s60, 0, s60
	s_add_u32 s53, s53, s58
	s_mul_hi_u32 s1, s57, s0
	s_addc_u32 s53, s60, s56
	s_addc_u32 s1, s1, 0
	s_mul_i32 s0, s57, s0
	s_add_u32 s0, s53, s0
	s_addc_u32 s53, 0, s1
	s_add_u32 s56, s59, s0
	s_cselect_b64 s[0:1], -1, 0
	s_cmp_lg_u64 s[0:1], 0
	v_add_co_u32_e32 v2, vcc, v0, v5
	s_addc_u32 s53, s57, s53
	v_xor_b32_e32 v18, v2, v5
	v_mad_u64_u32 v[2:3], s[0:1], v18, s53, 0
	v_mul_hi_u32 v15, v18, s56
	v_addc_co_u32_e32 v14, vcc, v1, v5, vcc
	v_xor_b32_e32 v19, v14, v5
	v_add_co_u32_e32 v20, vcc, v15, v2
	v_addc_co_u32_e32 v21, vcc, 0, v3, vcc
	v_mad_u64_u32 v[2:3], s[0:1], v19, s56, 0
	v_mad_u64_u32 v[14:15], s[0:1], v19, s53, 0
	v_add_co_u32_e32 v2, vcc, v20, v2
	v_addc_co_u32_e32 v2, vcc, v21, v3, vcc
	v_addc_co_u32_e32 v3, vcc, 0, v15, vcc
	v_add_co_u32_e32 v14, vcc, v2, v14
	v_addc_co_u32_e32 v15, vcc, 0, v3, vcc
	v_mul_lo_u32 v20, s55, v14
	v_mul_lo_u32 v21, s54, v15
	v_mad_u64_u32 v[2:3], s[0:1], s54, v14, 0
	v_xor_b32_e32 v5, s52, v5
	v_add3_u32 v3, v3, v21, v20
	v_sub_u32_e32 v20, v19, v3
	v_mov_b32_e32 v21, s55
	v_sub_co_u32_e32 v2, vcc, v18, v2
	v_subb_co_u32_e64 v18, s[0:1], v20, v21, vcc
	v_subrev_co_u32_e64 v20, s[0:1], s54, v2
	v_subbrev_co_u32_e64 v18, s[0:1], 0, v18, s[0:1]
	v_cmp_le_u32_e64 s[0:1], s55, v18
	v_cndmask_b32_e64 v21, 0, -1, s[0:1]
	v_cmp_le_u32_e64 s[0:1], s54, v20
	v_cndmask_b32_e64 v20, 0, -1, s[0:1]
	v_cmp_eq_u32_e64 s[0:1], s55, v18
	v_cndmask_b32_e64 v18, v21, v20, s[0:1]
	v_add_co_u32_e64 v20, s[0:1], 2, v14
	v_subb_co_u32_e32 v3, vcc, v19, v3, vcc
	v_addc_co_u32_e64 v21, s[0:1], 0, v15, s[0:1]
	v_cmp_le_u32_e32 vcc, s55, v3
	v_add_co_u32_e64 v22, s[0:1], 1, v14
	v_cndmask_b32_e64 v19, 0, -1, vcc
	v_cmp_le_u32_e32 vcc, s54, v2
	v_addc_co_u32_e64 v23, s[0:1], 0, v15, s[0:1]
	v_cndmask_b32_e64 v2, 0, -1, vcc
	v_cmp_eq_u32_e32 vcc, s55, v3
	v_cmp_ne_u32_e64 s[0:1], 0, v18
	v_cndmask_b32_e32 v2, v19, v2, vcc
	v_cndmask_b32_e64 v18, v23, v21, s[0:1]
	v_cmp_ne_u32_e32 vcc, 0, v2
	v_cndmask_b32_e64 v3, v22, v20, s[0:1]
	v_cndmask_b32_e32 v2, v15, v18, vcc
	v_cndmask_b32_e32 v3, v14, v3, vcc
	v_xor_b32_e32 v14, v2, v5
	v_xor_b32_e32 v2, v3, v5
	v_sub_co_u32_e32 v2, vcc, v2, v5
	v_subb_co_u32_e32 v3, vcc, v14, v5, vcc
.LBB83_23:                              ;   in Loop: Header=BB83_21 Depth=2
	s_andn2_saveexec_b64 s[0:1], s[50:51]
	s_cbranch_execz .LBB83_25
; %bb.24:                               ;   in Loop: Header=BB83_21 Depth=2
	v_cvt_f32_u32_e32 v2, s48
	s_sub_i32 s50, 0, s48
	v_rcp_iflag_f32_e32 v2, v2
	v_mul_f32_e32 v2, 0x4f7ffffe, v2
	v_cvt_u32_f32_e32 v2, v2
	v_mul_lo_u32 v3, s50, v2
	v_mul_hi_u32 v3, v2, v3
	v_add_u32_e32 v2, v2, v3
	v_mul_hi_u32 v2, v0, v2
	v_mul_lo_u32 v3, v2, s48
	v_add_u32_e32 v5, 1, v2
	v_sub_u32_e32 v3, v0, v3
	v_subrev_u32_e32 v14, s48, v3
	v_cmp_le_u32_e32 vcc, s48, v3
	v_cndmask_b32_e32 v3, v3, v14, vcc
	v_cndmask_b32_e32 v2, v2, v5, vcc
	v_add_u32_e32 v5, 1, v2
	v_cmp_le_u32_e32 vcc, s48, v3
	v_cndmask_b32_e32 v2, v2, v5, vcc
	v_mov_b32_e32 v3, v4
.LBB83_25:                              ;   in Loop: Header=BB83_21 Depth=2
	s_or_b64 exec, exec, s[0:1]
	s_load_dwordx2 s[50:51], s[44:45], 0x0
	s_load_dwordx2 s[54:55], s[44:45], 0xd0
	;; [unrolled: 1-line block ×3, first 2 shown]
                                        ; implicit-def: $vgpr14_vgpr15
	s_waitcnt lgkmcnt(0)
	v_or_b32_e32 v5, s51, v3
	v_cmp_ne_u64_e32 vcc, 0, v[4:5]
	s_and_saveexec_b64 s[0:1], vcc
	s_xor_b64 s[56:57], exec, s[0:1]
	s_cbranch_execz .LBB83_27
; %bb.26:                               ;   in Loop: Header=BB83_21 Depth=2
	s_ashr_i32 s58, s51, 31
	s_add_u32 s0, s50, s58
	s_mov_b32 s59, s58
	s_addc_u32 s1, s51, s58
	s_xor_b64 s[60:61], s[0:1], s[58:59]
	v_cvt_f32_u32_e32 v5, s60
	v_cvt_f32_u32_e32 v14, s61
	s_sub_u32 s59, 0, s60
	s_subb_u32 s66, 0, s61
	v_mac_f32_e32 v5, 0x4f800000, v14
	v_rcp_f32_e32 v5, v5
	v_mul_f32_e32 v5, 0x5f7ffffc, v5
	v_mul_f32_e32 v14, 0x2f800000, v5
	v_trunc_f32_e32 v14, v14
	v_mac_f32_e32 v5, 0xcf800000, v14
	v_cvt_u32_f32_e32 v14, v14
	v_cvt_u32_f32_e32 v5, v5
	v_readfirstlane_b32 s67, v14
	v_readfirstlane_b32 s0, v5
	s_mul_i32 s1, s59, s67
	s_mul_hi_u32 s69, s59, s0
	s_mul_i32 s68, s66, s0
	s_add_i32 s1, s69, s1
	s_add_i32 s1, s1, s68
	s_mul_i32 s70, s59, s0
	s_mul_i32 s69, s0, s1
	s_mul_hi_u32 s71, s0, s70
	s_mul_hi_u32 s68, s0, s1
	s_add_u32 s69, s71, s69
	s_addc_u32 s68, 0, s68
	s_mul_hi_u32 s72, s67, s70
	s_mul_i32 s70, s67, s70
	s_add_u32 s69, s69, s70
	s_mul_hi_u32 s71, s67, s1
	s_addc_u32 s68, s68, s72
	s_addc_u32 s69, s71, 0
	s_mul_i32 s1, s67, s1
	s_add_u32 s1, s68, s1
	s_addc_u32 s68, 0, s69
	s_add_u32 s69, s0, s1
	s_cselect_b64 s[0:1], -1, 0
	s_cmp_lg_u64 s[0:1], 0
	s_addc_u32 s67, s67, s68
	s_mul_i32 s0, s59, s67
	s_mul_hi_u32 s1, s59, s69
	s_add_i32 s0, s1, s0
	s_mul_i32 s66, s66, s69
	s_add_i32 s0, s0, s66
	s_mul_i32 s59, s59, s69
	s_mul_hi_u32 s66, s67, s59
	s_mul_i32 s68, s67, s59
	s_mul_i32 s71, s69, s0
	s_mul_hi_u32 s59, s69, s59
	s_mul_hi_u32 s70, s69, s0
	s_add_u32 s59, s59, s71
	s_addc_u32 s70, 0, s70
	s_add_u32 s59, s59, s68
	s_mul_hi_u32 s1, s67, s0
	s_addc_u32 s59, s70, s66
	s_addc_u32 s1, s1, 0
	s_mul_i32 s0, s67, s0
	s_add_u32 s0, s59, s0
	s_addc_u32 s59, 0, s1
	s_add_u32 s66, s69, s0
	s_cselect_b64 s[0:1], -1, 0
	v_ashrrev_i32_e32 v5, 31, v3
	s_cmp_lg_u64 s[0:1], 0
	v_add_co_u32_e32 v14, vcc, v2, v5
	s_addc_u32 s59, s67, s59
	v_xor_b32_e32 v20, v14, v5
	v_mad_u64_u32 v[14:15], s[0:1], v20, s59, 0
	v_mul_hi_u32 v19, v20, s66
	v_addc_co_u32_e32 v18, vcc, v3, v5, vcc
	v_xor_b32_e32 v21, v18, v5
	v_add_co_u32_e32 v22, vcc, v19, v14
	v_addc_co_u32_e32 v23, vcc, 0, v15, vcc
	v_mad_u64_u32 v[14:15], s[0:1], v21, s66, 0
	v_mad_u64_u32 v[18:19], s[0:1], v21, s59, 0
	v_add_co_u32_e32 v14, vcc, v22, v14
	v_addc_co_u32_e32 v14, vcc, v23, v15, vcc
	v_addc_co_u32_e32 v15, vcc, 0, v19, vcc
	v_add_co_u32_e32 v18, vcc, v14, v18
	v_addc_co_u32_e32 v19, vcc, 0, v15, vcc
	v_mul_lo_u32 v22, s61, v18
	v_mul_lo_u32 v23, s60, v19
	v_mad_u64_u32 v[14:15], s[0:1], s60, v18, 0
	v_xor_b32_e32 v5, s58, v5
	v_add3_u32 v15, v15, v23, v22
	v_sub_u32_e32 v22, v21, v15
	v_mov_b32_e32 v23, s61
	v_sub_co_u32_e32 v14, vcc, v20, v14
	v_subb_co_u32_e64 v20, s[0:1], v22, v23, vcc
	v_subrev_co_u32_e64 v22, s[0:1], s60, v14
	v_subbrev_co_u32_e64 v20, s[0:1], 0, v20, s[0:1]
	v_cmp_le_u32_e64 s[0:1], s61, v20
	v_cndmask_b32_e64 v23, 0, -1, s[0:1]
	v_cmp_le_u32_e64 s[0:1], s60, v22
	v_cndmask_b32_e64 v22, 0, -1, s[0:1]
	v_cmp_eq_u32_e64 s[0:1], s61, v20
	v_cndmask_b32_e64 v20, v23, v22, s[0:1]
	v_add_co_u32_e64 v22, s[0:1], 2, v18
	v_subb_co_u32_e32 v15, vcc, v21, v15, vcc
	v_addc_co_u32_e64 v23, s[0:1], 0, v19, s[0:1]
	v_cmp_le_u32_e32 vcc, s61, v15
	v_add_co_u32_e64 v24, s[0:1], 1, v18
	v_cndmask_b32_e64 v21, 0, -1, vcc
	v_cmp_le_u32_e32 vcc, s60, v14
	v_addc_co_u32_e64 v25, s[0:1], 0, v19, s[0:1]
	v_cndmask_b32_e64 v14, 0, -1, vcc
	v_cmp_eq_u32_e32 vcc, s61, v15
	v_cmp_ne_u32_e64 s[0:1], 0, v20
	v_cndmask_b32_e32 v14, v21, v14, vcc
	v_cndmask_b32_e64 v20, v25, v23, s[0:1]
	v_cmp_ne_u32_e32 vcc, 0, v14
	v_cndmask_b32_e64 v15, v24, v22, s[0:1]
	v_cndmask_b32_e32 v14, v19, v20, vcc
	v_cndmask_b32_e32 v15, v18, v15, vcc
	v_xor_b32_e32 v18, v14, v5
	v_xor_b32_e32 v14, v15, v5
	v_sub_co_u32_e32 v14, vcc, v14, v5
	v_subb_co_u32_e32 v15, vcc, v18, v5, vcc
.LBB83_27:                              ;   in Loop: Header=BB83_21 Depth=2
	s_andn2_saveexec_b64 s[0:1], s[56:57]
	s_cbranch_execz .LBB83_20
; %bb.28:                               ;   in Loop: Header=BB83_21 Depth=2
	v_cvt_f32_u32_e32 v5, s50
	s_sub_i32 s56, 0, s50
	v_rcp_iflag_f32_e32 v5, v5
	v_mul_f32_e32 v5, 0x4f7ffffe, v5
	v_cvt_u32_f32_e32 v5, v5
	v_mul_lo_u32 v14, s56, v5
	v_mul_hi_u32 v14, v5, v14
	v_add_u32_e32 v5, v5, v14
	v_mul_hi_u32 v5, v2, v5
	v_mul_lo_u32 v14, v5, s50
	v_add_u32_e32 v15, 1, v5
	v_sub_u32_e32 v14, v2, v14
	v_subrev_u32_e32 v18, s50, v14
	v_cmp_le_u32_e32 vcc, s50, v14
	v_cndmask_b32_e32 v14, v14, v18, vcc
	v_cndmask_b32_e32 v5, v5, v15, vcc
	v_add_u32_e32 v15, 1, v5
	v_cmp_le_u32_e32 vcc, s50, v14
	v_cndmask_b32_e32 v14, v5, v15, vcc
	v_mov_b32_e32 v15, v4
	s_branch .LBB83_20
.LBB83_29:                              ;   in Loop: Header=BB83_3 Depth=1
	v_sub_co_u32_e32 v14, vcc, v8, v16
	v_subb_co_u32_e32 v15, vcc, v9, v17, vcc
	v_add_co_u32_e32 v0, vcc, 1, v14
	v_addc_co_u32_e32 v1, vcc, 0, v15, vcc
	v_cmp_le_i64_e32 vcc, s[8:9], v[0:1]
	v_mov_b32_e32 v2, 0
	v_mov_b32_e32 v0, 0
	;; [unrolled: 1-line block ×4, first 2 shown]
	s_and_saveexec_b64 s[0:1], vcc
	s_cbranch_execz .LBB83_33
; %bb.30:                               ;   in Loop: Header=BB83_3 Depth=1
	v_cmp_gt_i64_e32 vcc, s[14:15], v[8:9]
	v_mov_b32_e32 v0, 0
	v_mov_b32_e32 v2, 0
	;; [unrolled: 1-line block ×4, first 2 shown]
	s_and_saveexec_b64 s[42:43], vcc
	s_cbranch_execz .LBB83_32
; %bb.31:                               ;   in Loop: Header=BB83_3 Depth=1
	v_lshlrev_b64 v[0:1], 4, v[12:13]
	v_mov_b32_e32 v2, s3
	v_add_co_u32_e32 v0, vcc, s2, v0
	v_addc_co_u32_e32 v1, vcc, v2, v1, vcc
	global_load_dwordx4 v[0:3], v[0:1], off
.LBB83_32:                              ;   in Loop: Header=BB83_3 Depth=1
	s_or_b64 exec, exec, s[42:43]
	v_cmp_gt_i64_e32 vcc, s[8:9], v[14:15]
	s_waitcnt vmcnt(0)
	v_cndmask_b32_e64 v1, v1, 0, vcc
	v_cndmask_b32_e64 v0, v0, 0, vcc
	;; [unrolled: 1-line block ×4, first 2 shown]
.LBB83_33:                              ;   in Loop: Header=BB83_3 Depth=1
	s_or_b64 exec, exec, s[0:1]
	v_cmp_gt_i64_e32 vcc, s[14:15], v[8:9]
	s_and_saveexec_b64 s[0:1], vcc
	s_cbranch_execz .LBB83_2
; %bb.34:                               ;   in Loop: Header=BB83_3 Depth=1
	v_lshlrev_b64 v[8:9], 4, v[10:11]
	v_mov_b32_e32 v5, s29
	v_add_co_u32_e32 v8, vcc, s28, v8
	v_addc_co_u32_e32 v9, vcc, v5, v9, vcc
	global_store_dwordx4 v[8:9], v[0:3], off
	s_branch .LBB83_2
.LBB83_35:
	s_endpgm
	.section	.rodata,"a",@progbits
	.p2align	6, 0x0
	.amdhsa_kernel _ZN2at6native16triu_tril_kernelIN3c107complexIdEElLb1ELi1ELb0EEEvNS_4cuda6detail10TensorInfoIT_T0_EENS7_IKS8_S9_EEllS9_
		.amdhsa_group_segment_fixed_size 0
		.amdhsa_private_segment_fixed_size 0
		.amdhsa_kernarg_size 1112
		.amdhsa_user_sgpr_count 6
		.amdhsa_user_sgpr_private_segment_buffer 1
		.amdhsa_user_sgpr_dispatch_ptr 0
		.amdhsa_user_sgpr_queue_ptr 0
		.amdhsa_user_sgpr_kernarg_segment_ptr 1
		.amdhsa_user_sgpr_dispatch_id 0
		.amdhsa_user_sgpr_flat_scratch_init 0
		.amdhsa_user_sgpr_private_segment_size 0
		.amdhsa_uses_dynamic_stack 0
		.amdhsa_system_sgpr_private_segment_wavefront_offset 0
		.amdhsa_system_sgpr_workgroup_id_x 1
		.amdhsa_system_sgpr_workgroup_id_y 0
		.amdhsa_system_sgpr_workgroup_id_z 0
		.amdhsa_system_sgpr_workgroup_info 0
		.amdhsa_system_vgpr_workitem_id 0
		.amdhsa_next_free_vgpr 26
		.amdhsa_next_free_sgpr 73
		.amdhsa_reserve_vcc 1
		.amdhsa_reserve_flat_scratch 0
		.amdhsa_float_round_mode_32 0
		.amdhsa_float_round_mode_16_64 0
		.amdhsa_float_denorm_mode_32 3
		.amdhsa_float_denorm_mode_16_64 3
		.amdhsa_dx10_clamp 1
		.amdhsa_ieee_mode 1
		.amdhsa_fp16_overflow 0
		.amdhsa_exception_fp_ieee_invalid_op 0
		.amdhsa_exception_fp_denorm_src 0
		.amdhsa_exception_fp_ieee_div_zero 0
		.amdhsa_exception_fp_ieee_overflow 0
		.amdhsa_exception_fp_ieee_underflow 0
		.amdhsa_exception_fp_ieee_inexact 0
		.amdhsa_exception_int_div_zero 0
	.end_amdhsa_kernel
	.section	.text._ZN2at6native16triu_tril_kernelIN3c107complexIdEElLb1ELi1ELb0EEEvNS_4cuda6detail10TensorInfoIT_T0_EENS7_IKS8_S9_EEllS9_,"axG",@progbits,_ZN2at6native16triu_tril_kernelIN3c107complexIdEElLb1ELi1ELb0EEEvNS_4cuda6detail10TensorInfoIT_T0_EENS7_IKS8_S9_EEllS9_,comdat
.Lfunc_end83:
	.size	_ZN2at6native16triu_tril_kernelIN3c107complexIdEElLb1ELi1ELb0EEEvNS_4cuda6detail10TensorInfoIT_T0_EENS7_IKS8_S9_EEllS9_, .Lfunc_end83-_ZN2at6native16triu_tril_kernelIN3c107complexIdEElLb1ELi1ELb0EEEvNS_4cuda6detail10TensorInfoIT_T0_EENS7_IKS8_S9_EEllS9_
                                        ; -- End function
	.set _ZN2at6native16triu_tril_kernelIN3c107complexIdEElLb1ELi1ELb0EEEvNS_4cuda6detail10TensorInfoIT_T0_EENS7_IKS8_S9_EEllS9_.num_vgpr, 26
	.set _ZN2at6native16triu_tril_kernelIN3c107complexIdEElLb1ELi1ELb0EEEvNS_4cuda6detail10TensorInfoIT_T0_EENS7_IKS8_S9_EEllS9_.num_agpr, 0
	.set _ZN2at6native16triu_tril_kernelIN3c107complexIdEElLb1ELi1ELb0EEEvNS_4cuda6detail10TensorInfoIT_T0_EENS7_IKS8_S9_EEllS9_.numbered_sgpr, 73
	.set _ZN2at6native16triu_tril_kernelIN3c107complexIdEElLb1ELi1ELb0EEEvNS_4cuda6detail10TensorInfoIT_T0_EENS7_IKS8_S9_EEllS9_.num_named_barrier, 0
	.set _ZN2at6native16triu_tril_kernelIN3c107complexIdEElLb1ELi1ELb0EEEvNS_4cuda6detail10TensorInfoIT_T0_EENS7_IKS8_S9_EEllS9_.private_seg_size, 0
	.set _ZN2at6native16triu_tril_kernelIN3c107complexIdEElLb1ELi1ELb0EEEvNS_4cuda6detail10TensorInfoIT_T0_EENS7_IKS8_S9_EEllS9_.uses_vcc, 1
	.set _ZN2at6native16triu_tril_kernelIN3c107complexIdEElLb1ELi1ELb0EEEvNS_4cuda6detail10TensorInfoIT_T0_EENS7_IKS8_S9_EEllS9_.uses_flat_scratch, 0
	.set _ZN2at6native16triu_tril_kernelIN3c107complexIdEElLb1ELi1ELb0EEEvNS_4cuda6detail10TensorInfoIT_T0_EENS7_IKS8_S9_EEllS9_.has_dyn_sized_stack, 0
	.set _ZN2at6native16triu_tril_kernelIN3c107complexIdEElLb1ELi1ELb0EEEvNS_4cuda6detail10TensorInfoIT_T0_EENS7_IKS8_S9_EEllS9_.has_recursion, 0
	.set _ZN2at6native16triu_tril_kernelIN3c107complexIdEElLb1ELi1ELb0EEEvNS_4cuda6detail10TensorInfoIT_T0_EENS7_IKS8_S9_EEllS9_.has_indirect_call, 0
	.section	.AMDGPU.csdata,"",@progbits
; Kernel info:
; codeLenInByte = 4916
; TotalNumSgprs: 77
; NumVgprs: 26
; ScratchSize: 0
; MemoryBound: 1
; FloatMode: 240
; IeeeMode: 1
; LDSByteSize: 0 bytes/workgroup (compile time only)
; SGPRBlocks: 9
; VGPRBlocks: 6
; NumSGPRsForWavesPerEU: 77
; NumVGPRsForWavesPerEU: 26
; Occupancy: 9
; WaveLimiterHint : 0
; COMPUTE_PGM_RSRC2:SCRATCH_EN: 0
; COMPUTE_PGM_RSRC2:USER_SGPR: 6
; COMPUTE_PGM_RSRC2:TRAP_HANDLER: 0
; COMPUTE_PGM_RSRC2:TGID_X_EN: 1
; COMPUTE_PGM_RSRC2:TGID_Y_EN: 0
; COMPUTE_PGM_RSRC2:TGID_Z_EN: 0
; COMPUTE_PGM_RSRC2:TIDIG_COMP_CNT: 0
	.section	.text._ZN2at6native16triu_tril_kernelIN3c107complexIfEEiLb1ELi2ELb1EEEvNS_4cuda6detail10TensorInfoIT_T0_EENS7_IKS8_S9_EEllS9_,"axG",@progbits,_ZN2at6native16triu_tril_kernelIN3c107complexIfEEiLb1ELi2ELb1EEEvNS_4cuda6detail10TensorInfoIT_T0_EENS7_IKS8_S9_EEllS9_,comdat
	.protected	_ZN2at6native16triu_tril_kernelIN3c107complexIfEEiLb1ELi2ELb1EEEvNS_4cuda6detail10TensorInfoIT_T0_EENS7_IKS8_S9_EEllS9_ ; -- Begin function _ZN2at6native16triu_tril_kernelIN3c107complexIfEEiLb1ELi2ELb1EEEvNS_4cuda6detail10TensorInfoIT_T0_EENS7_IKS8_S9_EEllS9_
	.globl	_ZN2at6native16triu_tril_kernelIN3c107complexIfEEiLb1ELi2ELb1EEEvNS_4cuda6detail10TensorInfoIT_T0_EENS7_IKS8_S9_EEllS9_
	.p2align	8
	.type	_ZN2at6native16triu_tril_kernelIN3c107complexIfEEiLb1ELi2ELb1EEEvNS_4cuda6detail10TensorInfoIT_T0_EENS7_IKS8_S9_EEllS9_,@function
_ZN2at6native16triu_tril_kernelIN3c107complexIfEEiLb1ELi2ELb1EEEvNS_4cuda6detail10TensorInfoIT_T0_EENS7_IKS8_S9_EEllS9_: ; @_ZN2at6native16triu_tril_kernelIN3c107complexIfEEiLb1ELi2ELb1EEEvNS_4cuda6detail10TensorInfoIT_T0_EENS7_IKS8_S9_EEllS9_
; %bb.0:
	s_load_dword s2, s[4:5], 0x1d4
	s_load_dwordx4 s[8:11], s[4:5], 0x1b0
	s_add_u32 s0, s4, 0x1c8
	v_mov_b32_e32 v2, 0
	s_addc_u32 s1, s5, 0
	s_waitcnt lgkmcnt(0)
	s_and_b32 s7, s2, 0xffff
	v_mov_b32_e32 v1, v2
	v_mov_b32_e32 v3, s6
	v_mad_u64_u32 v[0:1], s[2:3], s7, v3, v[0:1]
	v_lshlrev_b64 v[0:1], 1, v[0:1]
	v_cmp_gt_i64_e32 vcc, s[10:11], v[0:1]
	s_and_saveexec_b64 s[2:3], vcc
	s_cbranch_execz .LBB84_61
; %bb.1:
	s_load_dword s33, s[4:5], 0x1c0
	s_load_dword s16, s[4:5], 0x1a8
	s_add_u32 s42, s4, 0xd8
	s_addc_u32 s43, s5, 0
	s_load_dword s6, s[0:1], 0x0
	s_waitcnt lgkmcnt(0)
	s_ashr_i32 s44, s33, 31
	s_ashr_i32 s17, s16, 31
	s_lshl_b64 s[0:1], s[16:17], 2
	s_add_u32 s2, s42, s0
	s_addc_u32 s3, s43, s1
	s_load_dword s45, s[2:3], 0x0
	s_load_dwordx2 s[12:13], s[4:5], 0x0
	s_mul_i32 s18, s6, s7
	v_cmp_gt_i64_e64 s[6:7], s[16:17], 2
	s_mov_b32 s17, 0
	s_waitcnt lgkmcnt(0)
	s_ashr_i32 s46, s45, 31
	s_add_u32 s14, s4, s0
	s_addc_u32 s15, s5, s1
	s_add_i32 s0, s16, 6
	s_add_i32 s47, s16, -3
	s_lshl_b32 s48, s18, 1
	s_and_b32 s49, s0, 7
	s_and_b32 s0, s16, 7
	s_cmp_lg_u32 s0, 2
	s_cselect_b64 s[18:19], -1, 0
	s_cmp_gt_u32 s47, 6
	s_cselect_b64 s[20:21], -1, 0
	s_mov_b64 s[22:23], 0
	s_ashr_i32 s24, s44, 31
	s_branch .LBB84_3
.LBB84_2:                               ;   in Loop: Header=BB84_3 Depth=1
	s_or_b64 exec, exec, s[26:27]
	v_add_co_u32_e32 v0, vcc, s48, v0
	v_addc_co_u32_e32 v1, vcc, 0, v1, vcc
	v_cmp_le_i64_e32 vcc, s[10:11], v[0:1]
	s_or_b64 s[22:23], vcc, s[22:23]
	s_andn2_b64 exec, exec, s[22:23]
	s_cbranch_execz .LBB84_61
.LBB84_3:                               ; =>This Loop Header: Depth=1
                                        ;     Child Loop BB84_14 Depth 2
                                        ;     Child Loop BB84_23 Depth 2
	v_or_b32_e32 v3, s44, v1
	v_cmp_ne_u64_e32 vcc, 0, v[2:3]
                                        ; implicit-def: $vgpr4_vgpr5
	s_and_saveexec_b64 s[0:1], vcc
	s_xor_b64 s[26:27], exec, s[0:1]
	s_cbranch_execz .LBB84_5
; %bb.4:                                ;   in Loop: Header=BB84_3 Depth=1
	s_add_u32 s0, s33, s24
	s_mov_b32 s25, s24
	s_addc_u32 s1, s44, s24
	s_xor_b64 s[28:29], s[0:1], s[24:25]
	v_cvt_f32_u32_e32 v3, s28
	v_cvt_f32_u32_e32 v4, s29
	s_sub_u32 s16, 0, s28
	s_subb_u32 s25, 0, s29
	v_ashrrev_i32_e32 v7, 31, v1
	v_mac_f32_e32 v3, 0x4f800000, v4
	v_rcp_f32_e32 v3, v3
	v_mul_f32_e32 v3, 0x5f7ffffc, v3
	v_mul_f32_e32 v4, 0x2f800000, v3
	v_trunc_f32_e32 v4, v4
	v_mac_f32_e32 v3, 0xcf800000, v4
	v_cvt_u32_f32_e32 v4, v4
	v_cvt_u32_f32_e32 v3, v3
	v_readfirstlane_b32 s30, v4
	v_readfirstlane_b32 s0, v3
	s_mul_i32 s1, s16, s30
	s_mul_hi_u32 s34, s16, s0
	s_mul_i32 s31, s25, s0
	s_add_i32 s1, s34, s1
	s_add_i32 s1, s1, s31
	s_mul_i32 s35, s16, s0
	s_mul_i32 s34, s0, s1
	s_mul_hi_u32 s36, s0, s35
	s_mul_hi_u32 s31, s0, s1
	s_add_u32 s34, s36, s34
	s_addc_u32 s31, 0, s31
	s_mul_hi_u32 s37, s30, s35
	s_mul_i32 s35, s30, s35
	s_add_u32 s34, s34, s35
	s_mul_hi_u32 s36, s30, s1
	s_addc_u32 s31, s31, s37
	s_addc_u32 s34, s36, 0
	s_mul_i32 s1, s30, s1
	s_add_u32 s1, s31, s1
	s_addc_u32 s31, 0, s34
	s_add_u32 s34, s0, s1
	s_cselect_b64 s[0:1], -1, 0
	s_cmp_lg_u64 s[0:1], 0
	s_addc_u32 s30, s30, s31
	s_mul_i32 s0, s16, s30
	s_mul_hi_u32 s1, s16, s34
	s_add_i32 s0, s1, s0
	s_mul_i32 s25, s25, s34
	s_add_i32 s0, s0, s25
	s_mul_i32 s16, s16, s34
	s_mul_hi_u32 s25, s30, s16
	s_mul_i32 s31, s30, s16
	s_mul_i32 s36, s34, s0
	s_mul_hi_u32 s16, s34, s16
	s_mul_hi_u32 s35, s34, s0
	s_add_u32 s16, s16, s36
	s_addc_u32 s35, 0, s35
	s_add_u32 s16, s16, s31
	s_mul_hi_u32 s1, s30, s0
	s_addc_u32 s16, s35, s25
	s_addc_u32 s1, s1, 0
	s_mul_i32 s0, s30, s0
	s_add_u32 s0, s16, s0
	s_addc_u32 s16, 0, s1
	s_add_u32 s25, s34, s0
	s_cselect_b64 s[0:1], -1, 0
	s_cmp_lg_u64 s[0:1], 0
	v_add_co_u32_e32 v3, vcc, v0, v7
	s_addc_u32 s16, s30, s16
	v_xor_b32_e32 v8, v3, v7
	v_mad_u64_u32 v[3:4], s[0:1], v8, s16, 0
	v_mul_hi_u32 v6, v8, s25
	v_addc_co_u32_e32 v5, vcc, v1, v7, vcc
	v_xor_b32_e32 v9, v5, v7
	v_add_co_u32_e32 v10, vcc, v6, v3
	v_addc_co_u32_e32 v11, vcc, 0, v4, vcc
	v_mad_u64_u32 v[3:4], s[0:1], v9, s25, 0
	v_mad_u64_u32 v[5:6], s[0:1], v9, s16, 0
	v_add_co_u32_e32 v3, vcc, v10, v3
	v_addc_co_u32_e32 v3, vcc, v11, v4, vcc
	v_addc_co_u32_e32 v4, vcc, 0, v6, vcc
	v_add_co_u32_e32 v5, vcc, v3, v5
	v_addc_co_u32_e32 v6, vcc, 0, v4, vcc
	v_mul_lo_u32 v10, s29, v5
	v_mul_lo_u32 v11, s28, v6
	v_mad_u64_u32 v[3:4], s[0:1], s28, v5, 0
	v_add3_u32 v4, v4, v11, v10
	v_sub_u32_e32 v10, v9, v4
	v_mov_b32_e32 v11, s29
	v_sub_co_u32_e32 v3, vcc, v8, v3
	v_subb_co_u32_e64 v8, s[0:1], v10, v11, vcc
	v_subrev_co_u32_e64 v10, s[0:1], s28, v3
	v_subbrev_co_u32_e64 v8, s[0:1], 0, v8, s[0:1]
	v_cmp_le_u32_e64 s[0:1], s29, v8
	v_cndmask_b32_e64 v11, 0, -1, s[0:1]
	v_cmp_le_u32_e64 s[0:1], s28, v10
	v_cndmask_b32_e64 v10, 0, -1, s[0:1]
	v_cmp_eq_u32_e64 s[0:1], s29, v8
	v_cndmask_b32_e64 v8, v11, v10, s[0:1]
	v_add_co_u32_e64 v10, s[0:1], 2, v5
	v_subb_co_u32_e32 v4, vcc, v9, v4, vcc
	v_addc_co_u32_e64 v11, s[0:1], 0, v6, s[0:1]
	v_cmp_le_u32_e32 vcc, s29, v4
	v_add_co_u32_e64 v12, s[0:1], 1, v5
	v_cndmask_b32_e64 v9, 0, -1, vcc
	v_cmp_le_u32_e32 vcc, s28, v3
	v_addc_co_u32_e64 v13, s[0:1], 0, v6, s[0:1]
	v_cndmask_b32_e64 v3, 0, -1, vcc
	v_cmp_eq_u32_e32 vcc, s29, v4
	v_cmp_ne_u32_e64 s[0:1], 0, v8
	v_cndmask_b32_e32 v3, v9, v3, vcc
	v_cmp_ne_u32_e32 vcc, 0, v3
	v_cndmask_b32_e64 v4, v12, v10, s[0:1]
	v_cndmask_b32_e64 v8, v13, v11, s[0:1]
	v_cndmask_b32_e32 v4, v5, v4, vcc
	v_xor_b32_e32 v5, s24, v7
	v_cndmask_b32_e32 v3, v6, v8, vcc
	v_xor_b32_e32 v4, v4, v5
	v_xor_b32_e32 v3, v3, v5
	v_sub_co_u32_e32 v4, vcc, v4, v5
	v_subb_co_u32_e32 v5, vcc, v3, v5, vcc
.LBB84_5:                               ;   in Loop: Header=BB84_3 Depth=1
	s_andn2_saveexec_b64 s[0:1], s[26:27]
	s_cbranch_execz .LBB84_7
; %bb.6:                                ;   in Loop: Header=BB84_3 Depth=1
	v_cvt_f32_u32_e32 v3, s33
	s_sub_i32 s16, 0, s33
	v_rcp_iflag_f32_e32 v3, v3
	v_mul_f32_e32 v3, 0x4f7ffffe, v3
	v_cvt_u32_f32_e32 v3, v3
	v_mul_lo_u32 v4, s16, v3
	v_mul_hi_u32 v4, v3, v4
	v_add_u32_e32 v3, v3, v4
	v_mul_hi_u32 v3, v0, v3
	v_mul_lo_u32 v4, v3, s33
	v_add_u32_e32 v5, 1, v3
	v_sub_u32_e32 v4, v0, v4
	v_subrev_u32_e32 v6, s33, v4
	v_cmp_le_u32_e32 vcc, s33, v4
	v_cndmask_b32_e32 v4, v4, v6, vcc
	v_cndmask_b32_e32 v3, v3, v5, vcc
	v_add_u32_e32 v5, 1, v3
	v_cmp_le_u32_e32 vcc, s33, v4
	v_cndmask_b32_e32 v4, v3, v5, vcc
	v_mov_b32_e32 v5, v2
.LBB84_7:                               ;   in Loop: Header=BB84_3 Depth=1
	s_or_b64 exec, exec, s[0:1]
	v_or_b32_e32 v3, s46, v5
	v_cmp_ne_u64_e32 vcc, 0, v[2:3]
                                        ; implicit-def: $vgpr6_vgpr7
	s_and_saveexec_b64 s[0:1], vcc
	s_xor_b64 s[26:27], exec, s[0:1]
	s_cbranch_execz .LBB84_9
; %bb.8:                                ;   in Loop: Header=BB84_3 Depth=1
	s_ashr_i32 s28, s46, 31
	s_add_u32 s0, s45, s28
	s_mov_b32 s29, s28
	s_addc_u32 s1, s46, s28
	s_xor_b64 s[30:31], s[0:1], s[28:29]
	v_cvt_f32_u32_e32 v3, s30
	v_cvt_f32_u32_e32 v6, s31
	s_sub_u32 s16, 0, s30
	s_subb_u32 s25, 0, s31
	v_mac_f32_e32 v3, 0x4f800000, v6
	v_rcp_f32_e32 v3, v3
	v_mul_f32_e32 v3, 0x5f7ffffc, v3
	v_mul_f32_e32 v6, 0x2f800000, v3
	v_trunc_f32_e32 v6, v6
	v_mac_f32_e32 v3, 0xcf800000, v6
	v_cvt_u32_f32_e32 v6, v6
	v_cvt_u32_f32_e32 v3, v3
	v_readfirstlane_b32 s29, v6
	v_readfirstlane_b32 s0, v3
	s_mul_i32 s1, s16, s29
	s_mul_hi_u32 s35, s16, s0
	s_mul_i32 s34, s25, s0
	s_add_i32 s1, s35, s1
	s_add_i32 s1, s1, s34
	s_mul_i32 s36, s16, s0
	s_mul_i32 s35, s0, s1
	s_mul_hi_u32 s37, s0, s36
	s_mul_hi_u32 s34, s0, s1
	s_add_u32 s35, s37, s35
	s_addc_u32 s34, 0, s34
	s_mul_hi_u32 s38, s29, s36
	s_mul_i32 s36, s29, s36
	s_add_u32 s35, s35, s36
	s_mul_hi_u32 s37, s29, s1
	s_addc_u32 s34, s34, s38
	s_addc_u32 s35, s37, 0
	s_mul_i32 s1, s29, s1
	s_add_u32 s1, s34, s1
	s_addc_u32 s34, 0, s35
	s_add_u32 s35, s0, s1
	s_cselect_b64 s[0:1], -1, 0
	s_cmp_lg_u64 s[0:1], 0
	s_addc_u32 s29, s29, s34
	s_mul_i32 s0, s16, s29
	s_mul_hi_u32 s1, s16, s35
	s_add_i32 s0, s1, s0
	s_mul_i32 s25, s25, s35
	s_add_i32 s0, s0, s25
	s_mul_i32 s16, s16, s35
	s_mul_hi_u32 s25, s29, s16
	s_mul_i32 s34, s29, s16
	s_mul_i32 s37, s35, s0
	s_mul_hi_u32 s16, s35, s16
	s_mul_hi_u32 s36, s35, s0
	s_add_u32 s16, s16, s37
	s_addc_u32 s36, 0, s36
	s_add_u32 s16, s16, s34
	s_mul_hi_u32 s1, s29, s0
	s_addc_u32 s16, s36, s25
	s_addc_u32 s1, s1, 0
	s_mul_i32 s0, s29, s0
	s_add_u32 s0, s16, s0
	s_addc_u32 s16, 0, s1
	s_add_u32 s25, s35, s0
	s_cselect_b64 s[0:1], -1, 0
	v_ashrrev_i32_e32 v3, 31, v5
	s_cmp_lg_u64 s[0:1], 0
	v_add_co_u32_e32 v6, vcc, v4, v3
	s_addc_u32 s16, s29, s16
	v_xor_b32_e32 v9, v6, v3
	v_addc_co_u32_e32 v7, vcc, v5, v3, vcc
	v_mad_u64_u32 v[5:6], s[0:1], v9, s16, 0
	v_mul_hi_u32 v8, v9, s25
	v_xor_b32_e32 v10, v7, v3
	v_xor_b32_e32 v3, s28, v3
	v_add_co_u32_e32 v11, vcc, v8, v5
	v_addc_co_u32_e32 v12, vcc, 0, v6, vcc
	v_mad_u64_u32 v[5:6], s[0:1], v10, s25, 0
	v_mad_u64_u32 v[7:8], s[0:1], v10, s16, 0
	v_add_co_u32_e32 v5, vcc, v11, v5
	v_addc_co_u32_e32 v5, vcc, v12, v6, vcc
	v_addc_co_u32_e32 v6, vcc, 0, v8, vcc
	v_add_co_u32_e32 v7, vcc, v5, v7
	v_addc_co_u32_e32 v8, vcc, 0, v6, vcc
	v_mul_lo_u32 v11, s31, v7
	v_mul_lo_u32 v12, s30, v8
	v_mad_u64_u32 v[5:6], s[0:1], s30, v7, 0
	v_add3_u32 v6, v6, v12, v11
	v_sub_u32_e32 v11, v10, v6
	v_mov_b32_e32 v12, s31
	v_sub_co_u32_e32 v5, vcc, v9, v5
	v_subb_co_u32_e64 v9, s[0:1], v11, v12, vcc
	v_subrev_co_u32_e64 v11, s[0:1], s30, v5
	v_subbrev_co_u32_e64 v9, s[0:1], 0, v9, s[0:1]
	v_cmp_le_u32_e64 s[0:1], s31, v9
	v_cndmask_b32_e64 v12, 0, -1, s[0:1]
	v_cmp_le_u32_e64 s[0:1], s30, v11
	v_cndmask_b32_e64 v11, 0, -1, s[0:1]
	v_cmp_eq_u32_e64 s[0:1], s31, v9
	v_cndmask_b32_e64 v9, v12, v11, s[0:1]
	v_add_co_u32_e64 v11, s[0:1], 2, v7
	v_subb_co_u32_e32 v6, vcc, v10, v6, vcc
	v_addc_co_u32_e64 v12, s[0:1], 0, v8, s[0:1]
	v_cmp_le_u32_e32 vcc, s31, v6
	v_add_co_u32_e64 v13, s[0:1], 1, v7
	v_cndmask_b32_e64 v10, 0, -1, vcc
	v_cmp_le_u32_e32 vcc, s30, v5
	v_addc_co_u32_e64 v14, s[0:1], 0, v8, s[0:1]
	v_cndmask_b32_e64 v5, 0, -1, vcc
	v_cmp_eq_u32_e32 vcc, s31, v6
	v_cmp_ne_u32_e64 s[0:1], 0, v9
	v_cndmask_b32_e32 v5, v10, v5, vcc
	v_cmp_ne_u32_e32 vcc, 0, v5
	v_cndmask_b32_e64 v6, v13, v11, s[0:1]
	v_cndmask_b32_e64 v9, v14, v12, s[0:1]
	v_cndmask_b32_e32 v6, v7, v6, vcc
	v_cndmask_b32_e32 v5, v8, v9, vcc
	v_xor_b32_e32 v6, v6, v3
	v_xor_b32_e32 v5, v5, v3
	v_sub_co_u32_e32 v6, vcc, v6, v3
	v_subb_co_u32_e32 v7, vcc, v5, v3, vcc
.LBB84_9:                               ;   in Loop: Header=BB84_3 Depth=1
	s_andn2_saveexec_b64 s[0:1], s[26:27]
	s_cbranch_execz .LBB84_11
; %bb.10:                               ;   in Loop: Header=BB84_3 Depth=1
	v_cvt_f32_u32_e32 v3, s45
	s_sub_i32 s16, 0, s45
	v_rcp_iflag_f32_e32 v3, v3
	v_mul_f32_e32 v3, 0x4f7ffffe, v3
	v_cvt_u32_f32_e32 v3, v3
	v_mul_lo_u32 v5, s16, v3
	v_mul_hi_u32 v5, v3, v5
	v_add_u32_e32 v3, v3, v5
	v_mul_hi_u32 v3, v4, v3
	v_mul_lo_u32 v5, v3, s45
	v_add_u32_e32 v6, 1, v3
	v_sub_u32_e32 v5, v4, v5
	v_subrev_u32_e32 v7, s45, v5
	v_cmp_le_u32_e32 vcc, s45, v5
	v_cndmask_b32_e32 v5, v5, v7, vcc
	v_cndmask_b32_e32 v3, v3, v6, vcc
	v_add_u32_e32 v6, 1, v3
	v_cmp_le_u32_e32 vcc, s45, v5
	v_cndmask_b32_e32 v6, v3, v6, vcc
	v_mov_b32_e32 v7, v2
.LBB84_11:                              ;   in Loop: Header=BB84_3 Depth=1
	s_or_b64 exec, exec, s[0:1]
	v_mad_u64_u32 v[8:9], s[0:1], v4, s33, 0
	v_mad_u64_u32 v[9:10], s[0:1], v6, s45, 0
	v_sub_co_u32_e32 v25, vcc, v0, v8
	v_sub_co_u32_e32 v24, vcc, v4, v9
	v_sub_u32_e32 v3, v25, v24
	v_ashrrev_i32_e32 v4, 31, v3
	v_cmp_gt_i64_e32 vcc, s[8:9], v[3:4]
	s_and_saveexec_b64 s[26:27], vcc
	s_cbranch_execz .LBB84_2
; %bb.12:                               ;   in Loop: Header=BB84_3 Depth=1
	s_load_dwordx2 s[28:29], s[14:15], 0x64
	s_andn2_b64 vcc, exec, s[6:7]
	s_waitcnt lgkmcnt(0)
	v_mul_lo_u32 v3, s29, v25
	v_mad_u64_u32 v[4:5], s[0:1], s28, v24, v[3:4]
	s_cbranch_vccnz .LBB84_57
; %bb.13:                               ;   in Loop: Header=BB84_3 Depth=1
	s_andn2_b64 vcc, exec, s[18:19]
	s_mov_b32 s25, s49
	s_mov_b32 s16, s47
	;; [unrolled: 1-line block ×3, first 2 shown]
	s_cbranch_vccnz .LBB84_21
.LBB84_14:                              ;   Parent Loop BB84_3 Depth=1
                                        ; =>  This Inner Loop Header: Depth=2
	s_lshl_b64 s[30:31], s[16:17], 2
	s_add_u32 s0, s42, s30
	s_addc_u32 s1, s43, s31
	s_load_dword s28, s[0:1], 0x8
                                        ; implicit-def: $vgpr8_vgpr9
	s_waitcnt lgkmcnt(0)
	s_ashr_i32 s0, s28, 31
	v_or_b32_e32 v3, s0, v7
	v_cmp_ne_u64_e32 vcc, 0, v[2:3]
	s_and_saveexec_b64 s[34:35], vcc
	s_xor_b64 s[34:35], exec, s[34:35]
	s_cbranch_execz .LBB84_16
; %bb.15:                               ;   in Loop: Header=BB84_14 Depth=2
	s_ashr_i32 s36, s0, 31
	s_add_u32 s38, s28, s36
	s_mov_b32 s37, s36
	s_addc_u32 s39, s0, s36
	s_xor_b64 s[38:39], s[38:39], s[36:37]
	v_cvt_f32_u32_e32 v3, s38
	v_cvt_f32_u32_e32 v5, s39
	s_sub_u32 s37, 0, s38
	s_subb_u32 s40, 0, s39
	v_mac_f32_e32 v3, 0x4f800000, v5
	v_rcp_f32_e32 v3, v3
	v_mul_f32_e32 v3, 0x5f7ffffc, v3
	v_mul_f32_e32 v5, 0x2f800000, v3
	v_trunc_f32_e32 v5, v5
	v_mac_f32_e32 v3, 0xcf800000, v5
	v_cvt_u32_f32_e32 v5, v5
	v_cvt_u32_f32_e32 v3, v3
	v_readfirstlane_b32 s41, v5
	v_readfirstlane_b32 s0, v3
	s_mul_i32 s1, s37, s41
	s_mul_hi_u32 s51, s37, s0
	s_mul_i32 s50, s40, s0
	s_add_i32 s1, s51, s1
	s_add_i32 s1, s1, s50
	s_mul_i32 s52, s37, s0
	s_mul_i32 s51, s0, s1
	s_mul_hi_u32 s53, s0, s52
	s_mul_hi_u32 s50, s0, s1
	s_add_u32 s51, s53, s51
	s_addc_u32 s50, 0, s50
	s_mul_hi_u32 s54, s41, s52
	s_mul_i32 s52, s41, s52
	s_add_u32 s51, s51, s52
	s_mul_hi_u32 s53, s41, s1
	s_addc_u32 s50, s50, s54
	s_addc_u32 s51, s53, 0
	s_mul_i32 s1, s41, s1
	s_add_u32 s1, s50, s1
	s_addc_u32 s50, 0, s51
	s_add_u32 s51, s0, s1
	s_cselect_b64 s[0:1], -1, 0
	s_cmp_lg_u64 s[0:1], 0
	s_addc_u32 s41, s41, s50
	s_mul_i32 s0, s37, s41
	s_mul_hi_u32 s1, s37, s51
	s_add_i32 s0, s1, s0
	s_mul_i32 s40, s40, s51
	s_add_i32 s0, s0, s40
	s_mul_i32 s37, s37, s51
	s_mul_hi_u32 s40, s41, s37
	s_mul_i32 s50, s41, s37
	s_mul_i32 s53, s51, s0
	s_mul_hi_u32 s37, s51, s37
	s_mul_hi_u32 s52, s51, s0
	s_add_u32 s37, s37, s53
	s_addc_u32 s52, 0, s52
	s_add_u32 s37, s37, s50
	s_mul_hi_u32 s1, s41, s0
	s_addc_u32 s37, s52, s40
	s_addc_u32 s1, s1, 0
	s_mul_i32 s0, s41, s0
	s_add_u32 s0, s37, s0
	s_addc_u32 s37, 0, s1
	s_add_u32 s40, s51, s0
	s_cselect_b64 s[0:1], -1, 0
	v_ashrrev_i32_e32 v3, 31, v7
	s_cmp_lg_u64 s[0:1], 0
	v_add_co_u32_e32 v5, vcc, v6, v3
	s_addc_u32 s37, s41, s37
	v_xor_b32_e32 v5, v5, v3
	v_addc_co_u32_e32 v9, vcc, v7, v3, vcc
	v_mad_u64_u32 v[7:8], s[0:1], v5, s37, 0
	v_mul_hi_u32 v10, v5, s40
	v_xor_b32_e32 v11, v9, v3
	v_xor_b32_e32 v3, s36, v3
	v_add_co_u32_e32 v12, vcc, v10, v7
	v_addc_co_u32_e32 v13, vcc, 0, v8, vcc
	v_mad_u64_u32 v[7:8], s[0:1], v11, s40, 0
	v_mad_u64_u32 v[9:10], s[0:1], v11, s37, 0
	v_add_co_u32_e32 v7, vcc, v12, v7
	v_addc_co_u32_e32 v7, vcc, v13, v8, vcc
	v_addc_co_u32_e32 v8, vcc, 0, v10, vcc
	v_add_co_u32_e32 v9, vcc, v7, v9
	v_addc_co_u32_e32 v10, vcc, 0, v8, vcc
	v_mul_lo_u32 v12, s39, v9
	v_mul_lo_u32 v13, s38, v10
	v_mad_u64_u32 v[7:8], s[0:1], s38, v9, 0
	v_add3_u32 v8, v8, v13, v12
	v_sub_u32_e32 v12, v11, v8
	v_mov_b32_e32 v13, s39
	v_sub_co_u32_e32 v5, vcc, v5, v7
	v_subb_co_u32_e64 v7, s[0:1], v12, v13, vcc
	v_subrev_co_u32_e64 v12, s[0:1], s38, v5
	v_subbrev_co_u32_e64 v7, s[0:1], 0, v7, s[0:1]
	v_cmp_le_u32_e64 s[0:1], s39, v7
	v_cndmask_b32_e64 v13, 0, -1, s[0:1]
	v_cmp_le_u32_e64 s[0:1], s38, v12
	v_cndmask_b32_e64 v12, 0, -1, s[0:1]
	v_cmp_eq_u32_e64 s[0:1], s39, v7
	v_cndmask_b32_e64 v7, v13, v12, s[0:1]
	v_add_co_u32_e64 v12, s[0:1], 2, v9
	v_subb_co_u32_e32 v8, vcc, v11, v8, vcc
	v_addc_co_u32_e64 v13, s[0:1], 0, v10, s[0:1]
	v_cmp_le_u32_e32 vcc, s39, v8
	v_add_co_u32_e64 v14, s[0:1], 1, v9
	v_cndmask_b32_e64 v11, 0, -1, vcc
	v_cmp_le_u32_e32 vcc, s38, v5
	v_addc_co_u32_e64 v15, s[0:1], 0, v10, s[0:1]
	v_cndmask_b32_e64 v5, 0, -1, vcc
	v_cmp_eq_u32_e32 vcc, s39, v8
	v_cmp_ne_u32_e64 s[0:1], 0, v7
	v_cndmask_b32_e32 v5, v11, v5, vcc
	v_cndmask_b32_e64 v7, v15, v13, s[0:1]
	v_cmp_ne_u32_e32 vcc, 0, v5
	v_cndmask_b32_e32 v5, v10, v7, vcc
	v_cndmask_b32_e64 v7, v14, v12, s[0:1]
	v_cndmask_b32_e32 v7, v9, v7, vcc
	v_xor_b32_e32 v7, v7, v3
	v_xor_b32_e32 v5, v5, v3
	v_sub_co_u32_e32 v8, vcc, v7, v3
	v_subb_co_u32_e32 v9, vcc, v5, v3, vcc
.LBB84_16:                              ;   in Loop: Header=BB84_14 Depth=2
	s_andn2_saveexec_b64 s[0:1], s[34:35]
	s_cbranch_execz .LBB84_18
; %bb.17:                               ;   in Loop: Header=BB84_14 Depth=2
	v_cvt_f32_u32_e32 v3, s28
	s_sub_i32 s34, 0, s28
	v_mov_b32_e32 v9, v2
	v_rcp_iflag_f32_e32 v3, v3
	v_mul_f32_e32 v3, 0x4f7ffffe, v3
	v_cvt_u32_f32_e32 v3, v3
	v_mul_lo_u32 v5, s34, v3
	v_mul_hi_u32 v5, v3, v5
	v_add_u32_e32 v3, v3, v5
	v_mul_hi_u32 v3, v6, v3
	v_mul_lo_u32 v5, v3, s28
	v_add_u32_e32 v7, 1, v3
	v_sub_u32_e32 v5, v6, v5
	v_subrev_u32_e32 v8, s28, v5
	v_cmp_le_u32_e32 vcc, s28, v5
	v_cndmask_b32_e32 v5, v5, v8, vcc
	v_cndmask_b32_e32 v3, v3, v7, vcc
	v_add_u32_e32 v7, 1, v3
	v_cmp_le_u32_e32 vcc, s28, v5
	v_cndmask_b32_e32 v8, v3, v7, vcc
.LBB84_18:                              ;   in Loop: Header=BB84_14 Depth=2
	s_or_b64 exec, exec, s[0:1]
	s_add_u32 s0, s4, s30
	s_addc_u32 s1, s5, s31
	v_mul_lo_u32 v3, v8, s28
	s_load_dword s0, s[0:1], 0x6c
	s_add_i32 s16, s16, -1
	s_add_i32 s25, s25, -1
	v_sub_u32_e32 v3, v6, v3
	s_cmp_lg_u32 s25, 0
	s_waitcnt lgkmcnt(0)
	v_mad_u64_u32 v[4:5], s[0:1], s0, v3, v[4:5]
	s_cbranch_scc0 .LBB84_20
; %bb.19:                               ;   in Loop: Header=BB84_14 Depth=2
	v_mov_b32_e32 v6, v8
	v_mov_b32_e32 v7, v9
	s_branch .LBB84_14
.LBB84_20:                              ;   in Loop: Header=BB84_3 Depth=1
	v_mov_b32_e32 v6, v8
	s_mov_b32 s0, s16
	v_mov_b32_e32 v7, v9
.LBB84_21:                              ;   in Loop: Header=BB84_3 Depth=1
	s_andn2_b64 vcc, exec, s[20:21]
	s_cbranch_vccnz .LBB84_57
; %bb.22:                               ;   in Loop: Header=BB84_3 Depth=1
	s_add_i32 s30, s0, -7
.LBB84_23:                              ;   Parent Loop BB84_3 Depth=1
                                        ; =>  This Inner Loop Header: Depth=2
	s_add_i32 s16, s30, 7
	s_lshl_b64 s[34:35], s[16:17], 2
	s_add_u32 s0, s42, s34
	s_addc_u32 s1, s43, s35
	s_load_dword s25, s[0:1], 0x8
                                        ; implicit-def: $vgpr8_vgpr9
	s_waitcnt lgkmcnt(0)
	s_ashr_i32 s0, s25, 31
	v_or_b32_e32 v3, s0, v7
	v_cmp_ne_u64_e32 vcc, 0, v[2:3]
	s_and_saveexec_b64 s[36:37], vcc
	s_xor_b64 s[36:37], exec, s[36:37]
	s_cbranch_execz .LBB84_25
; %bb.24:                               ;   in Loop: Header=BB84_23 Depth=2
	s_ashr_i32 s38, s0, 31
	s_add_u32 s40, s25, s38
	s_mov_b32 s39, s38
	s_addc_u32 s41, s0, s38
	s_xor_b64 s[40:41], s[40:41], s[38:39]
	v_cvt_f32_u32_e32 v3, s40
	v_cvt_f32_u32_e32 v5, s41
	s_sub_u32 s16, 0, s40
	s_subb_u32 s28, 0, s41
	v_mac_f32_e32 v3, 0x4f800000, v5
	v_rcp_f32_e32 v3, v3
	v_mul_f32_e32 v3, 0x5f7ffffc, v3
	v_mul_f32_e32 v5, 0x2f800000, v3
	v_trunc_f32_e32 v5, v5
	v_mac_f32_e32 v3, 0xcf800000, v5
	v_cvt_u32_f32_e32 v5, v5
	v_cvt_u32_f32_e32 v3, v3
	v_readfirstlane_b32 s31, v5
	v_readfirstlane_b32 s0, v3
	s_mul_i32 s1, s16, s31
	s_mul_hi_u32 s50, s16, s0
	s_mul_i32 s39, s28, s0
	s_add_i32 s1, s50, s1
	s_add_i32 s1, s1, s39
	s_mul_i32 s51, s16, s0
	s_mul_i32 s50, s0, s1
	s_mul_hi_u32 s52, s0, s51
	s_mul_hi_u32 s39, s0, s1
	s_add_u32 s50, s52, s50
	s_addc_u32 s39, 0, s39
	s_mul_hi_u32 s53, s31, s51
	s_mul_i32 s51, s31, s51
	s_add_u32 s50, s50, s51
	s_mul_hi_u32 s52, s31, s1
	s_addc_u32 s39, s39, s53
	s_addc_u32 s50, s52, 0
	s_mul_i32 s1, s31, s1
	s_add_u32 s1, s39, s1
	s_addc_u32 s39, 0, s50
	s_add_u32 s50, s0, s1
	s_cselect_b64 s[0:1], -1, 0
	s_cmp_lg_u64 s[0:1], 0
	s_addc_u32 s31, s31, s39
	s_mul_i32 s0, s16, s31
	s_mul_hi_u32 s1, s16, s50
	s_add_i32 s0, s1, s0
	s_mul_i32 s28, s28, s50
	s_add_i32 s0, s0, s28
	s_mul_i32 s16, s16, s50
	s_mul_hi_u32 s28, s31, s16
	s_mul_i32 s39, s31, s16
	s_mul_i32 s52, s50, s0
	s_mul_hi_u32 s16, s50, s16
	s_mul_hi_u32 s51, s50, s0
	s_add_u32 s16, s16, s52
	s_addc_u32 s51, 0, s51
	s_add_u32 s16, s16, s39
	s_mul_hi_u32 s1, s31, s0
	s_addc_u32 s16, s51, s28
	s_addc_u32 s1, s1, 0
	s_mul_i32 s0, s31, s0
	s_add_u32 s0, s16, s0
	s_addc_u32 s16, 0, s1
	s_add_u32 s28, s50, s0
	s_cselect_b64 s[0:1], -1, 0
	v_ashrrev_i32_e32 v3, 31, v7
	s_cmp_lg_u64 s[0:1], 0
	v_add_co_u32_e32 v5, vcc, v6, v3
	s_addc_u32 s16, s31, s16
	v_xor_b32_e32 v5, v5, v3
	v_addc_co_u32_e32 v9, vcc, v7, v3, vcc
	v_mad_u64_u32 v[7:8], s[0:1], v5, s16, 0
	v_mul_hi_u32 v10, v5, s28
	v_xor_b32_e32 v11, v9, v3
	v_xor_b32_e32 v3, s38, v3
	v_add_co_u32_e32 v12, vcc, v10, v7
	v_addc_co_u32_e32 v13, vcc, 0, v8, vcc
	v_mad_u64_u32 v[7:8], s[0:1], v11, s28, 0
	v_mad_u64_u32 v[9:10], s[0:1], v11, s16, 0
	v_add_co_u32_e32 v7, vcc, v12, v7
	v_addc_co_u32_e32 v7, vcc, v13, v8, vcc
	v_addc_co_u32_e32 v8, vcc, 0, v10, vcc
	v_add_co_u32_e32 v9, vcc, v7, v9
	v_addc_co_u32_e32 v10, vcc, 0, v8, vcc
	v_mul_lo_u32 v12, s41, v9
	v_mul_lo_u32 v13, s40, v10
	v_mad_u64_u32 v[7:8], s[0:1], s40, v9, 0
	v_add3_u32 v8, v8, v13, v12
	v_sub_u32_e32 v12, v11, v8
	v_mov_b32_e32 v13, s41
	v_sub_co_u32_e32 v5, vcc, v5, v7
	v_subb_co_u32_e64 v7, s[0:1], v12, v13, vcc
	v_subrev_co_u32_e64 v12, s[0:1], s40, v5
	v_subbrev_co_u32_e64 v7, s[0:1], 0, v7, s[0:1]
	v_cmp_le_u32_e64 s[0:1], s41, v7
	v_cndmask_b32_e64 v13, 0, -1, s[0:1]
	v_cmp_le_u32_e64 s[0:1], s40, v12
	v_cndmask_b32_e64 v12, 0, -1, s[0:1]
	v_cmp_eq_u32_e64 s[0:1], s41, v7
	v_cndmask_b32_e64 v7, v13, v12, s[0:1]
	v_add_co_u32_e64 v12, s[0:1], 2, v9
	v_subb_co_u32_e32 v8, vcc, v11, v8, vcc
	v_addc_co_u32_e64 v13, s[0:1], 0, v10, s[0:1]
	v_cmp_le_u32_e32 vcc, s41, v8
	v_add_co_u32_e64 v14, s[0:1], 1, v9
	v_cndmask_b32_e64 v11, 0, -1, vcc
	v_cmp_le_u32_e32 vcc, s40, v5
	v_addc_co_u32_e64 v15, s[0:1], 0, v10, s[0:1]
	v_cndmask_b32_e64 v5, 0, -1, vcc
	v_cmp_eq_u32_e32 vcc, s41, v8
	v_cmp_ne_u32_e64 s[0:1], 0, v7
	v_cndmask_b32_e32 v5, v11, v5, vcc
	v_cndmask_b32_e64 v7, v15, v13, s[0:1]
	v_cmp_ne_u32_e32 vcc, 0, v5
	v_cndmask_b32_e32 v5, v10, v7, vcc
	v_cndmask_b32_e64 v7, v14, v12, s[0:1]
	v_cndmask_b32_e32 v7, v9, v7, vcc
	v_xor_b32_e32 v7, v7, v3
	v_xor_b32_e32 v5, v5, v3
	v_sub_co_u32_e32 v8, vcc, v7, v3
	v_subb_co_u32_e32 v9, vcc, v5, v3, vcc
.LBB84_25:                              ;   in Loop: Header=BB84_23 Depth=2
	s_andn2_saveexec_b64 s[0:1], s[36:37]
	s_cbranch_execz .LBB84_27
; %bb.26:                               ;   in Loop: Header=BB84_23 Depth=2
	v_cvt_f32_u32_e32 v3, s25
	s_sub_i32 s16, 0, s25
	v_mov_b32_e32 v9, v2
	v_rcp_iflag_f32_e32 v3, v3
	v_mul_f32_e32 v3, 0x4f7ffffe, v3
	v_cvt_u32_f32_e32 v3, v3
	v_mul_lo_u32 v5, s16, v3
	v_mul_hi_u32 v5, v3, v5
	v_add_u32_e32 v3, v3, v5
	v_mul_hi_u32 v3, v6, v3
	v_mul_lo_u32 v5, v3, s25
	v_add_u32_e32 v7, 1, v3
	v_sub_u32_e32 v5, v6, v5
	v_subrev_u32_e32 v8, s25, v5
	v_cmp_le_u32_e32 vcc, s25, v5
	v_cndmask_b32_e32 v5, v5, v8, vcc
	v_cndmask_b32_e32 v3, v3, v7, vcc
	v_add_u32_e32 v7, 1, v3
	v_cmp_le_u32_e32 vcc, s25, v5
	v_cndmask_b32_e32 v8, v3, v7, vcc
.LBB84_27:                              ;   in Loop: Header=BB84_23 Depth=2
	s_or_b64 exec, exec, s[0:1]
	s_add_u32 s0, s4, s34
	s_addc_u32 s1, s5, s35
	s_add_i32 s16, s30, 6
	s_lshl_b64 s[34:35], s[16:17], 2
	s_add_u32 s36, s42, s34
	s_addc_u32 s37, s43, s35
	s_load_dword s50, s[36:37], 0x8
	s_load_dword s28, s[0:1], 0x6c
                                        ; implicit-def: $vgpr10_vgpr11
	s_waitcnt lgkmcnt(0)
	s_ashr_i32 s0, s50, 31
	v_or_b32_e32 v3, s0, v9
	v_cmp_ne_u64_e32 vcc, 0, v[2:3]
	s_and_saveexec_b64 s[36:37], vcc
	s_xor_b64 s[36:37], exec, s[36:37]
	s_cbranch_execz .LBB84_29
; %bb.28:                               ;   in Loop: Header=BB84_23 Depth=2
	s_ashr_i32 s38, s0, 31
	s_add_u32 s40, s50, s38
	s_mov_b32 s39, s38
	s_addc_u32 s41, s0, s38
	s_xor_b64 s[40:41], s[40:41], s[38:39]
	v_cvt_f32_u32_e32 v3, s40
	v_cvt_f32_u32_e32 v5, s41
	s_sub_u32 s16, 0, s40
	s_subb_u32 s31, 0, s41
	v_mac_f32_e32 v3, 0x4f800000, v5
	v_rcp_f32_e32 v3, v3
	v_mul_f32_e32 v3, 0x5f7ffffc, v3
	v_mul_f32_e32 v5, 0x2f800000, v3
	v_trunc_f32_e32 v5, v5
	v_mac_f32_e32 v3, 0xcf800000, v5
	v_cvt_u32_f32_e32 v5, v5
	v_cvt_u32_f32_e32 v3, v3
	v_readfirstlane_b32 s39, v5
	v_readfirstlane_b32 s0, v3
	s_mul_i32 s1, s16, s39
	s_mul_hi_u32 s52, s16, s0
	s_mul_i32 s51, s31, s0
	s_add_i32 s1, s52, s1
	s_add_i32 s1, s1, s51
	s_mul_i32 s53, s16, s0
	s_mul_i32 s52, s0, s1
	s_mul_hi_u32 s54, s0, s53
	s_mul_hi_u32 s51, s0, s1
	s_add_u32 s52, s54, s52
	s_addc_u32 s51, 0, s51
	s_mul_hi_u32 s55, s39, s53
	s_mul_i32 s53, s39, s53
	s_add_u32 s52, s52, s53
	s_mul_hi_u32 s54, s39, s1
	s_addc_u32 s51, s51, s55
	s_addc_u32 s52, s54, 0
	s_mul_i32 s1, s39, s1
	s_add_u32 s1, s51, s1
	s_addc_u32 s51, 0, s52
	s_add_u32 s52, s0, s1
	s_cselect_b64 s[0:1], -1, 0
	s_cmp_lg_u64 s[0:1], 0
	s_addc_u32 s39, s39, s51
	s_mul_i32 s0, s16, s39
	s_mul_hi_u32 s1, s16, s52
	s_add_i32 s0, s1, s0
	s_mul_i32 s31, s31, s52
	s_add_i32 s0, s0, s31
	s_mul_i32 s16, s16, s52
	s_mul_hi_u32 s31, s39, s16
	s_mul_i32 s51, s39, s16
	s_mul_i32 s54, s52, s0
	s_mul_hi_u32 s16, s52, s16
	s_mul_hi_u32 s53, s52, s0
	s_add_u32 s16, s16, s54
	s_addc_u32 s53, 0, s53
	s_add_u32 s16, s16, s51
	s_mul_hi_u32 s1, s39, s0
	s_addc_u32 s16, s53, s31
	s_addc_u32 s1, s1, 0
	s_mul_i32 s0, s39, s0
	s_add_u32 s0, s16, s0
	s_addc_u32 s16, 0, s1
	s_add_u32 s31, s52, s0
	s_cselect_b64 s[0:1], -1, 0
	v_ashrrev_i32_e32 v3, 31, v9
	s_cmp_lg_u64 s[0:1], 0
	v_add_co_u32_e32 v5, vcc, v8, v3
	s_addc_u32 s16, s39, s16
	v_xor_b32_e32 v5, v5, v3
	v_addc_co_u32_e32 v7, vcc, v9, v3, vcc
	v_mad_u64_u32 v[9:10], s[0:1], v5, s16, 0
	v_mul_hi_u32 v11, v5, s31
	v_xor_b32_e32 v7, v7, v3
	v_xor_b32_e32 v3, s38, v3
	v_add_co_u32_e32 v13, vcc, v11, v9
	v_addc_co_u32_e32 v14, vcc, 0, v10, vcc
	v_mad_u64_u32 v[9:10], s[0:1], v7, s31, 0
	v_mad_u64_u32 v[11:12], s[0:1], v7, s16, 0
	v_add_co_u32_e32 v9, vcc, v13, v9
	v_addc_co_u32_e32 v9, vcc, v14, v10, vcc
	v_addc_co_u32_e32 v10, vcc, 0, v12, vcc
	v_add_co_u32_e32 v11, vcc, v9, v11
	v_addc_co_u32_e32 v12, vcc, 0, v10, vcc
	v_mul_lo_u32 v13, s41, v11
	v_mul_lo_u32 v14, s40, v12
	v_mad_u64_u32 v[9:10], s[0:1], s40, v11, 0
	v_add3_u32 v10, v10, v14, v13
	v_sub_u32_e32 v13, v7, v10
	v_mov_b32_e32 v14, s41
	v_sub_co_u32_e32 v5, vcc, v5, v9
	v_subb_co_u32_e64 v9, s[0:1], v13, v14, vcc
	v_subrev_co_u32_e64 v13, s[0:1], s40, v5
	v_subbrev_co_u32_e64 v9, s[0:1], 0, v9, s[0:1]
	v_cmp_le_u32_e64 s[0:1], s41, v9
	v_cndmask_b32_e64 v14, 0, -1, s[0:1]
	v_cmp_le_u32_e64 s[0:1], s40, v13
	v_cndmask_b32_e64 v13, 0, -1, s[0:1]
	v_cmp_eq_u32_e64 s[0:1], s41, v9
	v_cndmask_b32_e64 v9, v14, v13, s[0:1]
	v_add_co_u32_e64 v13, s[0:1], 2, v11
	v_subb_co_u32_e32 v7, vcc, v7, v10, vcc
	v_addc_co_u32_e64 v14, s[0:1], 0, v12, s[0:1]
	v_cmp_le_u32_e32 vcc, s41, v7
	v_add_co_u32_e64 v15, s[0:1], 1, v11
	v_cndmask_b32_e64 v10, 0, -1, vcc
	v_cmp_le_u32_e32 vcc, s40, v5
	v_addc_co_u32_e64 v16, s[0:1], 0, v12, s[0:1]
	v_cndmask_b32_e64 v5, 0, -1, vcc
	v_cmp_eq_u32_e32 vcc, s41, v7
	v_cmp_ne_u32_e64 s[0:1], 0, v9
	v_cndmask_b32_e32 v5, v10, v5, vcc
	v_cmp_ne_u32_e32 vcc, 0, v5
	v_cndmask_b32_e64 v7, v15, v13, s[0:1]
	v_cndmask_b32_e64 v9, v16, v14, s[0:1]
	v_cndmask_b32_e32 v7, v11, v7, vcc
	v_cndmask_b32_e32 v5, v12, v9, vcc
	v_xor_b32_e32 v7, v7, v3
	v_xor_b32_e32 v5, v5, v3
	v_sub_co_u32_e32 v10, vcc, v7, v3
	v_subb_co_u32_e32 v11, vcc, v5, v3, vcc
.LBB84_29:                              ;   in Loop: Header=BB84_23 Depth=2
	s_andn2_saveexec_b64 s[0:1], s[36:37]
	s_cbranch_execz .LBB84_31
; %bb.30:                               ;   in Loop: Header=BB84_23 Depth=2
	v_cvt_f32_u32_e32 v3, s50
	s_sub_i32 s16, 0, s50
	v_mov_b32_e32 v11, v2
	v_rcp_iflag_f32_e32 v3, v3
	v_mul_f32_e32 v3, 0x4f7ffffe, v3
	v_cvt_u32_f32_e32 v3, v3
	v_mul_lo_u32 v5, s16, v3
	v_mul_hi_u32 v5, v3, v5
	v_add_u32_e32 v3, v3, v5
	v_mul_hi_u32 v3, v8, v3
	v_mul_lo_u32 v5, v3, s50
	v_add_u32_e32 v7, 1, v3
	v_sub_u32_e32 v5, v8, v5
	v_subrev_u32_e32 v9, s50, v5
	v_cmp_le_u32_e32 vcc, s50, v5
	v_cndmask_b32_e32 v5, v5, v9, vcc
	v_cndmask_b32_e32 v3, v3, v7, vcc
	v_add_u32_e32 v7, 1, v3
	v_cmp_le_u32_e32 vcc, s50, v5
	v_cndmask_b32_e32 v10, v3, v7, vcc
.LBB84_31:                              ;   in Loop: Header=BB84_23 Depth=2
	s_or_b64 exec, exec, s[0:1]
	s_add_u32 s0, s4, s34
	s_addc_u32 s1, s5, s35
	s_add_i32 s16, s30, 5
	s_lshl_b64 s[34:35], s[16:17], 2
	s_add_u32 s36, s42, s34
	s_addc_u32 s37, s43, s35
	s_load_dword s52, s[36:37], 0x8
	s_load_dword s51, s[0:1], 0x6c
                                        ; implicit-def: $vgpr12_vgpr13
	s_waitcnt lgkmcnt(0)
	s_ashr_i32 s0, s52, 31
	v_or_b32_e32 v3, s0, v11
	v_cmp_ne_u64_e32 vcc, 0, v[2:3]
	s_and_saveexec_b64 s[36:37], vcc
	s_xor_b64 s[36:37], exec, s[36:37]
	s_cbranch_execz .LBB84_33
; %bb.32:                               ;   in Loop: Header=BB84_23 Depth=2
	s_ashr_i32 s38, s0, 31
	s_add_u32 s40, s52, s38
	s_mov_b32 s39, s38
	s_addc_u32 s41, s0, s38
	s_xor_b64 s[40:41], s[40:41], s[38:39]
	v_cvt_f32_u32_e32 v3, s40
	v_cvt_f32_u32_e32 v5, s41
	s_sub_u32 s16, 0, s40
	s_subb_u32 s31, 0, s41
	v_mac_f32_e32 v3, 0x4f800000, v5
	v_rcp_f32_e32 v3, v3
	v_mul_f32_e32 v3, 0x5f7ffffc, v3
	v_mul_f32_e32 v5, 0x2f800000, v3
	v_trunc_f32_e32 v5, v5
	v_mac_f32_e32 v3, 0xcf800000, v5
	v_cvt_u32_f32_e32 v5, v5
	v_cvt_u32_f32_e32 v3, v3
	v_readfirstlane_b32 s39, v5
	v_readfirstlane_b32 s0, v3
	s_mul_i32 s1, s16, s39
	s_mul_hi_u32 s54, s16, s0
	s_mul_i32 s53, s31, s0
	s_add_i32 s1, s54, s1
	s_add_i32 s1, s1, s53
	s_mul_i32 s55, s16, s0
	s_mul_i32 s54, s0, s1
	s_mul_hi_u32 s56, s0, s55
	s_mul_hi_u32 s53, s0, s1
	s_add_u32 s54, s56, s54
	s_addc_u32 s53, 0, s53
	s_mul_hi_u32 s57, s39, s55
	s_mul_i32 s55, s39, s55
	s_add_u32 s54, s54, s55
	s_mul_hi_u32 s56, s39, s1
	s_addc_u32 s53, s53, s57
	s_addc_u32 s54, s56, 0
	s_mul_i32 s1, s39, s1
	s_add_u32 s1, s53, s1
	s_addc_u32 s53, 0, s54
	s_add_u32 s54, s0, s1
	s_cselect_b64 s[0:1], -1, 0
	s_cmp_lg_u64 s[0:1], 0
	s_addc_u32 s39, s39, s53
	s_mul_i32 s0, s16, s39
	s_mul_hi_u32 s1, s16, s54
	s_add_i32 s0, s1, s0
	s_mul_i32 s31, s31, s54
	s_add_i32 s0, s0, s31
	s_mul_i32 s16, s16, s54
	s_mul_hi_u32 s31, s39, s16
	s_mul_i32 s53, s39, s16
	s_mul_i32 s56, s54, s0
	s_mul_hi_u32 s16, s54, s16
	s_mul_hi_u32 s55, s54, s0
	s_add_u32 s16, s16, s56
	s_addc_u32 s55, 0, s55
	s_add_u32 s16, s16, s53
	s_mul_hi_u32 s1, s39, s0
	s_addc_u32 s16, s55, s31
	s_addc_u32 s1, s1, 0
	s_mul_i32 s0, s39, s0
	s_add_u32 s0, s16, s0
	s_addc_u32 s16, 0, s1
	s_add_u32 s31, s54, s0
	s_cselect_b64 s[0:1], -1, 0
	v_ashrrev_i32_e32 v3, 31, v11
	s_cmp_lg_u64 s[0:1], 0
	v_add_co_u32_e32 v5, vcc, v10, v3
	s_addc_u32 s16, s39, s16
	v_xor_b32_e32 v5, v5, v3
	v_addc_co_u32_e32 v7, vcc, v11, v3, vcc
	v_mad_u64_u32 v[11:12], s[0:1], v5, s16, 0
	v_mul_hi_u32 v9, v5, s31
	v_xor_b32_e32 v7, v7, v3
	v_mad_u64_u32 v[13:14], s[0:1], v7, s16, 0
	v_add_co_u32_e32 v9, vcc, v9, v11
	v_addc_co_u32_e32 v15, vcc, 0, v12, vcc
	v_mad_u64_u32 v[11:12], s[0:1], v7, s31, 0
	v_xor_b32_e32 v3, s38, v3
	v_add_co_u32_e32 v9, vcc, v9, v11
	v_addc_co_u32_e32 v9, vcc, v15, v12, vcc
	v_addc_co_u32_e32 v11, vcc, 0, v14, vcc
	v_add_co_u32_e32 v9, vcc, v9, v13
	v_addc_co_u32_e32 v13, vcc, 0, v11, vcc
	v_mul_lo_u32 v14, s41, v9
	v_mul_lo_u32 v15, s40, v13
	v_mad_u64_u32 v[11:12], s[0:1], s40, v9, 0
	v_add3_u32 v12, v12, v15, v14
	v_sub_u32_e32 v14, v7, v12
	v_mov_b32_e32 v15, s41
	v_sub_co_u32_e32 v5, vcc, v5, v11
	v_subb_co_u32_e64 v11, s[0:1], v14, v15, vcc
	v_subrev_co_u32_e64 v14, s[0:1], s40, v5
	v_subbrev_co_u32_e64 v11, s[0:1], 0, v11, s[0:1]
	v_cmp_le_u32_e64 s[0:1], s41, v11
	v_cndmask_b32_e64 v15, 0, -1, s[0:1]
	v_cmp_le_u32_e64 s[0:1], s40, v14
	v_cndmask_b32_e64 v14, 0, -1, s[0:1]
	v_cmp_eq_u32_e64 s[0:1], s41, v11
	v_cndmask_b32_e64 v11, v15, v14, s[0:1]
	v_add_co_u32_e64 v14, s[0:1], 2, v9
	v_subb_co_u32_e32 v7, vcc, v7, v12, vcc
	v_addc_co_u32_e64 v15, s[0:1], 0, v13, s[0:1]
	v_cmp_le_u32_e32 vcc, s41, v7
	v_add_co_u32_e64 v16, s[0:1], 1, v9
	v_cndmask_b32_e64 v12, 0, -1, vcc
	v_cmp_le_u32_e32 vcc, s40, v5
	v_addc_co_u32_e64 v17, s[0:1], 0, v13, s[0:1]
	v_cndmask_b32_e64 v5, 0, -1, vcc
	v_cmp_eq_u32_e32 vcc, s41, v7
	v_cmp_ne_u32_e64 s[0:1], 0, v11
	v_cndmask_b32_e32 v5, v12, v5, vcc
	v_cmp_ne_u32_e32 vcc, 0, v5
	v_cndmask_b32_e64 v7, v16, v14, s[0:1]
	v_cndmask_b32_e64 v11, v17, v15, s[0:1]
	v_cndmask_b32_e32 v7, v9, v7, vcc
	v_cndmask_b32_e32 v5, v13, v11, vcc
	v_xor_b32_e32 v7, v7, v3
	v_xor_b32_e32 v5, v5, v3
	v_sub_co_u32_e32 v12, vcc, v7, v3
	v_subb_co_u32_e32 v13, vcc, v5, v3, vcc
.LBB84_33:                              ;   in Loop: Header=BB84_23 Depth=2
	s_andn2_saveexec_b64 s[0:1], s[36:37]
	s_cbranch_execz .LBB84_35
; %bb.34:                               ;   in Loop: Header=BB84_23 Depth=2
	v_cvt_f32_u32_e32 v3, s52
	s_sub_i32 s16, 0, s52
	v_mov_b32_e32 v13, v2
	v_rcp_iflag_f32_e32 v3, v3
	v_mul_f32_e32 v3, 0x4f7ffffe, v3
	v_cvt_u32_f32_e32 v3, v3
	v_mul_lo_u32 v5, s16, v3
	v_mul_hi_u32 v5, v3, v5
	v_add_u32_e32 v3, v3, v5
	v_mul_hi_u32 v3, v10, v3
	v_mul_lo_u32 v5, v3, s52
	v_add_u32_e32 v7, 1, v3
	v_sub_u32_e32 v5, v10, v5
	v_subrev_u32_e32 v9, s52, v5
	v_cmp_le_u32_e32 vcc, s52, v5
	v_cndmask_b32_e32 v5, v5, v9, vcc
	v_cndmask_b32_e32 v3, v3, v7, vcc
	v_add_u32_e32 v7, 1, v3
	v_cmp_le_u32_e32 vcc, s52, v5
	v_cndmask_b32_e32 v12, v3, v7, vcc
.LBB84_35:                              ;   in Loop: Header=BB84_23 Depth=2
	s_or_b64 exec, exec, s[0:1]
	s_add_u32 s0, s4, s34
	s_addc_u32 s1, s5, s35
	s_add_i32 s16, s30, 4
	s_lshl_b64 s[34:35], s[16:17], 2
	s_add_u32 s36, s42, s34
	s_addc_u32 s37, s43, s35
	s_load_dword s54, s[36:37], 0x8
	s_load_dword s53, s[0:1], 0x6c
                                        ; implicit-def: $vgpr14_vgpr15
	s_waitcnt lgkmcnt(0)
	s_ashr_i32 s0, s54, 31
	v_or_b32_e32 v3, s0, v13
	v_cmp_ne_u64_e32 vcc, 0, v[2:3]
	s_and_saveexec_b64 s[36:37], vcc
	s_xor_b64 s[36:37], exec, s[36:37]
	s_cbranch_execz .LBB84_37
; %bb.36:                               ;   in Loop: Header=BB84_23 Depth=2
	s_ashr_i32 s38, s0, 31
	s_add_u32 s40, s54, s38
	s_mov_b32 s39, s38
	s_addc_u32 s41, s0, s38
	s_xor_b64 s[40:41], s[40:41], s[38:39]
	v_cvt_f32_u32_e32 v3, s40
	v_cvt_f32_u32_e32 v5, s41
	s_sub_u32 s16, 0, s40
	s_subb_u32 s31, 0, s41
	v_mac_f32_e32 v3, 0x4f800000, v5
	v_rcp_f32_e32 v3, v3
	v_mul_f32_e32 v3, 0x5f7ffffc, v3
	v_mul_f32_e32 v5, 0x2f800000, v3
	v_trunc_f32_e32 v5, v5
	v_mac_f32_e32 v3, 0xcf800000, v5
	v_cvt_u32_f32_e32 v5, v5
	v_cvt_u32_f32_e32 v3, v3
	v_readfirstlane_b32 s39, v5
	v_readfirstlane_b32 s0, v3
	s_mul_i32 s1, s16, s39
	s_mul_hi_u32 s56, s16, s0
	s_mul_i32 s55, s31, s0
	s_add_i32 s1, s56, s1
	s_add_i32 s1, s1, s55
	s_mul_i32 s57, s16, s0
	s_mul_i32 s56, s0, s1
	s_mul_hi_u32 s58, s0, s57
	s_mul_hi_u32 s55, s0, s1
	s_add_u32 s56, s58, s56
	s_addc_u32 s55, 0, s55
	s_mul_hi_u32 s59, s39, s57
	s_mul_i32 s57, s39, s57
	s_add_u32 s56, s56, s57
	s_mul_hi_u32 s58, s39, s1
	s_addc_u32 s55, s55, s59
	s_addc_u32 s56, s58, 0
	s_mul_i32 s1, s39, s1
	s_add_u32 s1, s55, s1
	s_addc_u32 s55, 0, s56
	s_add_u32 s56, s0, s1
	s_cselect_b64 s[0:1], -1, 0
	s_cmp_lg_u64 s[0:1], 0
	s_addc_u32 s39, s39, s55
	s_mul_i32 s0, s16, s39
	s_mul_hi_u32 s1, s16, s56
	s_add_i32 s0, s1, s0
	s_mul_i32 s31, s31, s56
	s_add_i32 s0, s0, s31
	s_mul_i32 s16, s16, s56
	s_mul_hi_u32 s31, s39, s16
	s_mul_i32 s55, s39, s16
	s_mul_i32 s58, s56, s0
	s_mul_hi_u32 s16, s56, s16
	s_mul_hi_u32 s57, s56, s0
	s_add_u32 s16, s16, s58
	s_addc_u32 s57, 0, s57
	s_add_u32 s16, s16, s55
	s_mul_hi_u32 s1, s39, s0
	s_addc_u32 s16, s57, s31
	s_addc_u32 s1, s1, 0
	s_mul_i32 s0, s39, s0
	s_add_u32 s0, s16, s0
	s_addc_u32 s16, 0, s1
	s_add_u32 s31, s56, s0
	s_cselect_b64 s[0:1], -1, 0
	v_ashrrev_i32_e32 v3, 31, v13
	s_cmp_lg_u64 s[0:1], 0
	v_add_co_u32_e32 v5, vcc, v12, v3
	s_addc_u32 s16, s39, s16
	v_xor_b32_e32 v5, v5, v3
	v_addc_co_u32_e32 v7, vcc, v13, v3, vcc
	v_mad_u64_u32 v[13:14], s[0:1], v5, s16, 0
	v_mul_hi_u32 v9, v5, s31
	v_xor_b32_e32 v7, v7, v3
	v_mad_u64_u32 v[15:16], s[0:1], v7, s16, 0
	v_add_co_u32_e32 v9, vcc, v9, v13
	v_addc_co_u32_e32 v11, vcc, 0, v14, vcc
	v_mad_u64_u32 v[13:14], s[0:1], v7, s31, 0
	v_xor_b32_e32 v3, s38, v3
	v_add_co_u32_e32 v9, vcc, v9, v13
	v_addc_co_u32_e32 v9, vcc, v11, v14, vcc
	v_addc_co_u32_e32 v11, vcc, 0, v16, vcc
	v_add_co_u32_e32 v9, vcc, v9, v15
	v_addc_co_u32_e32 v11, vcc, 0, v11, vcc
	v_mul_lo_u32 v15, s41, v9
	v_mul_lo_u32 v16, s40, v11
	v_mad_u64_u32 v[13:14], s[0:1], s40, v9, 0
	v_add3_u32 v14, v14, v16, v15
	v_sub_u32_e32 v15, v7, v14
	v_mov_b32_e32 v16, s41
	v_sub_co_u32_e32 v5, vcc, v5, v13
	v_subb_co_u32_e64 v13, s[0:1], v15, v16, vcc
	v_subrev_co_u32_e64 v15, s[0:1], s40, v5
	v_subbrev_co_u32_e64 v13, s[0:1], 0, v13, s[0:1]
	v_cmp_le_u32_e64 s[0:1], s41, v13
	v_cndmask_b32_e64 v16, 0, -1, s[0:1]
	v_cmp_le_u32_e64 s[0:1], s40, v15
	v_cndmask_b32_e64 v15, 0, -1, s[0:1]
	v_cmp_eq_u32_e64 s[0:1], s41, v13
	v_cndmask_b32_e64 v13, v16, v15, s[0:1]
	v_add_co_u32_e64 v15, s[0:1], 2, v9
	v_subb_co_u32_e32 v7, vcc, v7, v14, vcc
	v_addc_co_u32_e64 v16, s[0:1], 0, v11, s[0:1]
	v_cmp_le_u32_e32 vcc, s41, v7
	v_add_co_u32_e64 v17, s[0:1], 1, v9
	v_cndmask_b32_e64 v14, 0, -1, vcc
	v_cmp_le_u32_e32 vcc, s40, v5
	v_addc_co_u32_e64 v18, s[0:1], 0, v11, s[0:1]
	v_cndmask_b32_e64 v5, 0, -1, vcc
	v_cmp_eq_u32_e32 vcc, s41, v7
	v_cmp_ne_u32_e64 s[0:1], 0, v13
	v_cndmask_b32_e32 v5, v14, v5, vcc
	v_cmp_ne_u32_e32 vcc, 0, v5
	v_cndmask_b32_e64 v7, v17, v15, s[0:1]
	v_cndmask_b32_e64 v13, v18, v16, s[0:1]
	v_cndmask_b32_e32 v7, v9, v7, vcc
	v_cndmask_b32_e32 v5, v11, v13, vcc
	v_xor_b32_e32 v7, v7, v3
	v_xor_b32_e32 v5, v5, v3
	v_sub_co_u32_e32 v14, vcc, v7, v3
	v_subb_co_u32_e32 v15, vcc, v5, v3, vcc
.LBB84_37:                              ;   in Loop: Header=BB84_23 Depth=2
	s_andn2_saveexec_b64 s[0:1], s[36:37]
	s_cbranch_execz .LBB84_39
; %bb.38:                               ;   in Loop: Header=BB84_23 Depth=2
	v_cvt_f32_u32_e32 v3, s54
	s_sub_i32 s16, 0, s54
	v_mov_b32_e32 v15, v2
	v_rcp_iflag_f32_e32 v3, v3
	v_mul_f32_e32 v3, 0x4f7ffffe, v3
	v_cvt_u32_f32_e32 v3, v3
	v_mul_lo_u32 v5, s16, v3
	v_mul_hi_u32 v5, v3, v5
	v_add_u32_e32 v3, v3, v5
	v_mul_hi_u32 v3, v12, v3
	v_mul_lo_u32 v5, v3, s54
	v_add_u32_e32 v7, 1, v3
	v_sub_u32_e32 v5, v12, v5
	v_subrev_u32_e32 v9, s54, v5
	v_cmp_le_u32_e32 vcc, s54, v5
	v_cndmask_b32_e32 v5, v5, v9, vcc
	v_cndmask_b32_e32 v3, v3, v7, vcc
	v_add_u32_e32 v7, 1, v3
	v_cmp_le_u32_e32 vcc, s54, v5
	v_cndmask_b32_e32 v14, v3, v7, vcc
.LBB84_39:                              ;   in Loop: Header=BB84_23 Depth=2
	s_or_b64 exec, exec, s[0:1]
	s_add_u32 s0, s4, s34
	s_addc_u32 s1, s5, s35
	s_add_i32 s16, s30, 3
	s_lshl_b64 s[34:35], s[16:17], 2
	s_add_u32 s36, s42, s34
	s_addc_u32 s37, s43, s35
	s_load_dword s55, s[36:37], 0x8
	s_load_dword s56, s[0:1], 0x6c
                                        ; implicit-def: $vgpr16_vgpr17
	s_waitcnt lgkmcnt(0)
	s_ashr_i32 s0, s55, 31
	v_or_b32_e32 v3, s0, v15
	v_cmp_ne_u64_e32 vcc, 0, v[2:3]
	s_and_saveexec_b64 s[36:37], vcc
	s_xor_b64 s[36:37], exec, s[36:37]
	s_cbranch_execz .LBB84_41
; %bb.40:                               ;   in Loop: Header=BB84_23 Depth=2
	s_ashr_i32 s38, s0, 31
	s_add_u32 s40, s55, s38
	s_mov_b32 s39, s38
	s_addc_u32 s41, s0, s38
	s_xor_b64 s[40:41], s[40:41], s[38:39]
	v_cvt_f32_u32_e32 v3, s40
	v_cvt_f32_u32_e32 v5, s41
	s_sub_u32 s16, 0, s40
	s_subb_u32 s31, 0, s41
	v_mac_f32_e32 v3, 0x4f800000, v5
	v_rcp_f32_e32 v3, v3
	v_mul_f32_e32 v3, 0x5f7ffffc, v3
	v_mul_f32_e32 v5, 0x2f800000, v3
	v_trunc_f32_e32 v5, v5
	v_mac_f32_e32 v3, 0xcf800000, v5
	v_cvt_u32_f32_e32 v5, v5
	v_cvt_u32_f32_e32 v3, v3
	v_readfirstlane_b32 s39, v5
	v_readfirstlane_b32 s0, v3
	s_mul_i32 s1, s16, s39
	s_mul_hi_u32 s58, s16, s0
	s_mul_i32 s57, s31, s0
	s_add_i32 s1, s58, s1
	s_add_i32 s1, s1, s57
	s_mul_i32 s59, s16, s0
	s_mul_i32 s58, s0, s1
	s_mul_hi_u32 s60, s0, s59
	s_mul_hi_u32 s57, s0, s1
	s_add_u32 s58, s60, s58
	s_addc_u32 s57, 0, s57
	s_mul_hi_u32 s61, s39, s59
	s_mul_i32 s59, s39, s59
	s_add_u32 s58, s58, s59
	s_mul_hi_u32 s60, s39, s1
	s_addc_u32 s57, s57, s61
	s_addc_u32 s58, s60, 0
	s_mul_i32 s1, s39, s1
	s_add_u32 s1, s57, s1
	s_addc_u32 s57, 0, s58
	s_add_u32 s58, s0, s1
	s_cselect_b64 s[0:1], -1, 0
	s_cmp_lg_u64 s[0:1], 0
	s_addc_u32 s39, s39, s57
	s_mul_i32 s0, s16, s39
	s_mul_hi_u32 s1, s16, s58
	s_add_i32 s0, s1, s0
	s_mul_i32 s31, s31, s58
	s_add_i32 s0, s0, s31
	s_mul_i32 s16, s16, s58
	s_mul_hi_u32 s31, s39, s16
	s_mul_i32 s57, s39, s16
	s_mul_i32 s60, s58, s0
	s_mul_hi_u32 s16, s58, s16
	s_mul_hi_u32 s59, s58, s0
	s_add_u32 s16, s16, s60
	s_addc_u32 s59, 0, s59
	s_add_u32 s16, s16, s57
	s_mul_hi_u32 s1, s39, s0
	s_addc_u32 s16, s59, s31
	s_addc_u32 s1, s1, 0
	s_mul_i32 s0, s39, s0
	s_add_u32 s0, s16, s0
	s_addc_u32 s16, 0, s1
	s_add_u32 s31, s58, s0
	s_cselect_b64 s[0:1], -1, 0
	v_ashrrev_i32_e32 v3, 31, v15
	s_cmp_lg_u64 s[0:1], 0
	v_add_co_u32_e32 v5, vcc, v14, v3
	s_addc_u32 s16, s39, s16
	v_xor_b32_e32 v5, v5, v3
	v_addc_co_u32_e32 v7, vcc, v15, v3, vcc
	v_mad_u64_u32 v[15:16], s[0:1], v5, s16, 0
	v_mul_hi_u32 v9, v5, s31
	v_xor_b32_e32 v7, v7, v3
	v_mad_u64_u32 v[17:18], s[0:1], v7, s16, 0
	v_add_co_u32_e32 v9, vcc, v9, v15
	v_addc_co_u32_e32 v11, vcc, 0, v16, vcc
	v_mad_u64_u32 v[15:16], s[0:1], v7, s31, 0
	v_xor_b32_e32 v3, s38, v3
	v_add_co_u32_e32 v9, vcc, v9, v15
	v_addc_co_u32_e32 v9, vcc, v11, v16, vcc
	v_addc_co_u32_e32 v11, vcc, 0, v18, vcc
	v_add_co_u32_e32 v9, vcc, v9, v17
	v_addc_co_u32_e32 v11, vcc, 0, v11, vcc
	v_mul_lo_u32 v13, s41, v9
	v_mul_lo_u32 v17, s40, v11
	v_mad_u64_u32 v[15:16], s[0:1], s40, v9, 0
	v_add3_u32 v13, v16, v17, v13
	v_sub_u32_e32 v16, v7, v13
	v_mov_b32_e32 v17, s41
	v_sub_co_u32_e32 v5, vcc, v5, v15
	v_subb_co_u32_e64 v15, s[0:1], v16, v17, vcc
	v_subrev_co_u32_e64 v16, s[0:1], s40, v5
	v_subbrev_co_u32_e64 v15, s[0:1], 0, v15, s[0:1]
	v_cmp_le_u32_e64 s[0:1], s41, v15
	v_cndmask_b32_e64 v17, 0, -1, s[0:1]
	v_cmp_le_u32_e64 s[0:1], s40, v16
	v_cndmask_b32_e64 v16, 0, -1, s[0:1]
	v_cmp_eq_u32_e64 s[0:1], s41, v15
	v_cndmask_b32_e64 v15, v17, v16, s[0:1]
	v_add_co_u32_e64 v16, s[0:1], 2, v9
	v_subb_co_u32_e32 v7, vcc, v7, v13, vcc
	v_addc_co_u32_e64 v17, s[0:1], 0, v11, s[0:1]
	v_cmp_le_u32_e32 vcc, s41, v7
	v_add_co_u32_e64 v18, s[0:1], 1, v9
	v_cndmask_b32_e64 v13, 0, -1, vcc
	v_cmp_le_u32_e32 vcc, s40, v5
	v_addc_co_u32_e64 v19, s[0:1], 0, v11, s[0:1]
	v_cndmask_b32_e64 v5, 0, -1, vcc
	v_cmp_eq_u32_e32 vcc, s41, v7
	v_cmp_ne_u32_e64 s[0:1], 0, v15
	v_cndmask_b32_e32 v5, v13, v5, vcc
	v_cmp_ne_u32_e32 vcc, 0, v5
	v_cndmask_b32_e64 v7, v18, v16, s[0:1]
	v_cndmask_b32_e64 v15, v19, v17, s[0:1]
	v_cndmask_b32_e32 v7, v9, v7, vcc
	v_cndmask_b32_e32 v5, v11, v15, vcc
	v_xor_b32_e32 v7, v7, v3
	v_xor_b32_e32 v5, v5, v3
	v_sub_co_u32_e32 v16, vcc, v7, v3
	v_subb_co_u32_e32 v17, vcc, v5, v3, vcc
.LBB84_41:                              ;   in Loop: Header=BB84_23 Depth=2
	s_andn2_saveexec_b64 s[0:1], s[36:37]
	s_cbranch_execz .LBB84_43
; %bb.42:                               ;   in Loop: Header=BB84_23 Depth=2
	v_cvt_f32_u32_e32 v3, s55
	s_sub_i32 s16, 0, s55
	v_mov_b32_e32 v17, v2
	v_rcp_iflag_f32_e32 v3, v3
	v_mul_f32_e32 v3, 0x4f7ffffe, v3
	v_cvt_u32_f32_e32 v3, v3
	v_mul_lo_u32 v5, s16, v3
	v_mul_hi_u32 v5, v3, v5
	v_add_u32_e32 v3, v3, v5
	v_mul_hi_u32 v3, v14, v3
	v_mul_lo_u32 v5, v3, s55
	v_add_u32_e32 v7, 1, v3
	v_sub_u32_e32 v5, v14, v5
	v_subrev_u32_e32 v9, s55, v5
	v_cmp_le_u32_e32 vcc, s55, v5
	v_cndmask_b32_e32 v5, v5, v9, vcc
	v_cndmask_b32_e32 v3, v3, v7, vcc
	v_add_u32_e32 v7, 1, v3
	v_cmp_le_u32_e32 vcc, s55, v5
	v_cndmask_b32_e32 v16, v3, v7, vcc
.LBB84_43:                              ;   in Loop: Header=BB84_23 Depth=2
	s_or_b64 exec, exec, s[0:1]
	s_add_u32 s0, s4, s34
	s_addc_u32 s1, s5, s35
	s_add_i32 s16, s30, 2
	s_lshl_b64 s[34:35], s[16:17], 2
	s_add_u32 s36, s42, s34
	s_addc_u32 s37, s43, s35
	s_load_dword s58, s[36:37], 0x8
	s_load_dword s57, s[0:1], 0x6c
                                        ; implicit-def: $vgpr18_vgpr19
	s_waitcnt lgkmcnt(0)
	s_ashr_i32 s0, s58, 31
	v_or_b32_e32 v3, s0, v17
	v_cmp_ne_u64_e32 vcc, 0, v[2:3]
	s_and_saveexec_b64 s[36:37], vcc
	s_xor_b64 s[36:37], exec, s[36:37]
	s_cbranch_execz .LBB84_45
; %bb.44:                               ;   in Loop: Header=BB84_23 Depth=2
	s_ashr_i32 s38, s0, 31
	s_add_u32 s40, s58, s38
	s_mov_b32 s39, s38
	s_addc_u32 s41, s0, s38
	s_xor_b64 s[40:41], s[40:41], s[38:39]
	v_cvt_f32_u32_e32 v3, s40
	v_cvt_f32_u32_e32 v5, s41
	s_sub_u32 s16, 0, s40
	s_subb_u32 s31, 0, s41
	v_mac_f32_e32 v3, 0x4f800000, v5
	v_rcp_f32_e32 v3, v3
	v_mul_f32_e32 v3, 0x5f7ffffc, v3
	v_mul_f32_e32 v5, 0x2f800000, v3
	v_trunc_f32_e32 v5, v5
	v_mac_f32_e32 v3, 0xcf800000, v5
	v_cvt_u32_f32_e32 v5, v5
	v_cvt_u32_f32_e32 v3, v3
	v_readfirstlane_b32 s39, v5
	v_readfirstlane_b32 s0, v3
	s_mul_i32 s1, s16, s39
	s_mul_hi_u32 s60, s16, s0
	s_mul_i32 s59, s31, s0
	s_add_i32 s1, s60, s1
	s_add_i32 s1, s1, s59
	s_mul_i32 s61, s16, s0
	s_mul_i32 s60, s0, s1
	s_mul_hi_u32 s62, s0, s61
	s_mul_hi_u32 s59, s0, s1
	s_add_u32 s60, s62, s60
	s_addc_u32 s59, 0, s59
	s_mul_hi_u32 s63, s39, s61
	s_mul_i32 s61, s39, s61
	s_add_u32 s60, s60, s61
	s_mul_hi_u32 s62, s39, s1
	s_addc_u32 s59, s59, s63
	s_addc_u32 s60, s62, 0
	s_mul_i32 s1, s39, s1
	s_add_u32 s1, s59, s1
	s_addc_u32 s59, 0, s60
	s_add_u32 s60, s0, s1
	s_cselect_b64 s[0:1], -1, 0
	s_cmp_lg_u64 s[0:1], 0
	s_addc_u32 s39, s39, s59
	s_mul_i32 s0, s16, s39
	s_mul_hi_u32 s1, s16, s60
	s_add_i32 s0, s1, s0
	s_mul_i32 s31, s31, s60
	s_add_i32 s0, s0, s31
	s_mul_i32 s16, s16, s60
	s_mul_hi_u32 s31, s39, s16
	s_mul_i32 s59, s39, s16
	s_mul_i32 s62, s60, s0
	s_mul_hi_u32 s16, s60, s16
	s_mul_hi_u32 s61, s60, s0
	s_add_u32 s16, s16, s62
	s_addc_u32 s61, 0, s61
	s_add_u32 s16, s16, s59
	s_mul_hi_u32 s1, s39, s0
	s_addc_u32 s16, s61, s31
	s_addc_u32 s1, s1, 0
	s_mul_i32 s0, s39, s0
	s_add_u32 s0, s16, s0
	s_addc_u32 s16, 0, s1
	s_add_u32 s31, s60, s0
	s_cselect_b64 s[0:1], -1, 0
	v_ashrrev_i32_e32 v3, 31, v17
	s_cmp_lg_u64 s[0:1], 0
	v_add_co_u32_e32 v5, vcc, v16, v3
	s_addc_u32 s16, s39, s16
	v_xor_b32_e32 v5, v5, v3
	v_addc_co_u32_e32 v7, vcc, v17, v3, vcc
	v_mad_u64_u32 v[17:18], s[0:1], v5, s16, 0
	v_mul_hi_u32 v9, v5, s31
	v_xor_b32_e32 v7, v7, v3
	v_mad_u64_u32 v[19:20], s[0:1], v7, s16, 0
	v_add_co_u32_e32 v9, vcc, v9, v17
	v_addc_co_u32_e32 v11, vcc, 0, v18, vcc
	v_mad_u64_u32 v[17:18], s[0:1], v7, s31, 0
	v_xor_b32_e32 v3, s38, v3
	v_add_co_u32_e32 v9, vcc, v9, v17
	v_addc_co_u32_e32 v9, vcc, v11, v18, vcc
	v_addc_co_u32_e32 v11, vcc, 0, v20, vcc
	v_add_co_u32_e32 v9, vcc, v9, v19
	v_addc_co_u32_e32 v11, vcc, 0, v11, vcc
	v_mul_lo_u32 v13, s41, v9
	v_mul_lo_u32 v15, s40, v11
	v_mad_u64_u32 v[17:18], s[0:1], s40, v9, 0
	v_add3_u32 v13, v18, v15, v13
	v_sub_u32_e32 v15, v7, v13
	v_mov_b32_e32 v18, s41
	v_sub_co_u32_e32 v5, vcc, v5, v17
	v_subb_co_u32_e64 v15, s[0:1], v15, v18, vcc
	v_subrev_co_u32_e64 v17, s[0:1], s40, v5
	v_subbrev_co_u32_e64 v15, s[0:1], 0, v15, s[0:1]
	v_cmp_le_u32_e64 s[0:1], s41, v15
	v_cndmask_b32_e64 v18, 0, -1, s[0:1]
	v_cmp_le_u32_e64 s[0:1], s40, v17
	v_cndmask_b32_e64 v17, 0, -1, s[0:1]
	v_cmp_eq_u32_e64 s[0:1], s41, v15
	v_cndmask_b32_e64 v15, v18, v17, s[0:1]
	v_add_co_u32_e64 v17, s[0:1], 2, v9
	v_subb_co_u32_e32 v7, vcc, v7, v13, vcc
	v_addc_co_u32_e64 v18, s[0:1], 0, v11, s[0:1]
	v_cmp_le_u32_e32 vcc, s41, v7
	v_add_co_u32_e64 v19, s[0:1], 1, v9
	v_cndmask_b32_e64 v13, 0, -1, vcc
	v_cmp_le_u32_e32 vcc, s40, v5
	v_addc_co_u32_e64 v20, s[0:1], 0, v11, s[0:1]
	v_cndmask_b32_e64 v5, 0, -1, vcc
	v_cmp_eq_u32_e32 vcc, s41, v7
	v_cmp_ne_u32_e64 s[0:1], 0, v15
	v_cndmask_b32_e32 v5, v13, v5, vcc
	v_cmp_ne_u32_e32 vcc, 0, v5
	v_cndmask_b32_e64 v7, v19, v17, s[0:1]
	v_cndmask_b32_e64 v15, v20, v18, s[0:1]
	v_cndmask_b32_e32 v7, v9, v7, vcc
	v_cndmask_b32_e32 v5, v11, v15, vcc
	v_xor_b32_e32 v7, v7, v3
	v_xor_b32_e32 v5, v5, v3
	v_sub_co_u32_e32 v18, vcc, v7, v3
	v_subb_co_u32_e32 v19, vcc, v5, v3, vcc
.LBB84_45:                              ;   in Loop: Header=BB84_23 Depth=2
	s_andn2_saveexec_b64 s[0:1], s[36:37]
	s_cbranch_execz .LBB84_47
; %bb.46:                               ;   in Loop: Header=BB84_23 Depth=2
	v_cvt_f32_u32_e32 v3, s58
	s_sub_i32 s16, 0, s58
	v_mov_b32_e32 v19, v2
	v_rcp_iflag_f32_e32 v3, v3
	v_mul_f32_e32 v3, 0x4f7ffffe, v3
	v_cvt_u32_f32_e32 v3, v3
	v_mul_lo_u32 v5, s16, v3
	v_mul_hi_u32 v5, v3, v5
	v_add_u32_e32 v3, v3, v5
	v_mul_hi_u32 v3, v16, v3
	v_mul_lo_u32 v5, v3, s58
	v_add_u32_e32 v7, 1, v3
	v_sub_u32_e32 v5, v16, v5
	v_subrev_u32_e32 v9, s58, v5
	v_cmp_le_u32_e32 vcc, s58, v5
	v_cndmask_b32_e32 v5, v5, v9, vcc
	v_cndmask_b32_e32 v3, v3, v7, vcc
	v_add_u32_e32 v7, 1, v3
	v_cmp_le_u32_e32 vcc, s58, v5
	v_cndmask_b32_e32 v18, v3, v7, vcc
.LBB84_47:                              ;   in Loop: Header=BB84_23 Depth=2
	s_or_b64 exec, exec, s[0:1]
	s_add_u32 s0, s4, s34
	s_addc_u32 s1, s5, s35
	s_add_i32 s16, s30, 1
	s_lshl_b64 s[34:35], s[16:17], 2
	s_add_u32 s36, s42, s34
	s_addc_u32 s37, s43, s35
	s_load_dword s59, s[36:37], 0x8
	s_load_dword s16, s[0:1], 0x6c
                                        ; implicit-def: $vgpr20_vgpr21
	s_waitcnt lgkmcnt(0)
	s_ashr_i32 s0, s59, 31
	v_or_b32_e32 v3, s0, v19
	v_cmp_ne_u64_e32 vcc, 0, v[2:3]
	s_and_saveexec_b64 s[36:37], vcc
	s_xor_b64 s[36:37], exec, s[36:37]
	s_cbranch_execz .LBB84_49
; %bb.48:                               ;   in Loop: Header=BB84_23 Depth=2
	s_ashr_i32 s38, s0, 31
	s_add_u32 s40, s59, s38
	s_mov_b32 s39, s38
	s_addc_u32 s41, s0, s38
	s_xor_b64 s[40:41], s[40:41], s[38:39]
	v_cvt_f32_u32_e32 v3, s40
	v_cvt_f32_u32_e32 v5, s41
	s_sub_u32 s31, 0, s40
	s_subb_u32 s39, 0, s41
	v_mov_b32_e32 v17, s41
	v_mac_f32_e32 v3, 0x4f800000, v5
	v_rcp_f32_e32 v3, v3
	v_mul_f32_e32 v3, 0x5f7ffffc, v3
	v_mul_f32_e32 v5, 0x2f800000, v3
	v_trunc_f32_e32 v5, v5
	v_mac_f32_e32 v3, 0xcf800000, v5
	v_cvt_u32_f32_e32 v5, v5
	v_cvt_u32_f32_e32 v3, v3
	v_readfirstlane_b32 s60, v5
	v_readfirstlane_b32 s0, v3
	s_mul_i32 s1, s31, s60
	s_mul_hi_u32 s62, s31, s0
	s_mul_i32 s61, s39, s0
	s_add_i32 s1, s62, s1
	s_add_i32 s1, s1, s61
	s_mul_i32 s63, s31, s0
	s_mul_i32 s62, s0, s1
	s_mul_hi_u32 s64, s0, s63
	s_mul_hi_u32 s61, s0, s1
	s_add_u32 s62, s64, s62
	s_addc_u32 s61, 0, s61
	s_mul_hi_u32 s65, s60, s63
	s_mul_i32 s63, s60, s63
	s_add_u32 s62, s62, s63
	s_mul_hi_u32 s64, s60, s1
	s_addc_u32 s61, s61, s65
	s_addc_u32 s62, s64, 0
	s_mul_i32 s1, s60, s1
	s_add_u32 s1, s61, s1
	s_addc_u32 s61, 0, s62
	s_add_u32 s62, s0, s1
	s_cselect_b64 s[0:1], -1, 0
	s_cmp_lg_u64 s[0:1], 0
	s_addc_u32 s60, s60, s61
	s_mul_i32 s0, s31, s60
	s_mul_hi_u32 s1, s31, s62
	s_add_i32 s0, s1, s0
	s_mul_i32 s39, s39, s62
	s_add_i32 s0, s0, s39
	s_mul_i32 s31, s31, s62
	s_mul_hi_u32 s39, s60, s31
	s_mul_i32 s61, s60, s31
	s_mul_i32 s64, s62, s0
	s_mul_hi_u32 s31, s62, s31
	s_mul_hi_u32 s63, s62, s0
	s_add_u32 s31, s31, s64
	s_addc_u32 s63, 0, s63
	s_add_u32 s31, s31, s61
	s_mul_hi_u32 s1, s60, s0
	s_addc_u32 s31, s63, s39
	s_addc_u32 s1, s1, 0
	s_mul_i32 s0, s60, s0
	s_add_u32 s0, s31, s0
	s_addc_u32 s31, 0, s1
	s_add_u32 s39, s62, s0
	s_cselect_b64 s[0:1], -1, 0
	v_ashrrev_i32_e32 v3, 31, v19
	s_cmp_lg_u64 s[0:1], 0
	v_add_co_u32_e32 v5, vcc, v18, v3
	s_addc_u32 s31, s60, s31
	v_xor_b32_e32 v5, v5, v3
	v_addc_co_u32_e32 v7, vcc, v19, v3, vcc
	v_mad_u64_u32 v[19:20], s[0:1], v5, s31, 0
	v_mul_hi_u32 v9, v5, s39
	v_xor_b32_e32 v7, v7, v3
	v_mad_u64_u32 v[21:22], s[0:1], v7, s31, 0
	v_add_co_u32_e32 v9, vcc, v9, v19
	v_addc_co_u32_e32 v11, vcc, 0, v20, vcc
	v_mad_u64_u32 v[19:20], s[0:1], v7, s39, 0
	v_xor_b32_e32 v3, s38, v3
	v_add_co_u32_e32 v9, vcc, v9, v19
	v_addc_co_u32_e32 v9, vcc, v11, v20, vcc
	v_addc_co_u32_e32 v11, vcc, 0, v22, vcc
	v_add_co_u32_e32 v9, vcc, v9, v21
	v_addc_co_u32_e32 v11, vcc, 0, v11, vcc
	v_mul_lo_u32 v13, s41, v9
	v_mul_lo_u32 v15, s40, v11
	v_mad_u64_u32 v[19:20], s[0:1], s40, v9, 0
	v_add3_u32 v13, v20, v15, v13
	v_sub_u32_e32 v15, v7, v13
	v_sub_co_u32_e32 v5, vcc, v5, v19
	v_subb_co_u32_e64 v15, s[0:1], v15, v17, vcc
	v_subrev_co_u32_e64 v17, s[0:1], s40, v5
	v_subbrev_co_u32_e64 v15, s[0:1], 0, v15, s[0:1]
	v_cmp_le_u32_e64 s[0:1], s41, v15
	v_cndmask_b32_e64 v19, 0, -1, s[0:1]
	v_cmp_le_u32_e64 s[0:1], s40, v17
	v_cndmask_b32_e64 v17, 0, -1, s[0:1]
	v_cmp_eq_u32_e64 s[0:1], s41, v15
	v_cndmask_b32_e64 v15, v19, v17, s[0:1]
	v_add_co_u32_e64 v17, s[0:1], 2, v9
	v_subb_co_u32_e32 v7, vcc, v7, v13, vcc
	v_addc_co_u32_e64 v19, s[0:1], 0, v11, s[0:1]
	v_cmp_le_u32_e32 vcc, s41, v7
	v_add_co_u32_e64 v20, s[0:1], 1, v9
	v_cndmask_b32_e64 v13, 0, -1, vcc
	v_cmp_le_u32_e32 vcc, s40, v5
	v_addc_co_u32_e64 v21, s[0:1], 0, v11, s[0:1]
	v_cndmask_b32_e64 v5, 0, -1, vcc
	v_cmp_eq_u32_e32 vcc, s41, v7
	v_cmp_ne_u32_e64 s[0:1], 0, v15
	v_cndmask_b32_e32 v5, v13, v5, vcc
	v_cmp_ne_u32_e32 vcc, 0, v5
	v_cndmask_b32_e64 v7, v20, v17, s[0:1]
	v_cndmask_b32_e64 v15, v21, v19, s[0:1]
	v_cndmask_b32_e32 v7, v9, v7, vcc
	v_cndmask_b32_e32 v5, v11, v15, vcc
	v_xor_b32_e32 v7, v7, v3
	v_xor_b32_e32 v5, v5, v3
	v_sub_co_u32_e32 v20, vcc, v7, v3
	v_subb_co_u32_e32 v21, vcc, v5, v3, vcc
.LBB84_49:                              ;   in Loop: Header=BB84_23 Depth=2
	s_andn2_saveexec_b64 s[0:1], s[36:37]
	s_cbranch_execz .LBB84_51
; %bb.50:                               ;   in Loop: Header=BB84_23 Depth=2
	v_cvt_f32_u32_e32 v3, s59
	s_sub_i32 s31, 0, s59
	v_mov_b32_e32 v21, v2
	v_rcp_iflag_f32_e32 v3, v3
	v_mul_f32_e32 v3, 0x4f7ffffe, v3
	v_cvt_u32_f32_e32 v3, v3
	v_mul_lo_u32 v5, s31, v3
	v_mul_hi_u32 v5, v3, v5
	v_add_u32_e32 v3, v3, v5
	v_mul_hi_u32 v3, v18, v3
	v_mul_lo_u32 v5, v3, s59
	v_add_u32_e32 v7, 1, v3
	v_sub_u32_e32 v5, v18, v5
	v_subrev_u32_e32 v9, s59, v5
	v_cmp_le_u32_e32 vcc, s59, v5
	v_cndmask_b32_e32 v5, v5, v9, vcc
	v_cndmask_b32_e32 v3, v3, v7, vcc
	v_add_u32_e32 v7, 1, v3
	v_cmp_le_u32_e32 vcc, s59, v5
	v_cndmask_b32_e32 v20, v3, v7, vcc
.LBB84_51:                              ;   in Loop: Header=BB84_23 Depth=2
	s_or_b64 exec, exec, s[0:1]
	s_add_u32 s0, s4, s34
	s_mov_b32 s31, s17
	s_addc_u32 s1, s5, s35
	s_lshl_b64 s[34:35], s[30:31], 2
	s_add_u32 s36, s42, s34
	s_addc_u32 s37, s43, s35
	s_load_dword s60, s[36:37], 0x8
	s_load_dword s31, s[0:1], 0x6c
                                        ; implicit-def: $vgpr22_vgpr23
	s_waitcnt lgkmcnt(0)
	s_ashr_i32 s0, s60, 31
	v_or_b32_e32 v3, s0, v21
	v_cmp_ne_u64_e32 vcc, 0, v[2:3]
	s_and_saveexec_b64 s[36:37], vcc
	s_xor_b64 s[36:37], exec, s[36:37]
	s_cbranch_execz .LBB84_53
; %bb.52:                               ;   in Loop: Header=BB84_23 Depth=2
	s_ashr_i32 s38, s0, 31
	s_add_u32 s40, s60, s38
	s_mov_b32 s39, s38
	s_addc_u32 s41, s0, s38
	s_xor_b64 s[40:41], s[40:41], s[38:39]
	v_cvt_f32_u32_e32 v3, s40
	v_cvt_f32_u32_e32 v5, s41
	s_sub_u32 s39, 0, s40
	s_subb_u32 s61, 0, s41
	v_mov_b32_e32 v17, s41
	v_mac_f32_e32 v3, 0x4f800000, v5
	v_rcp_f32_e32 v3, v3
	v_mul_f32_e32 v3, 0x5f7ffffc, v3
	v_mul_f32_e32 v5, 0x2f800000, v3
	v_trunc_f32_e32 v5, v5
	v_mac_f32_e32 v3, 0xcf800000, v5
	v_cvt_u32_f32_e32 v5, v5
	v_cvt_u32_f32_e32 v3, v3
	v_readfirstlane_b32 s62, v5
	v_readfirstlane_b32 s0, v3
	s_mul_i32 s1, s39, s62
	s_mul_hi_u32 s64, s39, s0
	s_mul_i32 s63, s61, s0
	s_add_i32 s1, s64, s1
	s_add_i32 s1, s1, s63
	s_mul_i32 s65, s39, s0
	s_mul_i32 s64, s0, s1
	s_mul_hi_u32 s66, s0, s65
	s_mul_hi_u32 s63, s0, s1
	s_add_u32 s64, s66, s64
	s_addc_u32 s63, 0, s63
	s_mul_hi_u32 s67, s62, s65
	s_mul_i32 s65, s62, s65
	s_add_u32 s64, s64, s65
	s_mul_hi_u32 s66, s62, s1
	s_addc_u32 s63, s63, s67
	s_addc_u32 s64, s66, 0
	s_mul_i32 s1, s62, s1
	s_add_u32 s1, s63, s1
	s_addc_u32 s63, 0, s64
	s_add_u32 s64, s0, s1
	s_cselect_b64 s[0:1], -1, 0
	s_cmp_lg_u64 s[0:1], 0
	s_addc_u32 s62, s62, s63
	s_mul_i32 s0, s39, s62
	s_mul_hi_u32 s1, s39, s64
	s_add_i32 s0, s1, s0
	s_mul_i32 s61, s61, s64
	s_add_i32 s0, s0, s61
	s_mul_i32 s39, s39, s64
	s_mul_hi_u32 s61, s62, s39
	s_mul_i32 s63, s62, s39
	s_mul_i32 s66, s64, s0
	s_mul_hi_u32 s39, s64, s39
	s_mul_hi_u32 s65, s64, s0
	s_add_u32 s39, s39, s66
	s_addc_u32 s65, 0, s65
	s_add_u32 s39, s39, s63
	s_mul_hi_u32 s1, s62, s0
	s_addc_u32 s39, s65, s61
	s_addc_u32 s1, s1, 0
	s_mul_i32 s0, s62, s0
	s_add_u32 s0, s39, s0
	s_addc_u32 s39, 0, s1
	s_add_u32 s61, s64, s0
	s_cselect_b64 s[0:1], -1, 0
	v_ashrrev_i32_e32 v3, 31, v21
	s_cmp_lg_u64 s[0:1], 0
	v_add_co_u32_e32 v5, vcc, v20, v3
	s_addc_u32 s39, s62, s39
	v_xor_b32_e32 v5, v5, v3
	v_addc_co_u32_e32 v7, vcc, v21, v3, vcc
	v_mad_u64_u32 v[21:22], s[0:1], v5, s39, 0
	v_mul_hi_u32 v9, v5, s61
	v_xor_b32_e32 v7, v7, v3
	v_mad_u64_u32 v[26:27], s[0:1], v7, s39, 0
	v_add_co_u32_e32 v9, vcc, v9, v21
	v_addc_co_u32_e32 v11, vcc, 0, v22, vcc
	v_mad_u64_u32 v[21:22], s[0:1], v7, s61, 0
	v_xor_b32_e32 v3, s38, v3
	v_add_co_u32_e32 v9, vcc, v9, v21
	v_addc_co_u32_e32 v9, vcc, v11, v22, vcc
	v_addc_co_u32_e32 v11, vcc, 0, v27, vcc
	v_add_co_u32_e32 v9, vcc, v9, v26
	v_addc_co_u32_e32 v11, vcc, 0, v11, vcc
	v_mul_lo_u32 v13, s41, v9
	v_mul_lo_u32 v15, s40, v11
	v_mad_u64_u32 v[21:22], s[0:1], s40, v9, 0
	v_add3_u32 v13, v22, v15, v13
	v_sub_u32_e32 v15, v7, v13
	v_sub_co_u32_e32 v5, vcc, v5, v21
	v_subb_co_u32_e64 v15, s[0:1], v15, v17, vcc
	v_subrev_co_u32_e64 v17, s[0:1], s40, v5
	v_subbrev_co_u32_e64 v15, s[0:1], 0, v15, s[0:1]
	v_cmp_le_u32_e64 s[0:1], s41, v15
	v_cndmask_b32_e64 v19, 0, -1, s[0:1]
	v_cmp_le_u32_e64 s[0:1], s40, v17
	v_cndmask_b32_e64 v17, 0, -1, s[0:1]
	v_cmp_eq_u32_e64 s[0:1], s41, v15
	v_cndmask_b32_e64 v15, v19, v17, s[0:1]
	v_add_co_u32_e64 v17, s[0:1], 2, v9
	v_subb_co_u32_e32 v7, vcc, v7, v13, vcc
	v_addc_co_u32_e64 v19, s[0:1], 0, v11, s[0:1]
	v_cmp_le_u32_e32 vcc, s41, v7
	v_add_co_u32_e64 v21, s[0:1], 1, v9
	v_cndmask_b32_e64 v13, 0, -1, vcc
	v_cmp_le_u32_e32 vcc, s40, v5
	v_addc_co_u32_e64 v22, s[0:1], 0, v11, s[0:1]
	v_cndmask_b32_e64 v5, 0, -1, vcc
	v_cmp_eq_u32_e32 vcc, s41, v7
	v_cmp_ne_u32_e64 s[0:1], 0, v15
	v_cndmask_b32_e32 v5, v13, v5, vcc
	v_cmp_ne_u32_e32 vcc, 0, v5
	v_cndmask_b32_e64 v7, v21, v17, s[0:1]
	v_cndmask_b32_e64 v15, v22, v19, s[0:1]
	v_cndmask_b32_e32 v7, v9, v7, vcc
	v_cndmask_b32_e32 v5, v11, v15, vcc
	v_xor_b32_e32 v7, v7, v3
	v_xor_b32_e32 v5, v5, v3
	v_sub_co_u32_e32 v22, vcc, v7, v3
	v_subb_co_u32_e32 v23, vcc, v5, v3, vcc
.LBB84_53:                              ;   in Loop: Header=BB84_23 Depth=2
	s_andn2_saveexec_b64 s[0:1], s[36:37]
	s_cbranch_execz .LBB84_55
; %bb.54:                               ;   in Loop: Header=BB84_23 Depth=2
	v_cvt_f32_u32_e32 v3, s60
	s_sub_i32 s36, 0, s60
	v_mov_b32_e32 v23, v2
	v_rcp_iflag_f32_e32 v3, v3
	v_mul_f32_e32 v3, 0x4f7ffffe, v3
	v_cvt_u32_f32_e32 v3, v3
	v_mul_lo_u32 v5, s36, v3
	v_mul_hi_u32 v5, v3, v5
	v_add_u32_e32 v3, v3, v5
	v_mul_hi_u32 v3, v20, v3
	v_mul_lo_u32 v5, v3, s60
	v_add_u32_e32 v7, 1, v3
	v_sub_u32_e32 v5, v20, v5
	v_subrev_u32_e32 v9, s60, v5
	v_cmp_le_u32_e32 vcc, s60, v5
	v_cndmask_b32_e32 v5, v5, v9, vcc
	v_cndmask_b32_e32 v3, v3, v7, vcc
	v_add_u32_e32 v7, 1, v3
	v_cmp_le_u32_e32 vcc, s60, v5
	v_cndmask_b32_e32 v22, v3, v7, vcc
.LBB84_55:                              ;   in Loop: Header=BB84_23 Depth=2
	s_or_b64 exec, exec, s[0:1]
	v_mul_lo_u32 v3, v8, s25
	v_mul_lo_u32 v5, v10, s50
	;; [unrolled: 1-line block ×3, first 2 shown]
	s_add_u32 s0, s4, s34
	v_sub_u32_e32 v3, v6, v3
	v_mul_lo_u32 v6, v14, s54
	v_sub_u32_e32 v5, v8, v5
	v_mul_lo_u32 v3, s28, v3
	v_mul_lo_u32 v5, s51, v5
	v_sub_u32_e32 v7, v10, v7
	v_sub_u32_e32 v6, v12, v6
	v_mul_lo_u32 v7, s53, v7
	v_mul_lo_u32 v6, s56, v6
	;; [unrolled: 1-line block ×3, first 2 shown]
	v_add3_u32 v3, v3, v4, v5
	v_mul_lo_u32 v4, v18, s58
	s_addc_u32 s1, s5, s35
	v_add3_u32 v3, v7, v3, v6
	v_mul_lo_u32 v6, v20, s59
	v_mul_lo_u32 v7, v22, s60
	s_load_dword s0, s[0:1], 0x6c
	v_sub_u32_e32 v5, v14, v8
	v_sub_u32_e32 v4, v16, v4
	v_mul_lo_u32 v5, s57, v5
	v_mul_lo_u32 v4, s16, v4
	v_sub_u32_e32 v6, v18, v6
	v_sub_u32_e32 v7, v20, v7
	v_mul_lo_u32 v6, s31, v6
	s_waitcnt lgkmcnt(0)
	v_mul_lo_u32 v7, s0, v7
	v_add3_u32 v3, v5, v3, v4
	s_add_i32 s30, s30, -8
	s_cmp_eq_u32 s30, -8
	v_add3_u32 v4, v6, v3, v7
	s_cbranch_scc1 .LBB84_57
; %bb.56:                               ;   in Loop: Header=BB84_23 Depth=2
	v_mov_b32_e32 v6, v22
	v_mov_b32_e32 v7, v23
	s_branch .LBB84_23
.LBB84_57:                              ;   in Loop: Header=BB84_3 Depth=1
	s_load_dword s0, s[2:3], 0x4
	s_waitcnt lgkmcnt(0)
	v_cmp_gt_i32_e32 vcc, s0, v25
	s_and_b64 exec, exec, vcc
	s_cbranch_execz .LBB84_2
; %bb.58:                               ;   in Loop: Header=BB84_3 Depth=1
	v_ashrrev_i32_e32 v5, 31, v4
	v_lshlrev_b64 v[5:6], 3, v[4:5]
	v_mov_b32_e32 v3, s13
	v_add_co_u32_e32 v5, vcc, s12, v5
	v_addc_co_u32_e32 v6, vcc, v3, v6, vcc
	v_mov_b32_e32 v3, v2
	global_store_dwordx2 v[5:6], v[2:3], off
	v_add_u32_e32 v3, 1, v25
	v_cmp_gt_i32_e32 vcc, s0, v3
	s_and_b64 exec, exec, vcc
	s_cbranch_execz .LBB84_2
; %bb.59:                               ;   in Loop: Header=BB84_3 Depth=1
	v_sub_u32_e32 v5, v3, v24
	v_ashrrev_i32_e32 v6, 31, v5
	v_cmp_gt_i64_e32 vcc, s[8:9], v[5:6]
	s_and_b64 exec, exec, vcc
	s_cbranch_execz .LBB84_2
; %bb.60:                               ;   in Loop: Header=BB84_3 Depth=1
	v_add_u32_e32 v3, s29, v4
	v_ashrrev_i32_e32 v4, 31, v3
	v_lshlrev_b64 v[3:4], 3, v[3:4]
	v_mov_b32_e32 v6, s13
	v_add_co_u32_e32 v5, vcc, s12, v3
	v_addc_co_u32_e32 v6, vcc, v6, v4, vcc
	v_mov_b32_e32 v3, v2
	global_store_dwordx2 v[5:6], v[2:3], off
	s_branch .LBB84_2
.LBB84_61:
	s_endpgm
	.section	.rodata,"a",@progbits
	.p2align	6, 0x0
	.amdhsa_kernel _ZN2at6native16triu_tril_kernelIN3c107complexIfEEiLb1ELi2ELb1EEEvNS_4cuda6detail10TensorInfoIT_T0_EENS7_IKS8_S9_EEllS9_
		.amdhsa_group_segment_fixed_size 0
		.amdhsa_private_segment_fixed_size 0
		.amdhsa_kernarg_size 712
		.amdhsa_user_sgpr_count 6
		.amdhsa_user_sgpr_private_segment_buffer 1
		.amdhsa_user_sgpr_dispatch_ptr 0
		.amdhsa_user_sgpr_queue_ptr 0
		.amdhsa_user_sgpr_kernarg_segment_ptr 1
		.amdhsa_user_sgpr_dispatch_id 0
		.amdhsa_user_sgpr_flat_scratch_init 0
		.amdhsa_user_sgpr_private_segment_size 0
		.amdhsa_uses_dynamic_stack 0
		.amdhsa_system_sgpr_private_segment_wavefront_offset 0
		.amdhsa_system_sgpr_workgroup_id_x 1
		.amdhsa_system_sgpr_workgroup_id_y 0
		.amdhsa_system_sgpr_workgroup_id_z 0
		.amdhsa_system_sgpr_workgroup_info 0
		.amdhsa_system_vgpr_workitem_id 0
		.amdhsa_next_free_vgpr 28
		.amdhsa_next_free_sgpr 68
		.amdhsa_reserve_vcc 1
		.amdhsa_reserve_flat_scratch 0
		.amdhsa_float_round_mode_32 0
		.amdhsa_float_round_mode_16_64 0
		.amdhsa_float_denorm_mode_32 3
		.amdhsa_float_denorm_mode_16_64 3
		.amdhsa_dx10_clamp 1
		.amdhsa_ieee_mode 1
		.amdhsa_fp16_overflow 0
		.amdhsa_exception_fp_ieee_invalid_op 0
		.amdhsa_exception_fp_denorm_src 0
		.amdhsa_exception_fp_ieee_div_zero 0
		.amdhsa_exception_fp_ieee_overflow 0
		.amdhsa_exception_fp_ieee_underflow 0
		.amdhsa_exception_fp_ieee_inexact 0
		.amdhsa_exception_int_div_zero 0
	.end_amdhsa_kernel
	.section	.text._ZN2at6native16triu_tril_kernelIN3c107complexIfEEiLb1ELi2ELb1EEEvNS_4cuda6detail10TensorInfoIT_T0_EENS7_IKS8_S9_EEllS9_,"axG",@progbits,_ZN2at6native16triu_tril_kernelIN3c107complexIfEEiLb1ELi2ELb1EEEvNS_4cuda6detail10TensorInfoIT_T0_EENS7_IKS8_S9_EEllS9_,comdat
.Lfunc_end84:
	.size	_ZN2at6native16triu_tril_kernelIN3c107complexIfEEiLb1ELi2ELb1EEEvNS_4cuda6detail10TensorInfoIT_T0_EENS7_IKS8_S9_EEllS9_, .Lfunc_end84-_ZN2at6native16triu_tril_kernelIN3c107complexIfEEiLb1ELi2ELb1EEEvNS_4cuda6detail10TensorInfoIT_T0_EENS7_IKS8_S9_EEllS9_
                                        ; -- End function
	.set _ZN2at6native16triu_tril_kernelIN3c107complexIfEEiLb1ELi2ELb1EEEvNS_4cuda6detail10TensorInfoIT_T0_EENS7_IKS8_S9_EEllS9_.num_vgpr, 28
	.set _ZN2at6native16triu_tril_kernelIN3c107complexIfEEiLb1ELi2ELb1EEEvNS_4cuda6detail10TensorInfoIT_T0_EENS7_IKS8_S9_EEllS9_.num_agpr, 0
	.set _ZN2at6native16triu_tril_kernelIN3c107complexIfEEiLb1ELi2ELb1EEEvNS_4cuda6detail10TensorInfoIT_T0_EENS7_IKS8_S9_EEllS9_.numbered_sgpr, 68
	.set _ZN2at6native16triu_tril_kernelIN3c107complexIfEEiLb1ELi2ELb1EEEvNS_4cuda6detail10TensorInfoIT_T0_EENS7_IKS8_S9_EEllS9_.num_named_barrier, 0
	.set _ZN2at6native16triu_tril_kernelIN3c107complexIfEEiLb1ELi2ELb1EEEvNS_4cuda6detail10TensorInfoIT_T0_EENS7_IKS8_S9_EEllS9_.private_seg_size, 0
	.set _ZN2at6native16triu_tril_kernelIN3c107complexIfEEiLb1ELi2ELb1EEEvNS_4cuda6detail10TensorInfoIT_T0_EENS7_IKS8_S9_EEllS9_.uses_vcc, 1
	.set _ZN2at6native16triu_tril_kernelIN3c107complexIfEEiLb1ELi2ELb1EEEvNS_4cuda6detail10TensorInfoIT_T0_EENS7_IKS8_S9_EEllS9_.uses_flat_scratch, 0
	.set _ZN2at6native16triu_tril_kernelIN3c107complexIfEEiLb1ELi2ELb1EEEvNS_4cuda6detail10TensorInfoIT_T0_EENS7_IKS8_S9_EEllS9_.has_dyn_sized_stack, 0
	.set _ZN2at6native16triu_tril_kernelIN3c107complexIfEEiLb1ELi2ELb1EEEvNS_4cuda6detail10TensorInfoIT_T0_EENS7_IKS8_S9_EEllS9_.has_recursion, 0
	.set _ZN2at6native16triu_tril_kernelIN3c107complexIfEEiLb1ELi2ELb1EEEvNS_4cuda6detail10TensorInfoIT_T0_EENS7_IKS8_S9_EEllS9_.has_indirect_call, 0
	.section	.AMDGPU.csdata,"",@progbits
; Kernel info:
; codeLenInByte = 9324
; TotalNumSgprs: 72
; NumVgprs: 28
; ScratchSize: 0
; MemoryBound: 0
; FloatMode: 240
; IeeeMode: 1
; LDSByteSize: 0 bytes/workgroup (compile time only)
; SGPRBlocks: 8
; VGPRBlocks: 6
; NumSGPRsForWavesPerEU: 72
; NumVGPRsForWavesPerEU: 28
; Occupancy: 9
; WaveLimiterHint : 0
; COMPUTE_PGM_RSRC2:SCRATCH_EN: 0
; COMPUTE_PGM_RSRC2:USER_SGPR: 6
; COMPUTE_PGM_RSRC2:TRAP_HANDLER: 0
; COMPUTE_PGM_RSRC2:TGID_X_EN: 1
; COMPUTE_PGM_RSRC2:TGID_Y_EN: 0
; COMPUTE_PGM_RSRC2:TGID_Z_EN: 0
; COMPUTE_PGM_RSRC2:TIDIG_COMP_CNT: 0
	.section	.text._ZN2at6native16triu_tril_kernelIN3c107complexIfEEiLb1ELi2ELb0EEEvNS_4cuda6detail10TensorInfoIT_T0_EENS7_IKS8_S9_EEllS9_,"axG",@progbits,_ZN2at6native16triu_tril_kernelIN3c107complexIfEEiLb1ELi2ELb0EEEvNS_4cuda6detail10TensorInfoIT_T0_EENS7_IKS8_S9_EEllS9_,comdat
	.protected	_ZN2at6native16triu_tril_kernelIN3c107complexIfEEiLb1ELi2ELb0EEEvNS_4cuda6detail10TensorInfoIT_T0_EENS7_IKS8_S9_EEllS9_ ; -- Begin function _ZN2at6native16triu_tril_kernelIN3c107complexIfEEiLb1ELi2ELb0EEEvNS_4cuda6detail10TensorInfoIT_T0_EENS7_IKS8_S9_EEllS9_
	.globl	_ZN2at6native16triu_tril_kernelIN3c107complexIfEEiLb1ELi2ELb0EEEvNS_4cuda6detail10TensorInfoIT_T0_EENS7_IKS8_S9_EEllS9_
	.p2align	8
	.type	_ZN2at6native16triu_tril_kernelIN3c107complexIfEEiLb1ELi2ELb0EEEvNS_4cuda6detail10TensorInfoIT_T0_EENS7_IKS8_S9_EEllS9_,@function
_ZN2at6native16triu_tril_kernelIN3c107complexIfEEiLb1ELi2ELb0EEEvNS_4cuda6detail10TensorInfoIT_T0_EENS7_IKS8_S9_EEllS9_: ; @_ZN2at6native16triu_tril_kernelIN3c107complexIfEEiLb1ELi2ELb0EEEvNS_4cuda6detail10TensorInfoIT_T0_EENS7_IKS8_S9_EEllS9_
; %bb.0:
	s_load_dword s2, s[4:5], 0x1d4
	s_load_dwordx4 s[8:11], s[4:5], 0x1b0
	s_add_u32 s0, s4, 0x1c8
	v_mov_b32_e32 v2, 0
	s_addc_u32 s1, s5, 0
	s_waitcnt lgkmcnt(0)
	s_and_b32 s12, s2, 0xffff
	v_mov_b32_e32 v1, v2
	v_mov_b32_e32 v3, s6
	v_mad_u64_u32 v[0:1], s[2:3], s12, v3, v[0:1]
	v_lshlrev_b64 v[0:1], 1, v[0:1]
	v_cmp_gt_i64_e32 vcc, s[10:11], v[0:1]
	s_and_saveexec_b64 s[2:3], vcc
	s_cbranch_execz .LBB85_48
; %bb.1:
	s_load_dword s33, s[4:5], 0x1c0
	s_load_dwordx2 s[2:3], s[4:5], 0xd8
	s_load_dwordx2 s[18:19], s[4:5], 0x0
	s_load_dword s20, s[4:5], 0x1a8
	s_load_dword s13, s[0:1], 0x0
	s_add_u32 s46, s4, 0xd8
	s_addc_u32 s47, s5, 0
	s_waitcnt lgkmcnt(0)
	s_ashr_i32 s48, s33, 31
	s_ashr_i32 s21, s20, 31
	s_lshl_b64 s[0:1], s[20:21], 2
	s_add_u32 s16, s46, s0
	s_addc_u32 s17, s47, s1
	s_load_dwordx2 s[6:7], s[16:17], 0x0
	s_load_dwordx2 s[14:15], s[16:17], 0x64
	s_mul_i32 s22, s13, s12
	v_cmp_gt_i64_e64 s[12:13], s[20:21], 2
	s_mov_b32 s21, 0
	s_waitcnt lgkmcnt(0)
	s_ashr_i32 s49, s6, 31
	s_add_u32 s0, s4, s0
	s_addc_u32 s1, s5, s1
	s_load_dwordx2 s[16:17], s[0:1], 0x64
	s_add_i32 s50, s20, -3
	s_lshl_b32 s51, s22, 1
	s_and_b32 s52, s20, 3
	s_cmp_lg_u32 s52, 2
	s_cselect_b64 s[22:23], -1, 0
	s_cmp_gt_u32 s50, 2
	s_cselect_b64 s[24:25], -1, 0
	s_ashr_i32 s27, s15, 31
	s_mov_b32 s26, s15
	s_waitcnt lgkmcnt(0)
	s_ashr_i32 s29, s17, 31
	s_mov_b32 s28, s17
	s_mov_b64 s[30:31], 0
	s_ashr_i32 s34, s48, 31
	s_branch .LBB85_3
.LBB85_2:                               ;   in Loop: Header=BB85_3 Depth=1
	s_or_b64 exec, exec, s[0:1]
	v_add_co_u32_e32 v0, vcc, s51, v0
	v_addc_co_u32_e32 v1, vcc, 0, v1, vcc
	v_cmp_le_i64_e32 vcc, s[10:11], v[0:1]
	s_or_b64 s[30:31], vcc, s[30:31]
	s_andn2_b64 exec, exec, s[30:31]
	s_cbranch_execz .LBB85_48
.LBB85_3:                               ; =>This Loop Header: Depth=1
                                        ;     Child Loop BB85_13 Depth 2
                                        ;     Child Loop BB85_21 Depth 2
	v_or_b32_e32 v3, s48, v1
	v_cmp_ne_u64_e32 vcc, 0, v[2:3]
                                        ; implicit-def: $vgpr4_vgpr5
	s_and_saveexec_b64 s[0:1], vcc
	s_xor_b64 s[36:37], exec, s[0:1]
	s_cbranch_execz .LBB85_5
; %bb.4:                                ;   in Loop: Header=BB85_3 Depth=1
	s_add_u32 s0, s33, s34
	s_mov_b32 s35, s34
	s_addc_u32 s1, s48, s34
	s_xor_b64 s[38:39], s[0:1], s[34:35]
	v_cvt_f32_u32_e32 v3, s38
	v_cvt_f32_u32_e32 v4, s39
	s_sub_u32 s15, 0, s38
	s_subb_u32 s17, 0, s39
	v_ashrrev_i32_e32 v7, 31, v1
	v_mac_f32_e32 v3, 0x4f800000, v4
	v_rcp_f32_e32 v3, v3
	v_mul_f32_e32 v3, 0x5f7ffffc, v3
	v_mul_f32_e32 v4, 0x2f800000, v3
	v_trunc_f32_e32 v4, v4
	v_mac_f32_e32 v3, 0xcf800000, v4
	v_cvt_u32_f32_e32 v4, v4
	v_cvt_u32_f32_e32 v3, v3
	v_readfirstlane_b32 s20, v4
	v_readfirstlane_b32 s0, v3
	s_mul_i32 s1, s15, s20
	s_mul_hi_u32 s40, s15, s0
	s_mul_i32 s35, s17, s0
	s_add_i32 s1, s40, s1
	s_add_i32 s1, s1, s35
	s_mul_i32 s41, s15, s0
	s_mul_i32 s40, s0, s1
	s_mul_hi_u32 s42, s0, s41
	s_mul_hi_u32 s35, s0, s1
	s_add_u32 s40, s42, s40
	s_addc_u32 s35, 0, s35
	s_mul_hi_u32 s43, s20, s41
	s_mul_i32 s41, s20, s41
	s_add_u32 s40, s40, s41
	s_mul_hi_u32 s42, s20, s1
	s_addc_u32 s35, s35, s43
	s_addc_u32 s40, s42, 0
	s_mul_i32 s1, s20, s1
	s_add_u32 s1, s35, s1
	s_addc_u32 s35, 0, s40
	s_add_u32 s40, s0, s1
	s_cselect_b64 s[0:1], -1, 0
	s_cmp_lg_u64 s[0:1], 0
	s_addc_u32 s20, s20, s35
	s_mul_i32 s0, s15, s20
	s_mul_hi_u32 s1, s15, s40
	s_add_i32 s0, s1, s0
	s_mul_i32 s17, s17, s40
	s_add_i32 s0, s0, s17
	s_mul_i32 s15, s15, s40
	s_mul_hi_u32 s17, s20, s15
	s_mul_i32 s35, s20, s15
	s_mul_i32 s42, s40, s0
	s_mul_hi_u32 s15, s40, s15
	s_mul_hi_u32 s41, s40, s0
	s_add_u32 s15, s15, s42
	s_addc_u32 s41, 0, s41
	s_add_u32 s15, s15, s35
	s_mul_hi_u32 s1, s20, s0
	s_addc_u32 s15, s41, s17
	s_addc_u32 s1, s1, 0
	s_mul_i32 s0, s20, s0
	s_add_u32 s0, s15, s0
	s_addc_u32 s15, 0, s1
	s_add_u32 s17, s40, s0
	s_cselect_b64 s[0:1], -1, 0
	s_cmp_lg_u64 s[0:1], 0
	v_add_co_u32_e32 v3, vcc, v0, v7
	s_addc_u32 s15, s20, s15
	v_xor_b32_e32 v8, v3, v7
	v_mad_u64_u32 v[3:4], s[0:1], v8, s15, 0
	v_mul_hi_u32 v6, v8, s17
	v_addc_co_u32_e32 v5, vcc, v1, v7, vcc
	v_xor_b32_e32 v9, v5, v7
	v_add_co_u32_e32 v10, vcc, v6, v3
	v_addc_co_u32_e32 v11, vcc, 0, v4, vcc
	v_mad_u64_u32 v[3:4], s[0:1], v9, s17, 0
	v_mad_u64_u32 v[5:6], s[0:1], v9, s15, 0
	v_add_co_u32_e32 v3, vcc, v10, v3
	v_addc_co_u32_e32 v3, vcc, v11, v4, vcc
	v_addc_co_u32_e32 v4, vcc, 0, v6, vcc
	v_add_co_u32_e32 v5, vcc, v3, v5
	v_addc_co_u32_e32 v6, vcc, 0, v4, vcc
	v_mul_lo_u32 v10, s39, v5
	v_mul_lo_u32 v11, s38, v6
	v_mad_u64_u32 v[3:4], s[0:1], s38, v5, 0
	v_add3_u32 v4, v4, v11, v10
	v_sub_u32_e32 v10, v9, v4
	v_mov_b32_e32 v11, s39
	v_sub_co_u32_e32 v3, vcc, v8, v3
	v_subb_co_u32_e64 v8, s[0:1], v10, v11, vcc
	v_subrev_co_u32_e64 v10, s[0:1], s38, v3
	v_subbrev_co_u32_e64 v8, s[0:1], 0, v8, s[0:1]
	v_cmp_le_u32_e64 s[0:1], s39, v8
	v_cndmask_b32_e64 v11, 0, -1, s[0:1]
	v_cmp_le_u32_e64 s[0:1], s38, v10
	v_cndmask_b32_e64 v10, 0, -1, s[0:1]
	v_cmp_eq_u32_e64 s[0:1], s39, v8
	v_cndmask_b32_e64 v8, v11, v10, s[0:1]
	v_add_co_u32_e64 v10, s[0:1], 2, v5
	v_subb_co_u32_e32 v4, vcc, v9, v4, vcc
	v_addc_co_u32_e64 v11, s[0:1], 0, v6, s[0:1]
	v_cmp_le_u32_e32 vcc, s39, v4
	v_add_co_u32_e64 v12, s[0:1], 1, v5
	v_cndmask_b32_e64 v9, 0, -1, vcc
	v_cmp_le_u32_e32 vcc, s38, v3
	v_addc_co_u32_e64 v13, s[0:1], 0, v6, s[0:1]
	v_cndmask_b32_e64 v3, 0, -1, vcc
	v_cmp_eq_u32_e32 vcc, s39, v4
	v_cmp_ne_u32_e64 s[0:1], 0, v8
	v_cndmask_b32_e32 v3, v9, v3, vcc
	v_cmp_ne_u32_e32 vcc, 0, v3
	v_cndmask_b32_e64 v4, v12, v10, s[0:1]
	v_cndmask_b32_e64 v8, v13, v11, s[0:1]
	v_cndmask_b32_e32 v4, v5, v4, vcc
	v_xor_b32_e32 v5, s34, v7
	v_cndmask_b32_e32 v3, v6, v8, vcc
	v_xor_b32_e32 v4, v4, v5
	v_xor_b32_e32 v3, v3, v5
	v_sub_co_u32_e32 v4, vcc, v4, v5
	v_subb_co_u32_e32 v5, vcc, v3, v5, vcc
.LBB85_5:                               ;   in Loop: Header=BB85_3 Depth=1
	s_andn2_saveexec_b64 s[0:1], s[36:37]
	s_cbranch_execz .LBB85_7
; %bb.6:                                ;   in Loop: Header=BB85_3 Depth=1
	v_cvt_f32_u32_e32 v3, s33
	s_sub_i32 s15, 0, s33
	v_rcp_iflag_f32_e32 v3, v3
	v_mul_f32_e32 v3, 0x4f7ffffe, v3
	v_cvt_u32_f32_e32 v3, v3
	v_mul_lo_u32 v4, s15, v3
	v_mul_hi_u32 v4, v3, v4
	v_add_u32_e32 v3, v3, v4
	v_mul_hi_u32 v3, v0, v3
	v_mul_lo_u32 v4, v3, s33
	v_add_u32_e32 v5, 1, v3
	v_sub_u32_e32 v4, v0, v4
	v_subrev_u32_e32 v6, s33, v4
	v_cmp_le_u32_e32 vcc, s33, v4
	v_cndmask_b32_e32 v4, v4, v6, vcc
	v_cndmask_b32_e32 v3, v3, v5, vcc
	v_add_u32_e32 v5, 1, v3
	v_cmp_le_u32_e32 vcc, s33, v4
	v_cndmask_b32_e32 v4, v3, v5, vcc
	v_mov_b32_e32 v5, v2
.LBB85_7:                               ;   in Loop: Header=BB85_3 Depth=1
	s_or_b64 exec, exec, s[0:1]
	v_or_b32_e32 v3, s49, v5
	v_cmp_ne_u64_e32 vcc, 0, v[2:3]
                                        ; implicit-def: $vgpr8_vgpr9
	s_and_saveexec_b64 s[0:1], vcc
	s_xor_b64 s[36:37], exec, s[0:1]
	s_cbranch_execz .LBB85_9
; %bb.8:                                ;   in Loop: Header=BB85_3 Depth=1
	s_ashr_i32 s38, s49, 31
	s_add_u32 s0, s6, s38
	s_mov_b32 s39, s38
	s_addc_u32 s1, s49, s38
	s_xor_b64 s[40:41], s[0:1], s[38:39]
	v_cvt_f32_u32_e32 v3, s40
	v_cvt_f32_u32_e32 v6, s41
	s_sub_u32 s15, 0, s40
	s_subb_u32 s17, 0, s41
	v_mac_f32_e32 v3, 0x4f800000, v6
	v_rcp_f32_e32 v3, v3
	v_mul_f32_e32 v3, 0x5f7ffffc, v3
	v_mul_f32_e32 v6, 0x2f800000, v3
	v_trunc_f32_e32 v6, v6
	v_mac_f32_e32 v3, 0xcf800000, v6
	v_cvt_u32_f32_e32 v6, v6
	v_cvt_u32_f32_e32 v3, v3
	v_readfirstlane_b32 s20, v6
	v_readfirstlane_b32 s0, v3
	s_mul_i32 s1, s15, s20
	s_mul_hi_u32 s39, s15, s0
	s_mul_i32 s35, s17, s0
	s_add_i32 s1, s39, s1
	s_add_i32 s1, s1, s35
	s_mul_i32 s42, s15, s0
	s_mul_i32 s39, s0, s1
	s_mul_hi_u32 s43, s0, s42
	s_mul_hi_u32 s35, s0, s1
	s_add_u32 s39, s43, s39
	s_addc_u32 s35, 0, s35
	s_mul_hi_u32 s44, s20, s42
	s_mul_i32 s42, s20, s42
	s_add_u32 s39, s39, s42
	s_mul_hi_u32 s43, s20, s1
	s_addc_u32 s35, s35, s44
	s_addc_u32 s39, s43, 0
	s_mul_i32 s1, s20, s1
	s_add_u32 s1, s35, s1
	s_addc_u32 s35, 0, s39
	s_add_u32 s39, s0, s1
	s_cselect_b64 s[0:1], -1, 0
	s_cmp_lg_u64 s[0:1], 0
	s_addc_u32 s20, s20, s35
	s_mul_i32 s0, s15, s20
	s_mul_hi_u32 s1, s15, s39
	s_add_i32 s0, s1, s0
	s_mul_i32 s17, s17, s39
	s_add_i32 s0, s0, s17
	s_mul_i32 s15, s15, s39
	s_mul_hi_u32 s17, s20, s15
	s_mul_i32 s35, s20, s15
	s_mul_i32 s43, s39, s0
	s_mul_hi_u32 s15, s39, s15
	s_mul_hi_u32 s42, s39, s0
	s_add_u32 s15, s15, s43
	s_addc_u32 s42, 0, s42
	s_add_u32 s15, s15, s35
	s_mul_hi_u32 s1, s20, s0
	s_addc_u32 s15, s42, s17
	s_addc_u32 s1, s1, 0
	s_mul_i32 s0, s20, s0
	s_add_u32 s0, s15, s0
	s_addc_u32 s15, 0, s1
	s_add_u32 s17, s39, s0
	s_cselect_b64 s[0:1], -1, 0
	v_ashrrev_i32_e32 v3, 31, v5
	s_cmp_lg_u64 s[0:1], 0
	v_add_co_u32_e32 v6, vcc, v4, v3
	s_addc_u32 s15, s20, s15
	v_xor_b32_e32 v9, v6, v3
	v_addc_co_u32_e32 v7, vcc, v5, v3, vcc
	v_mad_u64_u32 v[5:6], s[0:1], v9, s15, 0
	v_mul_hi_u32 v8, v9, s17
	v_xor_b32_e32 v10, v7, v3
	v_xor_b32_e32 v3, s38, v3
	v_add_co_u32_e32 v11, vcc, v8, v5
	v_addc_co_u32_e32 v12, vcc, 0, v6, vcc
	v_mad_u64_u32 v[5:6], s[0:1], v10, s17, 0
	v_mad_u64_u32 v[7:8], s[0:1], v10, s15, 0
	v_add_co_u32_e32 v5, vcc, v11, v5
	v_addc_co_u32_e32 v5, vcc, v12, v6, vcc
	v_addc_co_u32_e32 v6, vcc, 0, v8, vcc
	v_add_co_u32_e32 v7, vcc, v5, v7
	v_addc_co_u32_e32 v8, vcc, 0, v6, vcc
	v_mul_lo_u32 v11, s41, v7
	v_mul_lo_u32 v12, s40, v8
	v_mad_u64_u32 v[5:6], s[0:1], s40, v7, 0
	v_add3_u32 v6, v6, v12, v11
	v_sub_u32_e32 v11, v10, v6
	v_mov_b32_e32 v12, s41
	v_sub_co_u32_e32 v5, vcc, v9, v5
	v_subb_co_u32_e64 v9, s[0:1], v11, v12, vcc
	v_subrev_co_u32_e64 v11, s[0:1], s40, v5
	v_subbrev_co_u32_e64 v9, s[0:1], 0, v9, s[0:1]
	v_cmp_le_u32_e64 s[0:1], s41, v9
	v_cndmask_b32_e64 v12, 0, -1, s[0:1]
	v_cmp_le_u32_e64 s[0:1], s40, v11
	v_cndmask_b32_e64 v11, 0, -1, s[0:1]
	v_cmp_eq_u32_e64 s[0:1], s41, v9
	v_cndmask_b32_e64 v9, v12, v11, s[0:1]
	v_add_co_u32_e64 v11, s[0:1], 2, v7
	v_subb_co_u32_e32 v6, vcc, v10, v6, vcc
	v_addc_co_u32_e64 v12, s[0:1], 0, v8, s[0:1]
	v_cmp_le_u32_e32 vcc, s41, v6
	v_add_co_u32_e64 v13, s[0:1], 1, v7
	v_cndmask_b32_e64 v10, 0, -1, vcc
	v_cmp_le_u32_e32 vcc, s40, v5
	v_addc_co_u32_e64 v14, s[0:1], 0, v8, s[0:1]
	v_cndmask_b32_e64 v5, 0, -1, vcc
	v_cmp_eq_u32_e32 vcc, s41, v6
	v_cmp_ne_u32_e64 s[0:1], 0, v9
	v_cndmask_b32_e32 v5, v10, v5, vcc
	v_cmp_ne_u32_e32 vcc, 0, v5
	v_cndmask_b32_e64 v6, v13, v11, s[0:1]
	v_cndmask_b32_e64 v9, v14, v12, s[0:1]
	v_cndmask_b32_e32 v6, v7, v6, vcc
	v_cndmask_b32_e32 v5, v8, v9, vcc
	v_xor_b32_e32 v6, v6, v3
	v_xor_b32_e32 v5, v5, v3
	v_sub_co_u32_e32 v8, vcc, v6, v3
	v_subb_co_u32_e32 v9, vcc, v5, v3, vcc
.LBB85_9:                               ;   in Loop: Header=BB85_3 Depth=1
	s_andn2_saveexec_b64 s[0:1], s[36:37]
	s_cbranch_execz .LBB85_11
; %bb.10:                               ;   in Loop: Header=BB85_3 Depth=1
	v_cvt_f32_u32_e32 v3, s6
	s_sub_i32 s15, 0, s6
	v_mov_b32_e32 v9, v2
	v_rcp_iflag_f32_e32 v3, v3
	v_mul_f32_e32 v3, 0x4f7ffffe, v3
	v_cvt_u32_f32_e32 v3, v3
	v_mul_lo_u32 v5, s15, v3
	v_mul_hi_u32 v5, v3, v5
	v_add_u32_e32 v3, v3, v5
	v_mul_hi_u32 v3, v4, v3
	v_mul_lo_u32 v5, v3, s6
	v_add_u32_e32 v6, 1, v3
	v_sub_u32_e32 v5, v4, v5
	v_subrev_u32_e32 v7, s6, v5
	v_cmp_le_u32_e32 vcc, s6, v5
	v_cndmask_b32_e32 v5, v5, v7, vcc
	v_cndmask_b32_e32 v3, v3, v6, vcc
	v_add_u32_e32 v6, 1, v3
	v_cmp_le_u32_e32 vcc, s6, v5
	v_cndmask_b32_e32 v8, v3, v6, vcc
.LBB85_11:                              ;   in Loop: Header=BB85_3 Depth=1
	s_or_b64 exec, exec, s[0:1]
	v_mad_u64_u32 v[5:6], s[0:1], v4, s33, 0
	v_mad_u64_u32 v[6:7], s[0:1], v8, s6, 0
	v_sub_co_u32_e32 v18, vcc, v0, v5
	v_mul_lo_u32 v3, s26, v18
	v_sub_co_u32_e32 v19, vcc, v4, v6
	v_mul_lo_u32 v4, s28, v18
	s_andn2_b64 vcc, exec, s[12:13]
	v_mad_u64_u32 v[6:7], s[0:1], s14, v19, v[3:4]
	v_mad_u64_u32 v[4:5], s[0:1], s16, v19, v[4:5]
	s_cbranch_vccnz .LBB85_39
; %bb.12:                               ;   in Loop: Header=BB85_3 Depth=1
	s_mov_b32 s15, 1
	s_andn2_b64 vcc, exec, s[22:23]
	s_mov_b32 s20, s50
	s_mov_b32 s0, s50
	s_cbranch_vccnz .LBB85_20
.LBB85_13:                              ;   Parent Loop BB85_3 Depth=1
                                        ; =>  This Inner Loop Header: Depth=2
	s_lshl_b64 s[36:37], s[20:21], 2
	s_add_u32 s38, s46, s36
	s_addc_u32 s39, s47, s37
	s_load_dword s17, s[38:39], 0x8
                                        ; implicit-def: $vgpr10_vgpr11
	s_waitcnt lgkmcnt(0)
	s_ashr_i32 s0, s17, 31
	v_or_b32_e32 v3, s0, v9
	v_cmp_ne_u64_e32 vcc, 0, v[2:3]
	s_and_saveexec_b64 s[40:41], vcc
	s_xor_b64 s[40:41], exec, s[40:41]
	s_cbranch_execz .LBB85_15
; %bb.14:                               ;   in Loop: Header=BB85_13 Depth=2
	s_ashr_i32 s42, s0, 31
	s_add_u32 s44, s17, s42
	s_mov_b32 s43, s42
	s_addc_u32 s45, s0, s42
	s_xor_b64 s[44:45], s[44:45], s[42:43]
	v_cvt_f32_u32_e32 v3, s44
	v_cvt_f32_u32_e32 v5, s45
	s_sub_u32 s35, 0, s44
	s_subb_u32 s43, 0, s45
	v_mac_f32_e32 v3, 0x4f800000, v5
	v_rcp_f32_e32 v3, v3
	v_mul_f32_e32 v3, 0x5f7ffffc, v3
	v_mul_f32_e32 v5, 0x2f800000, v3
	v_trunc_f32_e32 v5, v5
	v_mac_f32_e32 v3, 0xcf800000, v5
	v_cvt_u32_f32_e32 v5, v5
	v_cvt_u32_f32_e32 v3, v3
	v_readfirstlane_b32 s53, v5
	v_readfirstlane_b32 s0, v3
	s_mul_i32 s1, s35, s53
	s_mul_hi_u32 s55, s35, s0
	s_mul_i32 s54, s43, s0
	s_add_i32 s1, s55, s1
	s_add_i32 s1, s1, s54
	s_mul_i32 s56, s35, s0
	s_mul_i32 s55, s0, s1
	s_mul_hi_u32 s57, s0, s56
	s_mul_hi_u32 s54, s0, s1
	s_add_u32 s55, s57, s55
	s_addc_u32 s54, 0, s54
	s_mul_hi_u32 s58, s53, s56
	s_mul_i32 s56, s53, s56
	s_add_u32 s55, s55, s56
	s_mul_hi_u32 s57, s53, s1
	s_addc_u32 s54, s54, s58
	s_addc_u32 s55, s57, 0
	s_mul_i32 s1, s53, s1
	s_add_u32 s1, s54, s1
	s_addc_u32 s54, 0, s55
	s_add_u32 s55, s0, s1
	s_cselect_b64 s[0:1], -1, 0
	s_cmp_lg_u64 s[0:1], 0
	s_addc_u32 s53, s53, s54
	s_mul_i32 s0, s35, s53
	s_mul_hi_u32 s1, s35, s55
	s_add_i32 s0, s1, s0
	s_mul_i32 s43, s43, s55
	s_add_i32 s0, s0, s43
	s_mul_i32 s35, s35, s55
	s_mul_hi_u32 s43, s53, s35
	s_mul_i32 s54, s53, s35
	s_mul_i32 s57, s55, s0
	s_mul_hi_u32 s35, s55, s35
	s_mul_hi_u32 s56, s55, s0
	s_add_u32 s35, s35, s57
	s_addc_u32 s56, 0, s56
	s_add_u32 s35, s35, s54
	s_mul_hi_u32 s1, s53, s0
	s_addc_u32 s35, s56, s43
	s_addc_u32 s1, s1, 0
	s_mul_i32 s0, s53, s0
	s_add_u32 s0, s35, s0
	s_addc_u32 s35, 0, s1
	s_add_u32 s43, s55, s0
	s_cselect_b64 s[0:1], -1, 0
	v_ashrrev_i32_e32 v3, 31, v9
	s_cmp_lg_u64 s[0:1], 0
	v_add_co_u32_e32 v5, vcc, v8, v3
	s_addc_u32 s35, s53, s35
	v_xor_b32_e32 v5, v5, v3
	v_addc_co_u32_e32 v7, vcc, v9, v3, vcc
	v_mad_u64_u32 v[9:10], s[0:1], v5, s35, 0
	v_mul_hi_u32 v11, v5, s43
	v_xor_b32_e32 v7, v7, v3
	v_xor_b32_e32 v3, s42, v3
	v_add_co_u32_e32 v13, vcc, v11, v9
	v_addc_co_u32_e32 v14, vcc, 0, v10, vcc
	v_mad_u64_u32 v[9:10], s[0:1], v7, s43, 0
	v_mad_u64_u32 v[11:12], s[0:1], v7, s35, 0
	v_add_co_u32_e32 v9, vcc, v13, v9
	v_addc_co_u32_e32 v9, vcc, v14, v10, vcc
	v_addc_co_u32_e32 v10, vcc, 0, v12, vcc
	v_add_co_u32_e32 v11, vcc, v9, v11
	v_addc_co_u32_e32 v12, vcc, 0, v10, vcc
	v_mul_lo_u32 v13, s45, v11
	v_mul_lo_u32 v14, s44, v12
	v_mad_u64_u32 v[9:10], s[0:1], s44, v11, 0
	v_add3_u32 v10, v10, v14, v13
	v_sub_u32_e32 v13, v7, v10
	v_mov_b32_e32 v14, s45
	v_sub_co_u32_e32 v5, vcc, v5, v9
	v_subb_co_u32_e64 v9, s[0:1], v13, v14, vcc
	v_subrev_co_u32_e64 v13, s[0:1], s44, v5
	v_subbrev_co_u32_e64 v9, s[0:1], 0, v9, s[0:1]
	v_cmp_le_u32_e64 s[0:1], s45, v9
	v_cndmask_b32_e64 v14, 0, -1, s[0:1]
	v_cmp_le_u32_e64 s[0:1], s44, v13
	v_cndmask_b32_e64 v13, 0, -1, s[0:1]
	v_cmp_eq_u32_e64 s[0:1], s45, v9
	v_cndmask_b32_e64 v9, v14, v13, s[0:1]
	v_add_co_u32_e64 v13, s[0:1], 2, v11
	v_subb_co_u32_e32 v7, vcc, v7, v10, vcc
	v_addc_co_u32_e64 v14, s[0:1], 0, v12, s[0:1]
	v_cmp_le_u32_e32 vcc, s45, v7
	v_add_co_u32_e64 v15, s[0:1], 1, v11
	v_cndmask_b32_e64 v10, 0, -1, vcc
	v_cmp_le_u32_e32 vcc, s44, v5
	v_addc_co_u32_e64 v16, s[0:1], 0, v12, s[0:1]
	v_cndmask_b32_e64 v5, 0, -1, vcc
	v_cmp_eq_u32_e32 vcc, s45, v7
	v_cmp_ne_u32_e64 s[0:1], 0, v9
	v_cndmask_b32_e32 v5, v10, v5, vcc
	v_cmp_ne_u32_e32 vcc, 0, v5
	v_cndmask_b32_e64 v7, v15, v13, s[0:1]
	v_cndmask_b32_e64 v9, v16, v14, s[0:1]
	v_cndmask_b32_e32 v7, v11, v7, vcc
	v_cndmask_b32_e32 v5, v12, v9, vcc
	v_xor_b32_e32 v7, v7, v3
	v_xor_b32_e32 v5, v5, v3
	v_sub_co_u32_e32 v10, vcc, v7, v3
	v_subb_co_u32_e32 v11, vcc, v5, v3, vcc
.LBB85_15:                              ;   in Loop: Header=BB85_13 Depth=2
	s_andn2_saveexec_b64 s[0:1], s[40:41]
	s_cbranch_execz .LBB85_17
; %bb.16:                               ;   in Loop: Header=BB85_13 Depth=2
	v_cvt_f32_u32_e32 v3, s17
	s_sub_i32 s35, 0, s17
	v_mov_b32_e32 v11, v2
	v_rcp_iflag_f32_e32 v3, v3
	v_mul_f32_e32 v3, 0x4f7ffffe, v3
	v_cvt_u32_f32_e32 v3, v3
	v_mul_lo_u32 v5, s35, v3
	v_mul_hi_u32 v5, v3, v5
	v_add_u32_e32 v3, v3, v5
	v_mul_hi_u32 v3, v8, v3
	v_mul_lo_u32 v5, v3, s17
	v_add_u32_e32 v7, 1, v3
	v_sub_u32_e32 v5, v8, v5
	v_subrev_u32_e32 v9, s17, v5
	v_cmp_le_u32_e32 vcc, s17, v5
	v_cndmask_b32_e32 v5, v5, v9, vcc
	v_cndmask_b32_e32 v3, v3, v7, vcc
	v_add_u32_e32 v7, 1, v3
	v_cmp_le_u32_e32 vcc, s17, v5
	v_cndmask_b32_e32 v10, v3, v7, vcc
.LBB85_17:                              ;   in Loop: Header=BB85_13 Depth=2
	s_or_b64 exec, exec, s[0:1]
	s_add_u32 s0, s4, s36
	s_addc_u32 s1, s5, s37
	v_mul_lo_u32 v3, v10, s17
	s_load_dword s17, s[38:39], 0x6c
	s_load_dword s35, s[0:1], 0x6c
	s_add_i32 s20, s20, -1
	v_sub_u32_e32 v3, v8, v3
	s_waitcnt lgkmcnt(0)
	v_mad_u64_u32 v[6:7], s[0:1], s17, v3, v[6:7]
	v_mad_u64_u32 v[4:5], s[0:1], s35, v3, v[4:5]
	s_xor_b32 s0, s52, s15
	s_add_i32 s15, s15, 1
	s_cmp_lg_u32 s0, 2
	s_cbranch_scc0 .LBB85_19
; %bb.18:                               ;   in Loop: Header=BB85_13 Depth=2
	v_mov_b32_e32 v8, v10
	v_mov_b32_e32 v9, v11
	s_branch .LBB85_13
.LBB85_19:                              ;   in Loop: Header=BB85_3 Depth=1
	v_mov_b32_e32 v8, v10
	s_mov_b32 s0, s20
	v_mov_b32_e32 v9, v11
.LBB85_20:                              ;   in Loop: Header=BB85_3 Depth=1
	s_and_b64 vcc, exec, s[24:25]
	s_mov_b32 s20, s0
	s_cbranch_vccz .LBB85_39
.LBB85_21:                              ;   Parent Loop BB85_3 Depth=1
                                        ; =>  This Inner Loop Header: Depth=2
	s_lshl_b64 s[36:37], s[20:21], 2
	s_add_u32 s38, s46, s36
	s_addc_u32 s39, s47, s37
	s_load_dword s15, s[38:39], 0x8
                                        ; implicit-def: $vgpr10_vgpr11
	s_waitcnt lgkmcnt(0)
	s_ashr_i32 s0, s15, 31
	v_or_b32_e32 v3, s0, v9
	v_cmp_ne_u64_e32 vcc, 0, v[2:3]
	s_and_saveexec_b64 s[40:41], vcc
	s_xor_b64 s[40:41], exec, s[40:41]
	s_cbranch_execz .LBB85_23
; %bb.22:                               ;   in Loop: Header=BB85_21 Depth=2
	s_ashr_i32 s42, s0, 31
	s_add_u32 s44, s15, s42
	s_mov_b32 s43, s42
	s_addc_u32 s45, s0, s42
	s_xor_b64 s[44:45], s[44:45], s[42:43]
	v_cvt_f32_u32_e32 v3, s44
	v_cvt_f32_u32_e32 v5, s45
	s_sub_u32 s17, 0, s44
	s_subb_u32 s35, 0, s45
	v_mac_f32_e32 v3, 0x4f800000, v5
	v_rcp_f32_e32 v3, v3
	v_mul_f32_e32 v3, 0x5f7ffffc, v3
	v_mul_f32_e32 v5, 0x2f800000, v3
	v_trunc_f32_e32 v5, v5
	v_mac_f32_e32 v3, 0xcf800000, v5
	v_cvt_u32_f32_e32 v5, v5
	v_cvt_u32_f32_e32 v3, v3
	v_readfirstlane_b32 s43, v5
	v_readfirstlane_b32 s0, v3
	s_mul_i32 s1, s17, s43
	s_mul_hi_u32 s54, s17, s0
	s_mul_i32 s53, s35, s0
	s_add_i32 s1, s54, s1
	s_add_i32 s1, s1, s53
	s_mul_i32 s55, s17, s0
	s_mul_i32 s54, s0, s1
	s_mul_hi_u32 s56, s0, s55
	s_mul_hi_u32 s53, s0, s1
	s_add_u32 s54, s56, s54
	s_addc_u32 s53, 0, s53
	s_mul_hi_u32 s57, s43, s55
	s_mul_i32 s55, s43, s55
	s_add_u32 s54, s54, s55
	s_mul_hi_u32 s56, s43, s1
	s_addc_u32 s53, s53, s57
	s_addc_u32 s54, s56, 0
	s_mul_i32 s1, s43, s1
	s_add_u32 s1, s53, s1
	s_addc_u32 s53, 0, s54
	s_add_u32 s54, s0, s1
	s_cselect_b64 s[0:1], -1, 0
	s_cmp_lg_u64 s[0:1], 0
	s_addc_u32 s43, s43, s53
	s_mul_i32 s0, s17, s43
	s_mul_hi_u32 s1, s17, s54
	s_add_i32 s0, s1, s0
	s_mul_i32 s35, s35, s54
	s_add_i32 s0, s0, s35
	s_mul_i32 s17, s17, s54
	s_mul_hi_u32 s35, s43, s17
	s_mul_i32 s53, s43, s17
	s_mul_i32 s56, s54, s0
	s_mul_hi_u32 s17, s54, s17
	s_mul_hi_u32 s55, s54, s0
	s_add_u32 s17, s17, s56
	s_addc_u32 s55, 0, s55
	s_add_u32 s17, s17, s53
	s_mul_hi_u32 s1, s43, s0
	s_addc_u32 s17, s55, s35
	s_addc_u32 s1, s1, 0
	s_mul_i32 s0, s43, s0
	s_add_u32 s0, s17, s0
	s_addc_u32 s17, 0, s1
	s_add_u32 s35, s54, s0
	s_cselect_b64 s[0:1], -1, 0
	v_ashrrev_i32_e32 v3, 31, v9
	s_cmp_lg_u64 s[0:1], 0
	v_add_co_u32_e32 v5, vcc, v8, v3
	s_addc_u32 s17, s43, s17
	v_xor_b32_e32 v5, v5, v3
	v_addc_co_u32_e32 v7, vcc, v9, v3, vcc
	v_mad_u64_u32 v[9:10], s[0:1], v5, s17, 0
	v_mul_hi_u32 v11, v5, s35
	v_xor_b32_e32 v7, v7, v3
	v_xor_b32_e32 v3, s42, v3
	v_add_co_u32_e32 v13, vcc, v11, v9
	v_addc_co_u32_e32 v14, vcc, 0, v10, vcc
	v_mad_u64_u32 v[9:10], s[0:1], v7, s35, 0
	v_mad_u64_u32 v[11:12], s[0:1], v7, s17, 0
	v_add_co_u32_e32 v9, vcc, v13, v9
	v_addc_co_u32_e32 v9, vcc, v14, v10, vcc
	v_addc_co_u32_e32 v10, vcc, 0, v12, vcc
	v_add_co_u32_e32 v11, vcc, v9, v11
	v_addc_co_u32_e32 v12, vcc, 0, v10, vcc
	v_mul_lo_u32 v13, s45, v11
	v_mul_lo_u32 v14, s44, v12
	v_mad_u64_u32 v[9:10], s[0:1], s44, v11, 0
	v_add3_u32 v10, v10, v14, v13
	v_sub_u32_e32 v13, v7, v10
	v_mov_b32_e32 v14, s45
	v_sub_co_u32_e32 v5, vcc, v5, v9
	v_subb_co_u32_e64 v9, s[0:1], v13, v14, vcc
	v_subrev_co_u32_e64 v13, s[0:1], s44, v5
	v_subbrev_co_u32_e64 v9, s[0:1], 0, v9, s[0:1]
	v_cmp_le_u32_e64 s[0:1], s45, v9
	v_cndmask_b32_e64 v14, 0, -1, s[0:1]
	v_cmp_le_u32_e64 s[0:1], s44, v13
	v_cndmask_b32_e64 v13, 0, -1, s[0:1]
	v_cmp_eq_u32_e64 s[0:1], s45, v9
	v_cndmask_b32_e64 v9, v14, v13, s[0:1]
	v_add_co_u32_e64 v13, s[0:1], 2, v11
	v_subb_co_u32_e32 v7, vcc, v7, v10, vcc
	v_addc_co_u32_e64 v14, s[0:1], 0, v12, s[0:1]
	v_cmp_le_u32_e32 vcc, s45, v7
	v_add_co_u32_e64 v15, s[0:1], 1, v11
	v_cndmask_b32_e64 v10, 0, -1, vcc
	v_cmp_le_u32_e32 vcc, s44, v5
	v_addc_co_u32_e64 v16, s[0:1], 0, v12, s[0:1]
	v_cndmask_b32_e64 v5, 0, -1, vcc
	v_cmp_eq_u32_e32 vcc, s45, v7
	v_cmp_ne_u32_e64 s[0:1], 0, v9
	v_cndmask_b32_e32 v5, v10, v5, vcc
	v_cmp_ne_u32_e32 vcc, 0, v5
	v_cndmask_b32_e64 v7, v15, v13, s[0:1]
	v_cndmask_b32_e64 v9, v16, v14, s[0:1]
	v_cndmask_b32_e32 v7, v11, v7, vcc
	v_cndmask_b32_e32 v5, v12, v9, vcc
	v_xor_b32_e32 v7, v7, v3
	v_xor_b32_e32 v5, v5, v3
	v_sub_co_u32_e32 v10, vcc, v7, v3
	v_subb_co_u32_e32 v11, vcc, v5, v3, vcc
.LBB85_23:                              ;   in Loop: Header=BB85_21 Depth=2
	s_andn2_saveexec_b64 s[0:1], s[40:41]
	s_cbranch_execz .LBB85_25
; %bb.24:                               ;   in Loop: Header=BB85_21 Depth=2
	v_cvt_f32_u32_e32 v3, s15
	s_sub_i32 s17, 0, s15
	v_mov_b32_e32 v11, v2
	v_rcp_iflag_f32_e32 v3, v3
	v_mul_f32_e32 v3, 0x4f7ffffe, v3
	v_cvt_u32_f32_e32 v3, v3
	v_mul_lo_u32 v5, s17, v3
	v_mul_hi_u32 v5, v3, v5
	v_add_u32_e32 v3, v3, v5
	v_mul_hi_u32 v3, v8, v3
	v_mul_lo_u32 v5, v3, s15
	v_add_u32_e32 v7, 1, v3
	v_sub_u32_e32 v5, v8, v5
	v_subrev_u32_e32 v9, s15, v5
	v_cmp_le_u32_e32 vcc, s15, v5
	v_cndmask_b32_e32 v5, v5, v9, vcc
	v_cndmask_b32_e32 v3, v3, v7, vcc
	v_add_u32_e32 v7, 1, v3
	v_cmp_le_u32_e32 vcc, s15, v5
	v_cndmask_b32_e32 v10, v3, v7, vcc
.LBB85_25:                              ;   in Loop: Header=BB85_21 Depth=2
	s_or_b64 exec, exec, s[0:1]
	s_add_u32 s0, s4, s36
	s_addc_u32 s1, s5, s37
	s_add_i32 s36, s20, -1
	s_mov_b32 s37, s21
	s_lshl_b64 s[40:41], s[36:37], 2
	s_add_u32 s36, s46, s40
	s_addc_u32 s37, s47, s41
	s_load_dword s53, s[36:37], 0x8
	s_load_dword s35, s[38:39], 0x6c
	;; [unrolled: 1-line block ×3, first 2 shown]
                                        ; implicit-def: $vgpr12_vgpr13
	s_waitcnt lgkmcnt(0)
	s_ashr_i32 s0, s53, 31
	v_or_b32_e32 v3, s0, v11
	v_cmp_ne_u64_e32 vcc, 0, v[2:3]
	s_and_saveexec_b64 s[38:39], vcc
	s_xor_b64 s[38:39], exec, s[38:39]
	s_cbranch_execz .LBB85_27
; %bb.26:                               ;   in Loop: Header=BB85_21 Depth=2
	s_ashr_i32 s42, s0, 31
	s_add_u32 s44, s53, s42
	s_mov_b32 s43, s42
	s_addc_u32 s45, s0, s42
	s_xor_b64 s[44:45], s[44:45], s[42:43]
	v_cvt_f32_u32_e32 v3, s44
	v_cvt_f32_u32_e32 v5, s45
	s_sub_u32 s43, 0, s44
	s_subb_u32 s54, 0, s45
	v_mac_f32_e32 v3, 0x4f800000, v5
	v_rcp_f32_e32 v3, v3
	v_mul_f32_e32 v3, 0x5f7ffffc, v3
	v_mul_f32_e32 v5, 0x2f800000, v3
	v_trunc_f32_e32 v5, v5
	v_mac_f32_e32 v3, 0xcf800000, v5
	v_cvt_u32_f32_e32 v5, v5
	v_cvt_u32_f32_e32 v3, v3
	v_readfirstlane_b32 s55, v5
	v_readfirstlane_b32 s0, v3
	s_mul_i32 s1, s43, s55
	s_mul_hi_u32 s57, s43, s0
	s_mul_i32 s56, s54, s0
	s_add_i32 s1, s57, s1
	s_add_i32 s1, s1, s56
	s_mul_i32 s58, s43, s0
	s_mul_i32 s57, s0, s1
	s_mul_hi_u32 s59, s0, s58
	s_mul_hi_u32 s56, s0, s1
	s_add_u32 s57, s59, s57
	s_addc_u32 s56, 0, s56
	s_mul_hi_u32 s60, s55, s58
	s_mul_i32 s58, s55, s58
	s_add_u32 s57, s57, s58
	s_mul_hi_u32 s59, s55, s1
	s_addc_u32 s56, s56, s60
	s_addc_u32 s57, s59, 0
	s_mul_i32 s1, s55, s1
	s_add_u32 s1, s56, s1
	s_addc_u32 s56, 0, s57
	s_add_u32 s57, s0, s1
	s_cselect_b64 s[0:1], -1, 0
	s_cmp_lg_u64 s[0:1], 0
	s_addc_u32 s55, s55, s56
	s_mul_i32 s0, s43, s55
	s_mul_hi_u32 s1, s43, s57
	s_add_i32 s0, s1, s0
	s_mul_i32 s54, s54, s57
	s_add_i32 s0, s0, s54
	s_mul_i32 s43, s43, s57
	s_mul_hi_u32 s54, s55, s43
	s_mul_i32 s56, s55, s43
	s_mul_i32 s59, s57, s0
	s_mul_hi_u32 s43, s57, s43
	s_mul_hi_u32 s58, s57, s0
	s_add_u32 s43, s43, s59
	s_addc_u32 s58, 0, s58
	s_add_u32 s43, s43, s56
	s_mul_hi_u32 s1, s55, s0
	s_addc_u32 s43, s58, s54
	s_addc_u32 s1, s1, 0
	s_mul_i32 s0, s55, s0
	s_add_u32 s0, s43, s0
	s_addc_u32 s43, 0, s1
	s_add_u32 s54, s57, s0
	s_cselect_b64 s[0:1], -1, 0
	v_ashrrev_i32_e32 v3, 31, v11
	s_cmp_lg_u64 s[0:1], 0
	v_add_co_u32_e32 v5, vcc, v10, v3
	s_addc_u32 s43, s55, s43
	v_xor_b32_e32 v5, v5, v3
	v_addc_co_u32_e32 v7, vcc, v11, v3, vcc
	v_mad_u64_u32 v[11:12], s[0:1], v5, s43, 0
	v_mul_hi_u32 v9, v5, s54
	v_xor_b32_e32 v7, v7, v3
	v_mad_u64_u32 v[13:14], s[0:1], v7, s43, 0
	v_add_co_u32_e32 v9, vcc, v9, v11
	v_addc_co_u32_e32 v15, vcc, 0, v12, vcc
	v_mad_u64_u32 v[11:12], s[0:1], v7, s54, 0
	v_xor_b32_e32 v3, s42, v3
	v_add_co_u32_e32 v9, vcc, v9, v11
	v_addc_co_u32_e32 v9, vcc, v15, v12, vcc
	v_addc_co_u32_e32 v11, vcc, 0, v14, vcc
	v_add_co_u32_e32 v9, vcc, v9, v13
	v_addc_co_u32_e32 v13, vcc, 0, v11, vcc
	v_mul_lo_u32 v14, s45, v9
	v_mul_lo_u32 v15, s44, v13
	v_mad_u64_u32 v[11:12], s[0:1], s44, v9, 0
	v_add3_u32 v12, v12, v15, v14
	v_sub_u32_e32 v14, v7, v12
	v_mov_b32_e32 v15, s45
	v_sub_co_u32_e32 v5, vcc, v5, v11
	v_subb_co_u32_e64 v11, s[0:1], v14, v15, vcc
	v_subrev_co_u32_e64 v14, s[0:1], s44, v5
	v_subbrev_co_u32_e64 v11, s[0:1], 0, v11, s[0:1]
	v_cmp_le_u32_e64 s[0:1], s45, v11
	v_cndmask_b32_e64 v15, 0, -1, s[0:1]
	v_cmp_le_u32_e64 s[0:1], s44, v14
	v_cndmask_b32_e64 v14, 0, -1, s[0:1]
	v_cmp_eq_u32_e64 s[0:1], s45, v11
	v_cndmask_b32_e64 v11, v15, v14, s[0:1]
	v_add_co_u32_e64 v14, s[0:1], 2, v9
	v_subb_co_u32_e32 v7, vcc, v7, v12, vcc
	v_addc_co_u32_e64 v15, s[0:1], 0, v13, s[0:1]
	v_cmp_le_u32_e32 vcc, s45, v7
	v_add_co_u32_e64 v16, s[0:1], 1, v9
	v_cndmask_b32_e64 v12, 0, -1, vcc
	v_cmp_le_u32_e32 vcc, s44, v5
	v_addc_co_u32_e64 v17, s[0:1], 0, v13, s[0:1]
	v_cndmask_b32_e64 v5, 0, -1, vcc
	v_cmp_eq_u32_e32 vcc, s45, v7
	v_cmp_ne_u32_e64 s[0:1], 0, v11
	v_cndmask_b32_e32 v5, v12, v5, vcc
	v_cmp_ne_u32_e32 vcc, 0, v5
	v_cndmask_b32_e64 v7, v16, v14, s[0:1]
	v_cndmask_b32_e64 v11, v17, v15, s[0:1]
	v_cndmask_b32_e32 v7, v9, v7, vcc
	v_cndmask_b32_e32 v5, v13, v11, vcc
	v_xor_b32_e32 v7, v7, v3
	v_xor_b32_e32 v5, v5, v3
	v_sub_co_u32_e32 v12, vcc, v7, v3
	v_subb_co_u32_e32 v13, vcc, v5, v3, vcc
.LBB85_27:                              ;   in Loop: Header=BB85_21 Depth=2
	s_andn2_saveexec_b64 s[0:1], s[38:39]
	s_cbranch_execz .LBB85_29
; %bb.28:                               ;   in Loop: Header=BB85_21 Depth=2
	v_cvt_f32_u32_e32 v3, s53
	s_sub_i32 s38, 0, s53
	v_mov_b32_e32 v13, v2
	v_rcp_iflag_f32_e32 v3, v3
	v_mul_f32_e32 v3, 0x4f7ffffe, v3
	v_cvt_u32_f32_e32 v3, v3
	v_mul_lo_u32 v5, s38, v3
	v_mul_hi_u32 v5, v3, v5
	v_add_u32_e32 v3, v3, v5
	v_mul_hi_u32 v3, v10, v3
	v_mul_lo_u32 v5, v3, s53
	v_add_u32_e32 v7, 1, v3
	v_sub_u32_e32 v5, v10, v5
	v_subrev_u32_e32 v9, s53, v5
	v_cmp_le_u32_e32 vcc, s53, v5
	v_cndmask_b32_e32 v5, v5, v9, vcc
	v_cndmask_b32_e32 v3, v3, v7, vcc
	v_add_u32_e32 v7, 1, v3
	v_cmp_le_u32_e32 vcc, s53, v5
	v_cndmask_b32_e32 v12, v3, v7, vcc
.LBB85_29:                              ;   in Loop: Header=BB85_21 Depth=2
	s_or_b64 exec, exec, s[0:1]
	s_add_u32 s0, s4, s40
	s_addc_u32 s1, s5, s41
	s_add_i32 s38, s20, -2
	s_mov_b32 s39, s21
	s_lshl_b64 s[38:39], s[38:39], 2
	s_add_u32 s40, s46, s38
	s_addc_u32 s41, s47, s39
	s_load_dword s55, s[40:41], 0x8
	s_load_dword s56, s[36:37], 0x6c
	;; [unrolled: 1-line block ×3, first 2 shown]
                                        ; implicit-def: $vgpr14_vgpr15
	s_waitcnt lgkmcnt(0)
	s_ashr_i32 s0, s55, 31
	v_or_b32_e32 v3, s0, v13
	v_cmp_ne_u64_e32 vcc, 0, v[2:3]
	s_and_saveexec_b64 s[36:37], vcc
	s_xor_b64 s[36:37], exec, s[36:37]
	s_cbranch_execz .LBB85_31
; %bb.30:                               ;   in Loop: Header=BB85_21 Depth=2
	s_ashr_i32 s42, s0, 31
	s_add_u32 s44, s55, s42
	s_mov_b32 s43, s42
	s_addc_u32 s45, s0, s42
	s_xor_b64 s[44:45], s[44:45], s[42:43]
	v_cvt_f32_u32_e32 v3, s44
	v_cvt_f32_u32_e32 v5, s45
	s_sub_u32 s43, 0, s44
	s_subb_u32 s57, 0, s45
	v_mac_f32_e32 v3, 0x4f800000, v5
	v_rcp_f32_e32 v3, v3
	v_mul_f32_e32 v3, 0x5f7ffffc, v3
	v_mul_f32_e32 v5, 0x2f800000, v3
	v_trunc_f32_e32 v5, v5
	v_mac_f32_e32 v3, 0xcf800000, v5
	v_cvt_u32_f32_e32 v5, v5
	v_cvt_u32_f32_e32 v3, v3
	v_readfirstlane_b32 s58, v5
	v_readfirstlane_b32 s0, v3
	s_mul_i32 s1, s43, s58
	s_mul_hi_u32 s60, s43, s0
	s_mul_i32 s59, s57, s0
	s_add_i32 s1, s60, s1
	s_add_i32 s1, s1, s59
	s_mul_i32 s61, s43, s0
	s_mul_i32 s60, s0, s1
	s_mul_hi_u32 s62, s0, s61
	s_mul_hi_u32 s59, s0, s1
	s_add_u32 s60, s62, s60
	s_addc_u32 s59, 0, s59
	s_mul_hi_u32 s63, s58, s61
	s_mul_i32 s61, s58, s61
	s_add_u32 s60, s60, s61
	s_mul_hi_u32 s62, s58, s1
	s_addc_u32 s59, s59, s63
	s_addc_u32 s60, s62, 0
	s_mul_i32 s1, s58, s1
	s_add_u32 s1, s59, s1
	s_addc_u32 s59, 0, s60
	s_add_u32 s60, s0, s1
	s_cselect_b64 s[0:1], -1, 0
	s_cmp_lg_u64 s[0:1], 0
	s_addc_u32 s58, s58, s59
	s_mul_i32 s0, s43, s58
	s_mul_hi_u32 s1, s43, s60
	s_add_i32 s0, s1, s0
	s_mul_i32 s57, s57, s60
	s_add_i32 s0, s0, s57
	s_mul_i32 s43, s43, s60
	s_mul_hi_u32 s57, s58, s43
	s_mul_i32 s59, s58, s43
	s_mul_i32 s62, s60, s0
	s_mul_hi_u32 s43, s60, s43
	s_mul_hi_u32 s61, s60, s0
	s_add_u32 s43, s43, s62
	s_addc_u32 s61, 0, s61
	s_add_u32 s43, s43, s59
	s_mul_hi_u32 s1, s58, s0
	s_addc_u32 s43, s61, s57
	s_addc_u32 s1, s1, 0
	s_mul_i32 s0, s58, s0
	s_add_u32 s0, s43, s0
	s_addc_u32 s43, 0, s1
	s_add_u32 s57, s60, s0
	s_cselect_b64 s[0:1], -1, 0
	v_ashrrev_i32_e32 v3, 31, v13
	s_cmp_lg_u64 s[0:1], 0
	v_add_co_u32_e32 v5, vcc, v12, v3
	s_addc_u32 s43, s58, s43
	v_xor_b32_e32 v5, v5, v3
	v_addc_co_u32_e32 v7, vcc, v13, v3, vcc
	v_mad_u64_u32 v[13:14], s[0:1], v5, s43, 0
	v_mul_hi_u32 v9, v5, s57
	v_xor_b32_e32 v7, v7, v3
	v_mad_u64_u32 v[15:16], s[0:1], v7, s43, 0
	v_add_co_u32_e32 v9, vcc, v9, v13
	v_addc_co_u32_e32 v11, vcc, 0, v14, vcc
	v_mad_u64_u32 v[13:14], s[0:1], v7, s57, 0
	v_xor_b32_e32 v3, s42, v3
	v_add_co_u32_e32 v9, vcc, v9, v13
	v_addc_co_u32_e32 v9, vcc, v11, v14, vcc
	v_addc_co_u32_e32 v11, vcc, 0, v16, vcc
	v_add_co_u32_e32 v9, vcc, v9, v15
	v_addc_co_u32_e32 v11, vcc, 0, v11, vcc
	v_mul_lo_u32 v15, s45, v9
	v_mul_lo_u32 v16, s44, v11
	v_mad_u64_u32 v[13:14], s[0:1], s44, v9, 0
	v_add3_u32 v14, v14, v16, v15
	v_sub_u32_e32 v15, v7, v14
	v_mov_b32_e32 v16, s45
	v_sub_co_u32_e32 v5, vcc, v5, v13
	v_subb_co_u32_e64 v13, s[0:1], v15, v16, vcc
	v_subrev_co_u32_e64 v15, s[0:1], s44, v5
	v_subbrev_co_u32_e64 v13, s[0:1], 0, v13, s[0:1]
	v_cmp_le_u32_e64 s[0:1], s45, v13
	v_cndmask_b32_e64 v16, 0, -1, s[0:1]
	v_cmp_le_u32_e64 s[0:1], s44, v15
	v_cndmask_b32_e64 v15, 0, -1, s[0:1]
	v_cmp_eq_u32_e64 s[0:1], s45, v13
	v_cndmask_b32_e64 v13, v16, v15, s[0:1]
	v_add_co_u32_e64 v15, s[0:1], 2, v9
	v_subb_co_u32_e32 v7, vcc, v7, v14, vcc
	v_addc_co_u32_e64 v16, s[0:1], 0, v11, s[0:1]
	v_cmp_le_u32_e32 vcc, s45, v7
	v_add_co_u32_e64 v17, s[0:1], 1, v9
	v_cndmask_b32_e64 v14, 0, -1, vcc
	v_cmp_le_u32_e32 vcc, s44, v5
	v_addc_co_u32_e64 v20, s[0:1], 0, v11, s[0:1]
	v_cndmask_b32_e64 v5, 0, -1, vcc
	v_cmp_eq_u32_e32 vcc, s45, v7
	v_cmp_ne_u32_e64 s[0:1], 0, v13
	v_cndmask_b32_e32 v5, v14, v5, vcc
	v_cmp_ne_u32_e32 vcc, 0, v5
	v_cndmask_b32_e64 v7, v17, v15, s[0:1]
	v_cndmask_b32_e64 v13, v20, v16, s[0:1]
	v_cndmask_b32_e32 v7, v9, v7, vcc
	v_cndmask_b32_e32 v5, v11, v13, vcc
	v_xor_b32_e32 v7, v7, v3
	v_xor_b32_e32 v5, v5, v3
	v_sub_co_u32_e32 v14, vcc, v7, v3
	v_subb_co_u32_e32 v15, vcc, v5, v3, vcc
.LBB85_31:                              ;   in Loop: Header=BB85_21 Depth=2
	s_andn2_saveexec_b64 s[0:1], s[36:37]
	s_cbranch_execz .LBB85_33
; %bb.32:                               ;   in Loop: Header=BB85_21 Depth=2
	v_cvt_f32_u32_e32 v3, s55
	s_sub_i32 s36, 0, s55
	v_mov_b32_e32 v15, v2
	v_rcp_iflag_f32_e32 v3, v3
	v_mul_f32_e32 v3, 0x4f7ffffe, v3
	v_cvt_u32_f32_e32 v3, v3
	v_mul_lo_u32 v5, s36, v3
	v_mul_hi_u32 v5, v3, v5
	v_add_u32_e32 v3, v3, v5
	v_mul_hi_u32 v3, v12, v3
	v_mul_lo_u32 v5, v3, s55
	v_add_u32_e32 v7, 1, v3
	v_sub_u32_e32 v5, v12, v5
	v_subrev_u32_e32 v9, s55, v5
	v_cmp_le_u32_e32 vcc, s55, v5
	v_cndmask_b32_e32 v5, v5, v9, vcc
	v_cndmask_b32_e32 v3, v3, v7, vcc
	v_add_u32_e32 v7, 1, v3
	v_cmp_le_u32_e32 vcc, s55, v5
	v_cndmask_b32_e32 v14, v3, v7, vcc
.LBB85_33:                              ;   in Loop: Header=BB85_21 Depth=2
	s_or_b64 exec, exec, s[0:1]
	s_add_u32 s0, s4, s38
	s_addc_u32 s1, s5, s39
	s_add_i32 s36, s20, -3
	s_mov_b32 s37, s21
	s_lshl_b64 s[36:37], s[36:37], 2
	s_add_u32 s38, s46, s36
	s_addc_u32 s39, s47, s37
	s_load_dword s58, s[38:39], 0x8
	s_load_dword s59, s[40:41], 0x6c
	;; [unrolled: 1-line block ×3, first 2 shown]
                                        ; implicit-def: $vgpr16_vgpr17
	s_waitcnt lgkmcnt(0)
	s_ashr_i32 s0, s58, 31
	v_or_b32_e32 v3, s0, v15
	v_cmp_ne_u64_e32 vcc, 0, v[2:3]
	s_and_saveexec_b64 s[40:41], vcc
	s_xor_b64 s[40:41], exec, s[40:41]
	s_cbranch_execz .LBB85_35
; %bb.34:                               ;   in Loop: Header=BB85_21 Depth=2
	s_ashr_i32 s42, s0, 31
	s_add_u32 s44, s58, s42
	s_mov_b32 s43, s42
	s_addc_u32 s45, s0, s42
	s_xor_b64 s[44:45], s[44:45], s[42:43]
	v_cvt_f32_u32_e32 v3, s44
	v_cvt_f32_u32_e32 v5, s45
	s_sub_u32 s43, 0, s44
	s_subb_u32 s60, 0, s45
	v_mac_f32_e32 v3, 0x4f800000, v5
	v_rcp_f32_e32 v3, v3
	v_mul_f32_e32 v3, 0x5f7ffffc, v3
	v_mul_f32_e32 v5, 0x2f800000, v3
	v_trunc_f32_e32 v5, v5
	v_mac_f32_e32 v3, 0xcf800000, v5
	v_cvt_u32_f32_e32 v5, v5
	v_cvt_u32_f32_e32 v3, v3
	v_readfirstlane_b32 s61, v5
	v_readfirstlane_b32 s0, v3
	s_mul_i32 s1, s43, s61
	s_mul_hi_u32 s63, s43, s0
	s_mul_i32 s62, s60, s0
	s_add_i32 s1, s63, s1
	s_add_i32 s1, s1, s62
	s_mul_i32 s64, s43, s0
	s_mul_i32 s63, s0, s1
	s_mul_hi_u32 s65, s0, s64
	s_mul_hi_u32 s62, s0, s1
	s_add_u32 s63, s65, s63
	s_addc_u32 s62, 0, s62
	s_mul_hi_u32 s66, s61, s64
	s_mul_i32 s64, s61, s64
	s_add_u32 s63, s63, s64
	s_mul_hi_u32 s65, s61, s1
	s_addc_u32 s62, s62, s66
	s_addc_u32 s63, s65, 0
	s_mul_i32 s1, s61, s1
	s_add_u32 s1, s62, s1
	s_addc_u32 s62, 0, s63
	s_add_u32 s63, s0, s1
	s_cselect_b64 s[0:1], -1, 0
	s_cmp_lg_u64 s[0:1], 0
	s_addc_u32 s61, s61, s62
	s_mul_i32 s0, s43, s61
	s_mul_hi_u32 s1, s43, s63
	s_add_i32 s0, s1, s0
	s_mul_i32 s60, s60, s63
	s_add_i32 s0, s0, s60
	s_mul_i32 s43, s43, s63
	s_mul_hi_u32 s60, s61, s43
	s_mul_i32 s62, s61, s43
	s_mul_i32 s65, s63, s0
	s_mul_hi_u32 s43, s63, s43
	s_mul_hi_u32 s64, s63, s0
	s_add_u32 s43, s43, s65
	s_addc_u32 s64, 0, s64
	s_add_u32 s43, s43, s62
	s_mul_hi_u32 s1, s61, s0
	s_addc_u32 s43, s64, s60
	s_addc_u32 s1, s1, 0
	s_mul_i32 s0, s61, s0
	s_add_u32 s0, s43, s0
	s_addc_u32 s43, 0, s1
	s_add_u32 s60, s63, s0
	s_cselect_b64 s[0:1], -1, 0
	v_ashrrev_i32_e32 v3, 31, v15
	s_cmp_lg_u64 s[0:1], 0
	v_add_co_u32_e32 v5, vcc, v14, v3
	s_addc_u32 s43, s61, s43
	v_xor_b32_e32 v5, v5, v3
	v_addc_co_u32_e32 v7, vcc, v15, v3, vcc
	v_mad_u64_u32 v[15:16], s[0:1], v5, s43, 0
	v_mul_hi_u32 v9, v5, s60
	v_xor_b32_e32 v7, v7, v3
	v_mad_u64_u32 v[20:21], s[0:1], v7, s43, 0
	v_add_co_u32_e32 v9, vcc, v9, v15
	v_addc_co_u32_e32 v11, vcc, 0, v16, vcc
	v_mad_u64_u32 v[15:16], s[0:1], v7, s60, 0
	v_xor_b32_e32 v3, s42, v3
	v_add_co_u32_e32 v9, vcc, v9, v15
	v_addc_co_u32_e32 v9, vcc, v11, v16, vcc
	v_addc_co_u32_e32 v11, vcc, 0, v21, vcc
	v_add_co_u32_e32 v9, vcc, v9, v20
	v_addc_co_u32_e32 v11, vcc, 0, v11, vcc
	v_mul_lo_u32 v13, s45, v9
	v_mul_lo_u32 v17, s44, v11
	v_mad_u64_u32 v[15:16], s[0:1], s44, v9, 0
	v_add3_u32 v13, v16, v17, v13
	v_sub_u32_e32 v16, v7, v13
	v_mov_b32_e32 v17, s45
	v_sub_co_u32_e32 v5, vcc, v5, v15
	v_subb_co_u32_e64 v15, s[0:1], v16, v17, vcc
	v_subrev_co_u32_e64 v16, s[0:1], s44, v5
	v_subbrev_co_u32_e64 v15, s[0:1], 0, v15, s[0:1]
	v_cmp_le_u32_e64 s[0:1], s45, v15
	v_cndmask_b32_e64 v17, 0, -1, s[0:1]
	v_cmp_le_u32_e64 s[0:1], s44, v16
	v_cndmask_b32_e64 v16, 0, -1, s[0:1]
	v_cmp_eq_u32_e64 s[0:1], s45, v15
	v_cndmask_b32_e64 v15, v17, v16, s[0:1]
	v_add_co_u32_e64 v16, s[0:1], 2, v9
	v_subb_co_u32_e32 v7, vcc, v7, v13, vcc
	v_addc_co_u32_e64 v17, s[0:1], 0, v11, s[0:1]
	v_cmp_le_u32_e32 vcc, s45, v7
	v_add_co_u32_e64 v20, s[0:1], 1, v9
	v_cndmask_b32_e64 v13, 0, -1, vcc
	v_cmp_le_u32_e32 vcc, s44, v5
	v_addc_co_u32_e64 v21, s[0:1], 0, v11, s[0:1]
	v_cndmask_b32_e64 v5, 0, -1, vcc
	v_cmp_eq_u32_e32 vcc, s45, v7
	v_cmp_ne_u32_e64 s[0:1], 0, v15
	v_cndmask_b32_e32 v5, v13, v5, vcc
	v_cmp_ne_u32_e32 vcc, 0, v5
	v_cndmask_b32_e64 v7, v20, v16, s[0:1]
	v_cndmask_b32_e64 v15, v21, v17, s[0:1]
	v_cndmask_b32_e32 v7, v9, v7, vcc
	v_cndmask_b32_e32 v5, v11, v15, vcc
	v_xor_b32_e32 v7, v7, v3
	v_xor_b32_e32 v5, v5, v3
	v_sub_co_u32_e32 v16, vcc, v7, v3
	v_subb_co_u32_e32 v17, vcc, v5, v3, vcc
.LBB85_35:                              ;   in Loop: Header=BB85_21 Depth=2
	s_andn2_saveexec_b64 s[0:1], s[40:41]
	s_cbranch_execz .LBB85_37
; %bb.36:                               ;   in Loop: Header=BB85_21 Depth=2
	v_cvt_f32_u32_e32 v3, s58
	s_sub_i32 s40, 0, s58
	v_mov_b32_e32 v17, v2
	v_rcp_iflag_f32_e32 v3, v3
	v_mul_f32_e32 v3, 0x4f7ffffe, v3
	v_cvt_u32_f32_e32 v3, v3
	v_mul_lo_u32 v5, s40, v3
	v_mul_hi_u32 v5, v3, v5
	v_add_u32_e32 v3, v3, v5
	v_mul_hi_u32 v3, v14, v3
	v_mul_lo_u32 v5, v3, s58
	v_add_u32_e32 v7, 1, v3
	v_sub_u32_e32 v5, v14, v5
	v_subrev_u32_e32 v9, s58, v5
	v_cmp_le_u32_e32 vcc, s58, v5
	v_cndmask_b32_e32 v5, v5, v9, vcc
	v_cndmask_b32_e32 v3, v3, v7, vcc
	v_add_u32_e32 v7, 1, v3
	v_cmp_le_u32_e32 vcc, s58, v5
	v_cndmask_b32_e32 v16, v3, v7, vcc
.LBB85_37:                              ;   in Loop: Header=BB85_21 Depth=2
	s_or_b64 exec, exec, s[0:1]
	v_mul_lo_u32 v3, v10, s15
	v_mul_lo_u32 v5, v12, s53
	;; [unrolled: 1-line block ×3, first 2 shown]
	s_add_u32 s0, s4, s36
	v_sub_u32_e32 v3, v8, v3
	v_sub_u32_e32 v5, v10, v5
	v_mul_lo_u32 v7, s35, v3
	v_mul_lo_u32 v8, s56, v5
	s_addc_u32 s1, s5, s37
	s_load_dword s15, s[38:39], 0x6c
	v_mul_lo_u32 v3, s17, v3
	v_add3_u32 v6, v7, v6, v8
	v_sub_u32_e32 v7, v12, v9
	v_mul_lo_u32 v9, v16, s58
	s_load_dword s0, s[0:1], 0x6c
	v_mul_lo_u32 v5, s54, v5
	v_mul_lo_u32 v8, s59, v7
	v_sub_u32_e32 v9, v14, v9
	s_waitcnt lgkmcnt(0)
	v_mul_lo_u32 v10, s15, v9
	v_add3_u32 v3, v3, v4, v5
	v_mul_lo_u32 v4, s57, v7
	v_mul_lo_u32 v5, s0, v9
	s_add_i32 s20, s20, -4
	v_add3_u32 v6, v8, v6, v10
	s_cmp_eq_u32 s20, -1
	v_add3_u32 v4, v4, v3, v5
	s_cbranch_scc1 .LBB85_39
; %bb.38:                               ;   in Loop: Header=BB85_21 Depth=2
	v_mov_b32_e32 v8, v16
	v_mov_b32_e32 v9, v17
	s_branch .LBB85_21
.LBB85_39:                              ;   in Loop: Header=BB85_3 Depth=1
	v_sub_u32_e32 v5, v18, v19
	v_add_u32_e32 v7, 2, v5
	v_ashrrev_i32_e32 v8, 31, v7
	v_cmp_le_i64_e32 vcc, s[8:9], v[7:8]
	v_mov_b32_e32 v7, 0
	v_mov_b32_e32 v8, 0
	;; [unrolled: 1-line block ×4, first 2 shown]
	s_and_saveexec_b64 s[0:1], vcc
	s_cbranch_execz .LBB85_45
; %bb.40:                               ;   in Loop: Header=BB85_3 Depth=1
	v_cmp_gt_i32_e32 vcc, s7, v18
	v_mov_b32_e32 v8, 0
	v_mov_b32_e32 v7, 0
	;; [unrolled: 1-line block ×4, first 2 shown]
	s_and_saveexec_b64 s[36:37], vcc
	s_cbranch_execz .LBB85_44
; %bb.41:                               ;   in Loop: Header=BB85_3 Depth=1
	v_ashrrev_i32_e32 v7, 31, v6
	v_lshlrev_b64 v[6:7], 3, v[6:7]
	v_mov_b32_e32 v3, s3
	v_add_co_u32_e32 v11, vcc, s2, v6
	v_addc_co_u32_e32 v12, vcc, v3, v7, vcc
	global_load_dwordx2 v[7:8], v[11:12], off
	v_add_u32_e32 v3, 1, v18
	v_cmp_gt_i32_e32 vcc, s7, v3
	v_mov_b32_e32 v9, 0
	v_mov_b32_e32 v10, 0
	s_and_saveexec_b64 s[38:39], vcc
	s_xor_b64 s[38:39], exec, s[38:39]
	s_cbranch_execz .LBB85_43
; %bb.42:                               ;   in Loop: Header=BB85_3 Depth=1
	s_lshl_b64 s[40:41], s[26:27], 3
	v_mov_b32_e32 v3, s41
	v_add_co_u32_e32 v9, vcc, s40, v11
	v_addc_co_u32_e32 v10, vcc, v12, v3, vcc
	global_load_dwordx2 v[9:10], v[9:10], off
.LBB85_43:                              ;   in Loop: Header=BB85_3 Depth=1
	s_or_b64 exec, exec, s[38:39]
.LBB85_44:                              ;   in Loop: Header=BB85_3 Depth=1
	s_or_b64 exec, exec, s[36:37]
	v_ashrrev_i32_e32 v6, 31, v5
	v_cmp_gt_i64_e32 vcc, s[8:9], v[5:6]
	v_add_u32_e32 v5, 1, v5
	v_ashrrev_i32_e32 v6, 31, v5
	s_waitcnt vmcnt(0)
	v_cndmask_b32_e64 v11, v7, 0, vcc
	v_cndmask_b32_e64 v12, v8, 0, vcc
	v_cmp_gt_i64_e32 vcc, s[8:9], v[5:6]
	v_cndmask_b32_e64 v7, v9, 0, vcc
	v_cndmask_b32_e64 v8, v10, 0, vcc
.LBB85_45:                              ;   in Loop: Header=BB85_3 Depth=1
	s_or_b64 exec, exec, s[0:1]
	v_cmp_gt_i32_e32 vcc, s7, v18
	s_and_saveexec_b64 s[0:1], vcc
	s_cbranch_execz .LBB85_2
; %bb.46:                               ;   in Loop: Header=BB85_3 Depth=1
	v_ashrrev_i32_e32 v5, 31, v4
	v_lshlrev_b64 v[3:4], 3, v[4:5]
	v_mov_b32_e32 v5, s19
	v_add_co_u32_e32 v3, vcc, s18, v3
	v_addc_co_u32_e32 v4, vcc, v5, v4, vcc
	v_add_u32_e32 v5, 1, v18
	v_cmp_gt_i32_e32 vcc, s7, v5
	global_store_dwordx2 v[3:4], v[11:12], off
	s_and_saveexec_b64 s[36:37], vcc
	s_xor_b64 s[36:37], exec, s[36:37]
	s_cbranch_execz .LBB85_2
; %bb.47:                               ;   in Loop: Header=BB85_3 Depth=1
	s_lshl_b64 s[36:37], s[28:29], 3
	v_mov_b32_e32 v5, s37
	v_add_co_u32_e32 v3, vcc, s36, v3
	v_addc_co_u32_e32 v4, vcc, v4, v5, vcc
	global_store_dwordx2 v[3:4], v[7:8], off
	s_branch .LBB85_2
.LBB85_48:
	s_endpgm
	.section	.rodata,"a",@progbits
	.p2align	6, 0x0
	.amdhsa_kernel _ZN2at6native16triu_tril_kernelIN3c107complexIfEEiLb1ELi2ELb0EEEvNS_4cuda6detail10TensorInfoIT_T0_EENS7_IKS8_S9_EEllS9_
		.amdhsa_group_segment_fixed_size 0
		.amdhsa_private_segment_fixed_size 0
		.amdhsa_kernarg_size 712
		.amdhsa_user_sgpr_count 6
		.amdhsa_user_sgpr_private_segment_buffer 1
		.amdhsa_user_sgpr_dispatch_ptr 0
		.amdhsa_user_sgpr_queue_ptr 0
		.amdhsa_user_sgpr_kernarg_segment_ptr 1
		.amdhsa_user_sgpr_dispatch_id 0
		.amdhsa_user_sgpr_flat_scratch_init 0
		.amdhsa_user_sgpr_private_segment_size 0
		.amdhsa_uses_dynamic_stack 0
		.amdhsa_system_sgpr_private_segment_wavefront_offset 0
		.amdhsa_system_sgpr_workgroup_id_x 1
		.amdhsa_system_sgpr_workgroup_id_y 0
		.amdhsa_system_sgpr_workgroup_id_z 0
		.amdhsa_system_sgpr_workgroup_info 0
		.amdhsa_system_vgpr_workitem_id 0
		.amdhsa_next_free_vgpr 22
		.amdhsa_next_free_sgpr 67
		.amdhsa_reserve_vcc 1
		.amdhsa_reserve_flat_scratch 0
		.amdhsa_float_round_mode_32 0
		.amdhsa_float_round_mode_16_64 0
		.amdhsa_float_denorm_mode_32 3
		.amdhsa_float_denorm_mode_16_64 3
		.amdhsa_dx10_clamp 1
		.amdhsa_ieee_mode 1
		.amdhsa_fp16_overflow 0
		.amdhsa_exception_fp_ieee_invalid_op 0
		.amdhsa_exception_fp_denorm_src 0
		.amdhsa_exception_fp_ieee_div_zero 0
		.amdhsa_exception_fp_ieee_overflow 0
		.amdhsa_exception_fp_ieee_underflow 0
		.amdhsa_exception_fp_ieee_inexact 0
		.amdhsa_exception_int_div_zero 0
	.end_amdhsa_kernel
	.section	.text._ZN2at6native16triu_tril_kernelIN3c107complexIfEEiLb1ELi2ELb0EEEvNS_4cuda6detail10TensorInfoIT_T0_EENS7_IKS8_S9_EEllS9_,"axG",@progbits,_ZN2at6native16triu_tril_kernelIN3c107complexIfEEiLb1ELi2ELb0EEEvNS_4cuda6detail10TensorInfoIT_T0_EENS7_IKS8_S9_EEllS9_,comdat
.Lfunc_end85:
	.size	_ZN2at6native16triu_tril_kernelIN3c107complexIfEEiLb1ELi2ELb0EEEvNS_4cuda6detail10TensorInfoIT_T0_EENS7_IKS8_S9_EEllS9_, .Lfunc_end85-_ZN2at6native16triu_tril_kernelIN3c107complexIfEEiLb1ELi2ELb0EEEvNS_4cuda6detail10TensorInfoIT_T0_EENS7_IKS8_S9_EEllS9_
                                        ; -- End function
	.set _ZN2at6native16triu_tril_kernelIN3c107complexIfEEiLb1ELi2ELb0EEEvNS_4cuda6detail10TensorInfoIT_T0_EENS7_IKS8_S9_EEllS9_.num_vgpr, 22
	.set _ZN2at6native16triu_tril_kernelIN3c107complexIfEEiLb1ELi2ELb0EEEvNS_4cuda6detail10TensorInfoIT_T0_EENS7_IKS8_S9_EEllS9_.num_agpr, 0
	.set _ZN2at6native16triu_tril_kernelIN3c107complexIfEEiLb1ELi2ELb0EEEvNS_4cuda6detail10TensorInfoIT_T0_EENS7_IKS8_S9_EEllS9_.numbered_sgpr, 67
	.set _ZN2at6native16triu_tril_kernelIN3c107complexIfEEiLb1ELi2ELb0EEEvNS_4cuda6detail10TensorInfoIT_T0_EENS7_IKS8_S9_EEllS9_.num_named_barrier, 0
	.set _ZN2at6native16triu_tril_kernelIN3c107complexIfEEiLb1ELi2ELb0EEEvNS_4cuda6detail10TensorInfoIT_T0_EENS7_IKS8_S9_EEllS9_.private_seg_size, 0
	.set _ZN2at6native16triu_tril_kernelIN3c107complexIfEEiLb1ELi2ELb0EEEvNS_4cuda6detail10TensorInfoIT_T0_EENS7_IKS8_S9_EEllS9_.uses_vcc, 1
	.set _ZN2at6native16triu_tril_kernelIN3c107complexIfEEiLb1ELi2ELb0EEEvNS_4cuda6detail10TensorInfoIT_T0_EENS7_IKS8_S9_EEllS9_.uses_flat_scratch, 0
	.set _ZN2at6native16triu_tril_kernelIN3c107complexIfEEiLb1ELi2ELb0EEEvNS_4cuda6detail10TensorInfoIT_T0_EENS7_IKS8_S9_EEllS9_.has_dyn_sized_stack, 0
	.set _ZN2at6native16triu_tril_kernelIN3c107complexIfEEiLb1ELi2ELb0EEEvNS_4cuda6detail10TensorInfoIT_T0_EENS7_IKS8_S9_EEllS9_.has_recursion, 0
	.set _ZN2at6native16triu_tril_kernelIN3c107complexIfEEiLb1ELi2ELb0EEEvNS_4cuda6detail10TensorInfoIT_T0_EENS7_IKS8_S9_EEllS9_.has_indirect_call, 0
	.section	.AMDGPU.csdata,"",@progbits
; Kernel info:
; codeLenInByte = 6392
; TotalNumSgprs: 71
; NumVgprs: 22
; ScratchSize: 0
; MemoryBound: 0
; FloatMode: 240
; IeeeMode: 1
; LDSByteSize: 0 bytes/workgroup (compile time only)
; SGPRBlocks: 8
; VGPRBlocks: 5
; NumSGPRsForWavesPerEU: 71
; NumVGPRsForWavesPerEU: 22
; Occupancy: 10
; WaveLimiterHint : 1
; COMPUTE_PGM_RSRC2:SCRATCH_EN: 0
; COMPUTE_PGM_RSRC2:USER_SGPR: 6
; COMPUTE_PGM_RSRC2:TRAP_HANDLER: 0
; COMPUTE_PGM_RSRC2:TGID_X_EN: 1
; COMPUTE_PGM_RSRC2:TGID_Y_EN: 0
; COMPUTE_PGM_RSRC2:TGID_Z_EN: 0
; COMPUTE_PGM_RSRC2:TIDIG_COMP_CNT: 0
	.section	.text._ZN2at6native16triu_tril_kernelIN3c107complexIfEElLb1ELi2ELb1EEEvNS_4cuda6detail10TensorInfoIT_T0_EENS7_IKS8_S9_EEllS9_,"axG",@progbits,_ZN2at6native16triu_tril_kernelIN3c107complexIfEElLb1ELi2ELb1EEEvNS_4cuda6detail10TensorInfoIT_T0_EENS7_IKS8_S9_EEllS9_,comdat
	.protected	_ZN2at6native16triu_tril_kernelIN3c107complexIfEElLb1ELi2ELb1EEEvNS_4cuda6detail10TensorInfoIT_T0_EENS7_IKS8_S9_EEllS9_ ; -- Begin function _ZN2at6native16triu_tril_kernelIN3c107complexIfEElLb1ELi2ELb1EEEvNS_4cuda6detail10TensorInfoIT_T0_EENS7_IKS8_S9_EEllS9_
	.globl	_ZN2at6native16triu_tril_kernelIN3c107complexIfEElLb1ELi2ELb1EEEvNS_4cuda6detail10TensorInfoIT_T0_EENS7_IKS8_S9_EEllS9_
	.p2align	8
	.type	_ZN2at6native16triu_tril_kernelIN3c107complexIfEElLb1ELi2ELb1EEEvNS_4cuda6detail10TensorInfoIT_T0_EENS7_IKS8_S9_EEllS9_,@function
_ZN2at6native16triu_tril_kernelIN3c107complexIfEElLb1ELi2ELb1EEEvNS_4cuda6detail10TensorInfoIT_T0_EENS7_IKS8_S9_EEllS9_: ; @_ZN2at6native16triu_tril_kernelIN3c107complexIfEElLb1ELi2ELb1EEEvNS_4cuda6detail10TensorInfoIT_T0_EENS7_IKS8_S9_EEllS9_
; %bb.0:
	s_load_dword s2, s[4:5], 0x364
	s_load_dwordx4 s[8:11], s[4:5], 0x340
	s_add_u32 s0, s4, 0x358
	v_mov_b32_e32 v2, 0
	s_addc_u32 s1, s5, 0
	s_waitcnt lgkmcnt(0)
	s_and_b32 s2, s2, 0xffff
	v_mov_b32_e32 v1, v2
	v_mov_b32_e32 v3, s6
	v_mad_u64_u32 v[0:1], s[6:7], s2, v3, v[0:1]
	v_lshlrev_b64 v[0:1], 1, v[0:1]
	v_cmp_gt_i64_e32 vcc, s[10:11], v[0:1]
	s_and_saveexec_b64 s[6:7], vcc
	s_cbranch_execz .LBB86_41
; %bb.1:
	s_load_dword s1, s[0:1], 0x0
	s_add_u32 s34, s4, 0x1a0
	s_load_dword s0, s[4:5], 0x338
	s_addc_u32 s35, s5, 0
	s_load_dwordx2 s[6:7], s[4:5], 0x350
	s_load_dwordx2 s[12:13], s[4:5], 0x0
	s_waitcnt lgkmcnt(0)
	s_mul_i32 s24, s1, s2
	s_mov_b32 s25, 0
	s_add_i32 s2, s0, -2
	s_ashr_i32 s3, s2, 31
	s_ashr_i32 s1, s0, 31
	s_lshl_b64 s[16:17], s[2:3], 3
	s_add_u32 s16, s34, s16
	s_addc_u32 s17, s35, s17
	s_lshl_b64 s[22:23], s[0:1], 3
	s_add_u32 s18, s4, s22
	s_addc_u32 s19, s5, s23
	s_add_i32 s20, s0, -3
	s_ashr_i32 s21, s20, 31
	s_add_u32 s22, s34, s22
	v_cmp_gt_i64_e64 s[14:15], s[0:1], 2
	s_addc_u32 s23, s35, s23
	s_lshl_b32 s33, s24, 1
	s_and_b32 s24, s2, 3
	s_and_b32 s0, s20, 3
	s_cmp_lg_u32 s0, 3
	s_cselect_b64 s[26:27], -1, 0
	s_cmp_gt_u32 s20, 2
	s_cselect_b64 s[28:29], -1, 0
	s_lshl_b64 s[0:1], s[20:21], 3
	s_add_u32 s2, s4, s0
	s_addc_u32 s3, s5, s1
	s_add_u32 s30, s2, 0xd0
	s_addc_u32 s31, s3, 0
	;; [unrolled: 2-line block ×3, first 2 shown]
	s_add_u32 s34, s0, 8
	s_load_dwordx2 s[16:17], s[16:17], 0x8
	s_addc_u32 s35, s1, 0
	s_add_u32 s64, s4, 0xb8
	s_addc_u32 s65, s5, 0
	s_add_u32 s66, s4, 0x190
	s_addc_u32 s67, s5, 0
	s_mov_b64 s[4:5], 0
	s_branch .LBB86_3
.LBB86_2:                               ;   in Loop: Header=BB86_3 Depth=1
	s_or_b64 exec, exec, s[36:37]
	v_add_co_u32_e32 v0, vcc, s33, v0
	v_addc_co_u32_e32 v1, vcc, 0, v1, vcc
	v_cmp_le_i64_e32 vcc, s[10:11], v[0:1]
	s_or_b64 s[4:5], vcc, s[4:5]
	s_andn2_b64 exec, exec, s[4:5]
	s_cbranch_execz .LBB86_41
.LBB86_3:                               ; =>This Loop Header: Depth=1
                                        ;     Child Loop BB86_17 Depth 2
                                        ;     Child Loop BB86_22 Depth 2
	v_or_b32_e32 v3, s7, v1
	v_cmp_ne_u64_e32 vcc, 0, v[2:3]
                                        ; implicit-def: $vgpr6_vgpr7
	s_and_saveexec_b64 s[0:1], vcc
	s_xor_b64 s[2:3], exec, s[0:1]
	s_cbranch_execz .LBB86_5
; %bb.4:                                ;   in Loop: Header=BB86_3 Depth=1
	s_ashr_i32 s36, s7, 31
	s_add_u32 s0, s6, s36
	s_mov_b32 s37, s36
	s_addc_u32 s1, s7, s36
	s_xor_b64 s[38:39], s[0:1], s[36:37]
	v_cvt_f32_u32_e32 v3, s38
	v_cvt_f32_u32_e32 v4, s39
	s_sub_u32 s37, 0, s38
	s_subb_u32 s40, 0, s39
	v_ashrrev_i32_e32 v7, 31, v1
	v_mac_f32_e32 v3, 0x4f800000, v4
	v_rcp_f32_e32 v3, v3
	v_mul_f32_e32 v3, 0x5f7ffffc, v3
	v_mul_f32_e32 v4, 0x2f800000, v3
	v_trunc_f32_e32 v4, v4
	v_mac_f32_e32 v3, 0xcf800000, v4
	v_cvt_u32_f32_e32 v4, v4
	v_cvt_u32_f32_e32 v3, v3
	v_readfirstlane_b32 s41, v4
	v_readfirstlane_b32 s0, v3
	s_mul_i32 s1, s37, s41
	s_mul_hi_u32 s43, s37, s0
	s_mul_i32 s42, s40, s0
	s_add_i32 s1, s43, s1
	s_add_i32 s1, s1, s42
	s_mul_i32 s44, s37, s0
	s_mul_i32 s43, s0, s1
	s_mul_hi_u32 s45, s0, s44
	s_mul_hi_u32 s42, s0, s1
	s_add_u32 s43, s45, s43
	s_addc_u32 s42, 0, s42
	s_mul_hi_u32 s46, s41, s44
	s_mul_i32 s44, s41, s44
	s_add_u32 s43, s43, s44
	s_mul_hi_u32 s45, s41, s1
	s_addc_u32 s42, s42, s46
	s_addc_u32 s43, s45, 0
	s_mul_i32 s1, s41, s1
	s_add_u32 s1, s42, s1
	s_addc_u32 s42, 0, s43
	s_add_u32 s43, s0, s1
	s_cselect_b64 s[0:1], -1, 0
	s_cmp_lg_u64 s[0:1], 0
	s_addc_u32 s41, s41, s42
	s_mul_i32 s0, s37, s41
	s_mul_hi_u32 s1, s37, s43
	s_add_i32 s0, s1, s0
	s_mul_i32 s40, s40, s43
	s_add_i32 s0, s0, s40
	s_mul_i32 s37, s37, s43
	s_mul_hi_u32 s40, s41, s37
	s_mul_i32 s42, s41, s37
	s_mul_i32 s45, s43, s0
	s_mul_hi_u32 s37, s43, s37
	s_mul_hi_u32 s44, s43, s0
	s_add_u32 s37, s37, s45
	s_addc_u32 s44, 0, s44
	s_add_u32 s37, s37, s42
	s_mul_hi_u32 s1, s41, s0
	s_addc_u32 s37, s44, s40
	s_addc_u32 s1, s1, 0
	s_mul_i32 s0, s41, s0
	s_add_u32 s0, s37, s0
	s_addc_u32 s37, 0, s1
	s_add_u32 s40, s43, s0
	s_cselect_b64 s[0:1], -1, 0
	s_cmp_lg_u64 s[0:1], 0
	v_add_co_u32_e32 v3, vcc, v0, v7
	s_addc_u32 s37, s41, s37
	v_xor_b32_e32 v8, v3, v7
	v_mad_u64_u32 v[3:4], s[0:1], v8, s37, 0
	v_mul_hi_u32 v6, v8, s40
	v_addc_co_u32_e32 v5, vcc, v1, v7, vcc
	v_xor_b32_e32 v9, v5, v7
	v_add_co_u32_e32 v10, vcc, v6, v3
	v_addc_co_u32_e32 v11, vcc, 0, v4, vcc
	v_mad_u64_u32 v[3:4], s[0:1], v9, s40, 0
	v_mad_u64_u32 v[5:6], s[0:1], v9, s37, 0
	v_add_co_u32_e32 v3, vcc, v10, v3
	v_addc_co_u32_e32 v3, vcc, v11, v4, vcc
	v_addc_co_u32_e32 v4, vcc, 0, v6, vcc
	v_add_co_u32_e32 v5, vcc, v3, v5
	v_addc_co_u32_e32 v6, vcc, 0, v4, vcc
	v_mul_lo_u32 v10, s39, v5
	v_mul_lo_u32 v11, s38, v6
	v_mad_u64_u32 v[3:4], s[0:1], s38, v5, 0
	v_add3_u32 v4, v4, v11, v10
	v_sub_u32_e32 v10, v9, v4
	v_mov_b32_e32 v11, s39
	v_sub_co_u32_e32 v3, vcc, v8, v3
	v_subb_co_u32_e64 v8, s[0:1], v10, v11, vcc
	v_subrev_co_u32_e64 v10, s[0:1], s38, v3
	v_subbrev_co_u32_e64 v8, s[0:1], 0, v8, s[0:1]
	v_cmp_le_u32_e64 s[0:1], s39, v8
	v_cndmask_b32_e64 v11, 0, -1, s[0:1]
	v_cmp_le_u32_e64 s[0:1], s38, v10
	v_cndmask_b32_e64 v10, 0, -1, s[0:1]
	v_cmp_eq_u32_e64 s[0:1], s39, v8
	v_cndmask_b32_e64 v8, v11, v10, s[0:1]
	v_add_co_u32_e64 v10, s[0:1], 2, v5
	v_subb_co_u32_e32 v4, vcc, v9, v4, vcc
	v_addc_co_u32_e64 v11, s[0:1], 0, v6, s[0:1]
	v_cmp_le_u32_e32 vcc, s39, v4
	v_add_co_u32_e64 v12, s[0:1], 1, v5
	v_cndmask_b32_e64 v9, 0, -1, vcc
	v_cmp_le_u32_e32 vcc, s38, v3
	v_addc_co_u32_e64 v13, s[0:1], 0, v6, s[0:1]
	v_cndmask_b32_e64 v3, 0, -1, vcc
	v_cmp_eq_u32_e32 vcc, s39, v4
	v_cmp_ne_u32_e64 s[0:1], 0, v8
	v_cndmask_b32_e32 v3, v9, v3, vcc
	v_cmp_ne_u32_e32 vcc, 0, v3
	v_cndmask_b32_e64 v4, v12, v10, s[0:1]
	v_cndmask_b32_e64 v8, v13, v11, s[0:1]
	v_cndmask_b32_e32 v4, v5, v4, vcc
	v_xor_b32_e32 v5, s36, v7
	v_cndmask_b32_e32 v3, v6, v8, vcc
	v_xor_b32_e32 v4, v4, v5
	v_xor_b32_e32 v3, v3, v5
	v_sub_co_u32_e32 v6, vcc, v4, v5
	v_subb_co_u32_e32 v7, vcc, v3, v5, vcc
.LBB86_5:                               ;   in Loop: Header=BB86_3 Depth=1
	s_andn2_saveexec_b64 s[0:1], s[2:3]
	s_cbranch_execz .LBB86_7
; %bb.6:                                ;   in Loop: Header=BB86_3 Depth=1
	v_cvt_f32_u32_e32 v3, s6
	s_sub_i32 s2, 0, s6
	v_mov_b32_e32 v7, v2
	v_rcp_iflag_f32_e32 v3, v3
	v_mul_f32_e32 v3, 0x4f7ffffe, v3
	v_cvt_u32_f32_e32 v3, v3
	v_mul_lo_u32 v4, s2, v3
	v_mul_hi_u32 v4, v3, v4
	v_add_u32_e32 v3, v3, v4
	v_mul_hi_u32 v3, v0, v3
	v_mul_lo_u32 v4, v3, s6
	v_add_u32_e32 v5, 1, v3
	v_sub_u32_e32 v4, v0, v4
	v_subrev_u32_e32 v6, s6, v4
	v_cmp_le_u32_e32 vcc, s6, v4
	v_cndmask_b32_e32 v4, v4, v6, vcc
	v_cndmask_b32_e32 v3, v3, v5, vcc
	v_add_u32_e32 v5, 1, v3
	v_cmp_le_u32_e32 vcc, s6, v4
	v_cndmask_b32_e32 v6, v3, v5, vcc
.LBB86_7:                               ;   in Loop: Header=BB86_3 Depth=1
	s_or_b64 exec, exec, s[0:1]
	s_waitcnt lgkmcnt(0)
	v_or_b32_e32 v3, s17, v7
	v_cmp_ne_u64_e32 vcc, 0, v[2:3]
                                        ; implicit-def: $vgpr8_vgpr9
	s_and_saveexec_b64 s[0:1], vcc
	s_xor_b64 s[2:3], exec, s[0:1]
	s_cbranch_execz .LBB86_9
; %bb.8:                                ;   in Loop: Header=BB86_3 Depth=1
	s_ashr_i32 s36, s17, 31
	s_add_u32 s0, s16, s36
	s_mov_b32 s37, s36
	s_addc_u32 s1, s17, s36
	s_xor_b64 s[38:39], s[0:1], s[36:37]
	v_cvt_f32_u32_e32 v3, s38
	v_cvt_f32_u32_e32 v4, s39
	s_sub_u32 s37, 0, s38
	s_subb_u32 s40, 0, s39
	v_ashrrev_i32_e32 v5, 31, v7
	v_mac_f32_e32 v3, 0x4f800000, v4
	v_rcp_f32_e32 v3, v3
	v_mul_f32_e32 v3, 0x5f7ffffc, v3
	v_mul_f32_e32 v4, 0x2f800000, v3
	v_trunc_f32_e32 v4, v4
	v_mac_f32_e32 v3, 0xcf800000, v4
	v_cvt_u32_f32_e32 v4, v4
	v_cvt_u32_f32_e32 v3, v3
	v_readfirstlane_b32 s41, v4
	v_readfirstlane_b32 s0, v3
	s_mul_i32 s1, s37, s41
	s_mul_hi_u32 s43, s37, s0
	s_mul_i32 s42, s40, s0
	s_add_i32 s1, s43, s1
	s_add_i32 s1, s1, s42
	s_mul_i32 s44, s37, s0
	s_mul_i32 s43, s0, s1
	s_mul_hi_u32 s45, s0, s44
	s_mul_hi_u32 s42, s0, s1
	s_add_u32 s43, s45, s43
	s_addc_u32 s42, 0, s42
	s_mul_hi_u32 s46, s41, s44
	s_mul_i32 s44, s41, s44
	s_add_u32 s43, s43, s44
	s_mul_hi_u32 s45, s41, s1
	s_addc_u32 s42, s42, s46
	s_addc_u32 s43, s45, 0
	s_mul_i32 s1, s41, s1
	s_add_u32 s1, s42, s1
	s_addc_u32 s42, 0, s43
	s_add_u32 s43, s0, s1
	s_cselect_b64 s[0:1], -1, 0
	s_cmp_lg_u64 s[0:1], 0
	s_addc_u32 s41, s41, s42
	s_mul_i32 s0, s37, s41
	s_mul_hi_u32 s1, s37, s43
	s_add_i32 s0, s1, s0
	s_mul_i32 s40, s40, s43
	s_add_i32 s0, s0, s40
	s_mul_i32 s37, s37, s43
	s_mul_hi_u32 s40, s41, s37
	s_mul_i32 s42, s41, s37
	s_mul_i32 s45, s43, s0
	s_mul_hi_u32 s37, s43, s37
	s_mul_hi_u32 s44, s43, s0
	s_add_u32 s37, s37, s45
	s_addc_u32 s44, 0, s44
	s_add_u32 s37, s37, s42
	s_mul_hi_u32 s1, s41, s0
	s_addc_u32 s37, s44, s40
	s_addc_u32 s1, s1, 0
	s_mul_i32 s0, s41, s0
	s_add_u32 s0, s37, s0
	s_addc_u32 s37, 0, s1
	s_add_u32 s40, s43, s0
	s_cselect_b64 s[0:1], -1, 0
	s_cmp_lg_u64 s[0:1], 0
	v_add_co_u32_e32 v3, vcc, v6, v5
	s_addc_u32 s37, s41, s37
	v_xor_b32_e32 v10, v3, v5
	v_mad_u64_u32 v[3:4], s[0:1], v10, s37, 0
	v_mul_hi_u32 v9, v10, s40
	v_addc_co_u32_e32 v8, vcc, v7, v5, vcc
	v_xor_b32_e32 v11, v8, v5
	v_add_co_u32_e32 v12, vcc, v9, v3
	v_addc_co_u32_e32 v13, vcc, 0, v4, vcc
	v_mad_u64_u32 v[3:4], s[0:1], v11, s40, 0
	v_mad_u64_u32 v[8:9], s[0:1], v11, s37, 0
	v_add_co_u32_e32 v3, vcc, v12, v3
	v_addc_co_u32_e32 v3, vcc, v13, v4, vcc
	v_addc_co_u32_e32 v4, vcc, 0, v9, vcc
	v_add_co_u32_e32 v8, vcc, v3, v8
	v_addc_co_u32_e32 v9, vcc, 0, v4, vcc
	v_mul_lo_u32 v12, s39, v8
	v_mul_lo_u32 v13, s38, v9
	v_mad_u64_u32 v[3:4], s[0:1], s38, v8, 0
	v_xor_b32_e32 v5, s36, v5
	v_add3_u32 v4, v4, v13, v12
	v_sub_u32_e32 v12, v11, v4
	v_mov_b32_e32 v13, s39
	v_sub_co_u32_e32 v3, vcc, v10, v3
	v_subb_co_u32_e64 v10, s[0:1], v12, v13, vcc
	v_subrev_co_u32_e64 v12, s[0:1], s38, v3
	v_subbrev_co_u32_e64 v10, s[0:1], 0, v10, s[0:1]
	v_cmp_le_u32_e64 s[0:1], s39, v10
	v_cndmask_b32_e64 v13, 0, -1, s[0:1]
	v_cmp_le_u32_e64 s[0:1], s38, v12
	v_cndmask_b32_e64 v12, 0, -1, s[0:1]
	v_cmp_eq_u32_e64 s[0:1], s39, v10
	v_cndmask_b32_e64 v10, v13, v12, s[0:1]
	v_add_co_u32_e64 v12, s[0:1], 2, v8
	v_subb_co_u32_e32 v4, vcc, v11, v4, vcc
	v_addc_co_u32_e64 v13, s[0:1], 0, v9, s[0:1]
	v_cmp_le_u32_e32 vcc, s39, v4
	v_add_co_u32_e64 v14, s[0:1], 1, v8
	v_cndmask_b32_e64 v11, 0, -1, vcc
	v_cmp_le_u32_e32 vcc, s38, v3
	v_addc_co_u32_e64 v15, s[0:1], 0, v9, s[0:1]
	v_cndmask_b32_e64 v3, 0, -1, vcc
	v_cmp_eq_u32_e32 vcc, s39, v4
	v_cmp_ne_u32_e64 s[0:1], 0, v10
	v_cndmask_b32_e32 v3, v11, v3, vcc
	v_cmp_ne_u32_e32 vcc, 0, v3
	v_cndmask_b32_e64 v4, v14, v12, s[0:1]
	v_cndmask_b32_e64 v10, v15, v13, s[0:1]
	v_cndmask_b32_e32 v4, v8, v4, vcc
	v_cndmask_b32_e32 v3, v9, v10, vcc
	v_xor_b32_e32 v4, v4, v5
	v_xor_b32_e32 v3, v3, v5
	v_sub_co_u32_e32 v8, vcc, v4, v5
	v_subb_co_u32_e32 v9, vcc, v3, v5, vcc
.LBB86_9:                               ;   in Loop: Header=BB86_3 Depth=1
	s_andn2_saveexec_b64 s[0:1], s[2:3]
	s_cbranch_execz .LBB86_11
; %bb.10:                               ;   in Loop: Header=BB86_3 Depth=1
	v_cvt_f32_u32_e32 v3, s16
	s_sub_i32 s2, 0, s16
	v_mov_b32_e32 v9, v2
	v_rcp_iflag_f32_e32 v3, v3
	v_mul_f32_e32 v3, 0x4f7ffffe, v3
	v_cvt_u32_f32_e32 v3, v3
	v_mul_lo_u32 v4, s2, v3
	v_mul_hi_u32 v4, v3, v4
	v_add_u32_e32 v3, v3, v4
	v_mul_hi_u32 v3, v6, v3
	v_mul_lo_u32 v4, v3, s16
	v_add_u32_e32 v5, 1, v3
	v_sub_u32_e32 v4, v6, v4
	v_subrev_u32_e32 v8, s16, v4
	v_cmp_le_u32_e32 vcc, s16, v4
	v_cndmask_b32_e32 v4, v4, v8, vcc
	v_cndmask_b32_e32 v3, v3, v5, vcc
	v_add_u32_e32 v5, 1, v3
	v_cmp_le_u32_e32 vcc, s16, v4
	v_cndmask_b32_e32 v8, v3, v5, vcc
.LBB86_11:                              ;   in Loop: Header=BB86_3 Depth=1
	s_or_b64 exec, exec, s[0:1]
	v_mul_lo_u32 v5, v7, s6
	v_mul_lo_u32 v10, v6, s7
	v_mad_u64_u32 v[3:4], s[0:1], v6, s6, 0
	v_mul_lo_u32 v12, v9, s16
	v_mul_lo_u32 v13, v8, s17
	v_add3_u32 v5, v4, v10, v5
	v_mad_u64_u32 v[10:11], s[0:1], v8, s16, 0
	v_sub_co_u32_e32 v4, vcc, v0, v3
	v_subb_co_u32_e32 v5, vcc, v1, v5, vcc
	v_add3_u32 v3, v11, v13, v12
	v_sub_co_u32_e32 v18, vcc, v6, v10
	v_subb_co_u32_e32 v19, vcc, v7, v3, vcc
	v_sub_co_u32_e32 v6, vcc, v4, v18
	v_subb_co_u32_e32 v7, vcc, v5, v19, vcc
	v_cmp_gt_i64_e32 vcc, s[8:9], v[6:7]
	s_and_saveexec_b64 s[36:37], vcc
	s_cbranch_execz .LBB86_2
; %bb.12:                               ;   in Loop: Header=BB86_3 Depth=1
	s_load_dwordx4 s[0:3], s[18:19], 0xc0
	s_andn2_b64 vcc, exec, s[14:15]
	s_waitcnt lgkmcnt(0)
	v_mul_lo_u32 v3, s3, v4
	v_mul_lo_u32 v10, s2, v5
	v_mad_u64_u32 v[6:7], s[38:39], s2, v4, 0
	v_mul_lo_u32 v11, s0, v19
	v_add3_u32 v7, v7, v10, v3
	v_mad_u64_u32 v[6:7], s[38:39], s0, v18, v[6:7]
	v_mul_lo_u32 v3, s1, v18
	v_add3_u32 v7, v3, v7, v11
	s_cbranch_vccnz .LBB86_38
; %bb.13:                               ;   in Loop: Header=BB86_3 Depth=1
	s_andn2_b64 vcc, exec, s[26:27]
	s_mov_b64 s[38:39], s[24:25]
	s_mov_b64 s[40:41], s[34:35]
	;; [unrolled: 1-line block ×4, first 2 shown]
	s_cbranch_vccz .LBB86_17
.LBB86_14:                              ;   in Loop: Header=BB86_3 Depth=1
	s_andn2_b64 vcc, exec, s[28:29]
	s_cbranch_vccnz .LBB86_38
; %bb.15:                               ;   in Loop: Header=BB86_3 Depth=1
	s_lshl_b64 s[0:1], s[42:43], 3
	s_add_u32 s38, s64, s0
	s_addc_u32 s39, s65, s1
	s_add_u32 s40, s66, s0
	s_addc_u32 s41, s67, s1
	;; [unrolled: 2-line block ×3, first 2 shown]
	s_branch .LBB86_22
.LBB86_16:                              ;   in Loop: Header=BB86_17 Depth=2
	s_or_b64 exec, exec, s[0:1]
	v_mul_lo_u32 v3, v11, s46
	v_mul_lo_u32 v14, v10, s47
	v_mad_u64_u32 v[12:13], s[0:1], v10, s46, 0
	s_load_dwordx2 s[0:1], s[44:45], 0x0
	s_add_u32 s42, s42, -1
	v_add3_u32 v3, v13, v14, v3
	v_sub_co_u32_e32 v8, vcc, v8, v12
	s_addc_u32 s43, s43, -1
	v_subb_co_u32_e32 v3, vcc, v9, v3, vcc
	s_add_u32 s44, s44, -8
	s_waitcnt lgkmcnt(0)
	v_mul_lo_u32 v3, s0, v3
	v_mul_lo_u32 v9, s1, v8
	v_mad_u64_u32 v[6:7], s[0:1], s0, v8, v[6:7]
	s_addc_u32 s45, s45, -1
	s_add_u32 s40, s40, -8
	s_addc_u32 s41, s41, -1
	s_add_u32 s38, s38, -1
	s_addc_u32 s39, s39, -1
	v_add3_u32 v7, v9, v7, v3
	v_mov_b32_e32 v8, v10
	s_cmp_lg_u64 s[38:39], 0
	v_mov_b32_e32 v9, v11
	s_cbranch_scc0 .LBB86_14
.LBB86_17:                              ;   Parent Loop BB86_3 Depth=1
                                        ; =>  This Inner Loop Header: Depth=2
	s_load_dwordx2 s[46:47], s[40:41], 0x0
                                        ; implicit-def: $vgpr10_vgpr11
	s_waitcnt lgkmcnt(0)
	v_or_b32_e32 v3, s47, v9
	v_cmp_ne_u64_e32 vcc, 0, v[2:3]
	s_and_saveexec_b64 s[0:1], vcc
	s_xor_b64 s[48:49], exec, s[0:1]
	s_cbranch_execz .LBB86_19
; %bb.18:                               ;   in Loop: Header=BB86_17 Depth=2
	s_ashr_i32 s50, s47, 31
	s_add_u32 s0, s46, s50
	s_mov_b32 s51, s50
	s_addc_u32 s1, s47, s50
	s_xor_b64 s[52:53], s[0:1], s[50:51]
	v_cvt_f32_u32_e32 v3, s52
	v_cvt_f32_u32_e32 v10, s53
	s_sub_u32 s51, 0, s52
	s_subb_u32 s54, 0, s53
	v_mac_f32_e32 v3, 0x4f800000, v10
	v_rcp_f32_e32 v3, v3
	v_mul_f32_e32 v3, 0x5f7ffffc, v3
	v_mul_f32_e32 v10, 0x2f800000, v3
	v_trunc_f32_e32 v10, v10
	v_mac_f32_e32 v3, 0xcf800000, v10
	v_cvt_u32_f32_e32 v10, v10
	v_cvt_u32_f32_e32 v3, v3
	v_readfirstlane_b32 s55, v10
	v_readfirstlane_b32 s0, v3
	s_mul_i32 s1, s51, s55
	s_mul_hi_u32 s57, s51, s0
	s_mul_i32 s56, s54, s0
	s_add_i32 s1, s57, s1
	s_add_i32 s1, s1, s56
	s_mul_i32 s58, s51, s0
	s_mul_i32 s57, s0, s1
	s_mul_hi_u32 s59, s0, s58
	s_mul_hi_u32 s56, s0, s1
	s_add_u32 s57, s59, s57
	s_addc_u32 s56, 0, s56
	s_mul_hi_u32 s60, s55, s58
	s_mul_i32 s58, s55, s58
	s_add_u32 s57, s57, s58
	s_mul_hi_u32 s59, s55, s1
	s_addc_u32 s56, s56, s60
	s_addc_u32 s57, s59, 0
	s_mul_i32 s1, s55, s1
	s_add_u32 s1, s56, s1
	s_addc_u32 s56, 0, s57
	s_add_u32 s57, s0, s1
	s_cselect_b64 s[0:1], -1, 0
	s_cmp_lg_u64 s[0:1], 0
	s_addc_u32 s55, s55, s56
	s_mul_i32 s0, s51, s55
	s_mul_hi_u32 s1, s51, s57
	s_add_i32 s0, s1, s0
	s_mul_i32 s54, s54, s57
	s_add_i32 s0, s0, s54
	s_mul_i32 s51, s51, s57
	s_mul_hi_u32 s54, s55, s51
	s_mul_i32 s56, s55, s51
	s_mul_i32 s59, s57, s0
	s_mul_hi_u32 s51, s57, s51
	s_mul_hi_u32 s58, s57, s0
	s_add_u32 s51, s51, s59
	s_addc_u32 s58, 0, s58
	s_add_u32 s51, s51, s56
	s_mul_hi_u32 s1, s55, s0
	s_addc_u32 s51, s58, s54
	s_addc_u32 s1, s1, 0
	s_mul_i32 s0, s55, s0
	s_add_u32 s0, s51, s0
	s_addc_u32 s51, 0, s1
	s_add_u32 s54, s57, s0
	s_cselect_b64 s[0:1], -1, 0
	v_ashrrev_i32_e32 v3, 31, v9
	s_cmp_lg_u64 s[0:1], 0
	v_add_co_u32_e32 v10, vcc, v8, v3
	s_addc_u32 s51, s55, s51
	v_xor_b32_e32 v14, v10, v3
	v_mad_u64_u32 v[10:11], s[0:1], v14, s51, 0
	v_mul_hi_u32 v13, v14, s54
	v_addc_co_u32_e32 v12, vcc, v9, v3, vcc
	v_xor_b32_e32 v15, v12, v3
	v_add_co_u32_e32 v16, vcc, v13, v10
	v_addc_co_u32_e32 v17, vcc, 0, v11, vcc
	v_mad_u64_u32 v[10:11], s[0:1], v15, s54, 0
	v_mad_u64_u32 v[12:13], s[0:1], v15, s51, 0
	v_add_co_u32_e32 v10, vcc, v16, v10
	v_addc_co_u32_e32 v10, vcc, v17, v11, vcc
	v_addc_co_u32_e32 v11, vcc, 0, v13, vcc
	v_add_co_u32_e32 v12, vcc, v10, v12
	v_addc_co_u32_e32 v13, vcc, 0, v11, vcc
	v_mul_lo_u32 v16, s53, v12
	v_mul_lo_u32 v17, s52, v13
	v_mad_u64_u32 v[10:11], s[0:1], s52, v12, 0
	v_xor_b32_e32 v3, s50, v3
	v_add3_u32 v11, v11, v17, v16
	v_sub_u32_e32 v16, v15, v11
	v_mov_b32_e32 v17, s53
	v_sub_co_u32_e32 v10, vcc, v14, v10
	v_subb_co_u32_e64 v14, s[0:1], v16, v17, vcc
	v_subrev_co_u32_e64 v16, s[0:1], s52, v10
	v_subbrev_co_u32_e64 v14, s[0:1], 0, v14, s[0:1]
	v_cmp_le_u32_e64 s[0:1], s53, v14
	v_cndmask_b32_e64 v17, 0, -1, s[0:1]
	v_cmp_le_u32_e64 s[0:1], s52, v16
	v_cndmask_b32_e64 v16, 0, -1, s[0:1]
	v_cmp_eq_u32_e64 s[0:1], s53, v14
	v_cndmask_b32_e64 v14, v17, v16, s[0:1]
	v_add_co_u32_e64 v16, s[0:1], 2, v12
	v_subb_co_u32_e32 v11, vcc, v15, v11, vcc
	v_addc_co_u32_e64 v17, s[0:1], 0, v13, s[0:1]
	v_cmp_le_u32_e32 vcc, s53, v11
	v_add_co_u32_e64 v20, s[0:1], 1, v12
	v_cndmask_b32_e64 v15, 0, -1, vcc
	v_cmp_le_u32_e32 vcc, s52, v10
	v_addc_co_u32_e64 v21, s[0:1], 0, v13, s[0:1]
	v_cndmask_b32_e64 v10, 0, -1, vcc
	v_cmp_eq_u32_e32 vcc, s53, v11
	v_cmp_ne_u32_e64 s[0:1], 0, v14
	v_cndmask_b32_e32 v10, v15, v10, vcc
	v_cndmask_b32_e64 v14, v21, v17, s[0:1]
	v_cmp_ne_u32_e32 vcc, 0, v10
	v_cndmask_b32_e64 v11, v20, v16, s[0:1]
	v_cndmask_b32_e32 v10, v13, v14, vcc
	v_cndmask_b32_e32 v11, v12, v11, vcc
	v_xor_b32_e32 v12, v10, v3
	v_xor_b32_e32 v10, v11, v3
	v_sub_co_u32_e32 v10, vcc, v10, v3
	v_subb_co_u32_e32 v11, vcc, v12, v3, vcc
.LBB86_19:                              ;   in Loop: Header=BB86_17 Depth=2
	s_andn2_saveexec_b64 s[0:1], s[48:49]
	s_cbranch_execz .LBB86_16
; %bb.20:                               ;   in Loop: Header=BB86_17 Depth=2
	v_cvt_f32_u32_e32 v3, s46
	s_sub_i32 s48, 0, s46
	v_rcp_iflag_f32_e32 v3, v3
	v_mul_f32_e32 v3, 0x4f7ffffe, v3
	v_cvt_u32_f32_e32 v3, v3
	v_mul_lo_u32 v10, s48, v3
	v_mul_hi_u32 v10, v3, v10
	v_add_u32_e32 v3, v3, v10
	v_mul_hi_u32 v3, v8, v3
	v_mul_lo_u32 v10, v3, s46
	v_add_u32_e32 v11, 1, v3
	v_sub_u32_e32 v10, v8, v10
	v_subrev_u32_e32 v12, s46, v10
	v_cmp_le_u32_e32 vcc, s46, v10
	v_cndmask_b32_e32 v10, v10, v12, vcc
	v_cndmask_b32_e32 v3, v3, v11, vcc
	v_add_u32_e32 v11, 1, v3
	v_cmp_le_u32_e32 vcc, s46, v10
	v_cndmask_b32_e32 v10, v3, v11, vcc
	v_mov_b32_e32 v11, v2
	s_branch .LBB86_16
.LBB86_21:                              ;   in Loop: Header=BB86_22 Depth=2
	s_or_b64 exec, exec, s[0:1]
	v_mul_lo_u32 v3, v11, s44
	v_mul_lo_u32 v22, v10, s45
	v_mad_u64_u32 v[20:21], s[0:1], v10, s44, 0
	v_add3_u32 v3, v21, v22, v3
	v_sub_co_u32_e32 v8, vcc, v8, v20
	v_subb_co_u32_e32 v3, vcc, v9, v3, vcc
	v_mul_lo_u32 v3, s48, v3
	v_mul_lo_u32 v20, s49, v8
	v_mad_u64_u32 v[6:7], s[0:1], s48, v8, v[6:7]
	v_mul_lo_u32 v21, v13, s46
	v_mul_lo_u32 v22, v12, s47
	v_mad_u64_u32 v[8:9], s[0:1], v12, s46, 0
	v_add3_u32 v7, v20, v7, v3
	v_mul_lo_u32 v20, v14, s51
	v_add3_u32 v3, v9, v22, v21
	v_sub_co_u32_e32 v8, vcc, v10, v8
	v_subb_co_u32_e32 v3, vcc, v11, v3, vcc
	v_mad_u64_u32 v[6:7], s[0:1], s52, v8, v[6:7]
	v_mul_lo_u32 v3, s52, v3
	v_mul_lo_u32 v10, s53, v8
	;; [unrolled: 1-line block ×3, first 2 shown]
	v_mad_u64_u32 v[8:9], s[0:1], v14, s50, 0
	v_add3_u32 v7, v10, v7, v3
	v_add3_u32 v3, v9, v20, v11
	v_sub_co_u32_e32 v8, vcc, v12, v8
	v_subb_co_u32_e32 v3, vcc, v13, v3, vcc
	v_mad_u64_u32 v[6:7], s[0:1], s56, v8, v[6:7]
	v_mul_lo_u32 v3, s56, v3
	v_mul_lo_u32 v10, s57, v8
	;; [unrolled: 1-line block ×4, first 2 shown]
	v_mad_u64_u32 v[8:9], s[0:1], v16, s54, 0
	s_load_dwordx2 s[0:1], s[38:39], 0x0
	v_add3_u32 v7, v10, v7, v3
	v_add3_u32 v3, v9, v12, v11
	v_sub_co_u32_e32 v8, vcc, v14, v8
	v_subb_co_u32_e32 v3, vcc, v15, v3, vcc
	s_add_u32 s38, s38, 0xffffffe0
	s_waitcnt lgkmcnt(0)
	v_mad_u64_u32 v[6:7], s[44:45], s0, v8, v[6:7]
	v_mul_lo_u32 v3, s0, v3
	v_mul_lo_u32 v8, s1, v8
	s_addc_u32 s39, s39, -1
	s_add_u32 s40, s40, 0xffffffe0
	s_addc_u32 s41, s41, -1
	s_add_u32 s42, s42, -4
	v_add3_u32 v7, v8, v7, v3
	s_addc_u32 s43, s43, -1
	v_mov_b32_e32 v8, v16
	s_cmp_eq_u64 s[42:43], 0
	v_mov_b32_e32 v9, v17
	s_cbranch_scc1 .LBB86_38
.LBB86_22:                              ;   Parent Loop BB86_3 Depth=1
                                        ; =>  This Inner Loop Header: Depth=2
	s_load_dwordx2 s[44:45], s[40:41], 0x18
                                        ; implicit-def: $vgpr10_vgpr11
	s_waitcnt lgkmcnt(0)
	v_or_b32_e32 v3, s45, v9
	v_cmp_ne_u64_e32 vcc, 0, v[2:3]
	s_and_saveexec_b64 s[0:1], vcc
	s_xor_b64 s[46:47], exec, s[0:1]
	s_cbranch_execz .LBB86_24
; %bb.23:                               ;   in Loop: Header=BB86_22 Depth=2
	s_ashr_i32 s48, s45, 31
	s_add_u32 s0, s44, s48
	s_mov_b32 s49, s48
	s_addc_u32 s1, s45, s48
	s_xor_b64 s[50:51], s[0:1], s[48:49]
	v_cvt_f32_u32_e32 v3, s50
	v_cvt_f32_u32_e32 v10, s51
	s_sub_u32 s49, 0, s50
	s_subb_u32 s52, 0, s51
	v_mac_f32_e32 v3, 0x4f800000, v10
	v_rcp_f32_e32 v3, v3
	v_mul_f32_e32 v3, 0x5f7ffffc, v3
	v_mul_f32_e32 v10, 0x2f800000, v3
	v_trunc_f32_e32 v10, v10
	v_mac_f32_e32 v3, 0xcf800000, v10
	v_cvt_u32_f32_e32 v10, v10
	v_cvt_u32_f32_e32 v3, v3
	v_readfirstlane_b32 s53, v10
	v_readfirstlane_b32 s0, v3
	s_mul_i32 s1, s49, s53
	s_mul_hi_u32 s55, s49, s0
	s_mul_i32 s54, s52, s0
	s_add_i32 s1, s55, s1
	s_add_i32 s1, s1, s54
	s_mul_i32 s56, s49, s0
	s_mul_i32 s55, s0, s1
	s_mul_hi_u32 s57, s0, s56
	s_mul_hi_u32 s54, s0, s1
	s_add_u32 s55, s57, s55
	s_addc_u32 s54, 0, s54
	s_mul_hi_u32 s58, s53, s56
	s_mul_i32 s56, s53, s56
	s_add_u32 s55, s55, s56
	s_mul_hi_u32 s57, s53, s1
	s_addc_u32 s54, s54, s58
	s_addc_u32 s55, s57, 0
	s_mul_i32 s1, s53, s1
	s_add_u32 s1, s54, s1
	s_addc_u32 s54, 0, s55
	s_add_u32 s55, s0, s1
	s_cselect_b64 s[0:1], -1, 0
	s_cmp_lg_u64 s[0:1], 0
	s_addc_u32 s53, s53, s54
	s_mul_i32 s0, s49, s53
	s_mul_hi_u32 s1, s49, s55
	s_add_i32 s0, s1, s0
	s_mul_i32 s52, s52, s55
	s_add_i32 s0, s0, s52
	s_mul_i32 s49, s49, s55
	s_mul_hi_u32 s52, s53, s49
	s_mul_i32 s54, s53, s49
	s_mul_i32 s57, s55, s0
	s_mul_hi_u32 s49, s55, s49
	s_mul_hi_u32 s56, s55, s0
	s_add_u32 s49, s49, s57
	s_addc_u32 s56, 0, s56
	s_add_u32 s49, s49, s54
	s_mul_hi_u32 s1, s53, s0
	s_addc_u32 s49, s56, s52
	s_addc_u32 s1, s1, 0
	s_mul_i32 s0, s53, s0
	s_add_u32 s0, s49, s0
	s_addc_u32 s49, 0, s1
	s_add_u32 s52, s55, s0
	s_cselect_b64 s[0:1], -1, 0
	v_ashrrev_i32_e32 v3, 31, v9
	s_cmp_lg_u64 s[0:1], 0
	v_add_co_u32_e32 v10, vcc, v8, v3
	s_addc_u32 s49, s53, s49
	v_xor_b32_e32 v14, v10, v3
	v_mad_u64_u32 v[10:11], s[0:1], v14, s49, 0
	v_mul_hi_u32 v13, v14, s52
	v_addc_co_u32_e32 v12, vcc, v9, v3, vcc
	v_xor_b32_e32 v15, v12, v3
	v_add_co_u32_e32 v16, vcc, v13, v10
	v_addc_co_u32_e32 v17, vcc, 0, v11, vcc
	v_mad_u64_u32 v[10:11], s[0:1], v15, s52, 0
	v_mad_u64_u32 v[12:13], s[0:1], v15, s49, 0
	v_add_co_u32_e32 v10, vcc, v16, v10
	v_addc_co_u32_e32 v10, vcc, v17, v11, vcc
	v_addc_co_u32_e32 v11, vcc, 0, v13, vcc
	v_add_co_u32_e32 v12, vcc, v10, v12
	v_addc_co_u32_e32 v13, vcc, 0, v11, vcc
	v_mul_lo_u32 v16, s51, v12
	v_mul_lo_u32 v17, s50, v13
	v_mad_u64_u32 v[10:11], s[0:1], s50, v12, 0
	v_xor_b32_e32 v3, s48, v3
	v_add3_u32 v11, v11, v17, v16
	v_sub_u32_e32 v16, v15, v11
	v_mov_b32_e32 v17, s51
	v_sub_co_u32_e32 v10, vcc, v14, v10
	v_subb_co_u32_e64 v14, s[0:1], v16, v17, vcc
	v_subrev_co_u32_e64 v16, s[0:1], s50, v10
	v_subbrev_co_u32_e64 v14, s[0:1], 0, v14, s[0:1]
	v_cmp_le_u32_e64 s[0:1], s51, v14
	v_cndmask_b32_e64 v17, 0, -1, s[0:1]
	v_cmp_le_u32_e64 s[0:1], s50, v16
	v_cndmask_b32_e64 v16, 0, -1, s[0:1]
	v_cmp_eq_u32_e64 s[0:1], s51, v14
	v_cndmask_b32_e64 v14, v17, v16, s[0:1]
	v_add_co_u32_e64 v16, s[0:1], 2, v12
	v_subb_co_u32_e32 v11, vcc, v15, v11, vcc
	v_addc_co_u32_e64 v17, s[0:1], 0, v13, s[0:1]
	v_cmp_le_u32_e32 vcc, s51, v11
	v_add_co_u32_e64 v20, s[0:1], 1, v12
	v_cndmask_b32_e64 v15, 0, -1, vcc
	v_cmp_le_u32_e32 vcc, s50, v10
	v_addc_co_u32_e64 v21, s[0:1], 0, v13, s[0:1]
	v_cndmask_b32_e64 v10, 0, -1, vcc
	v_cmp_eq_u32_e32 vcc, s51, v11
	v_cmp_ne_u32_e64 s[0:1], 0, v14
	v_cndmask_b32_e32 v10, v15, v10, vcc
	v_cndmask_b32_e64 v14, v21, v17, s[0:1]
	v_cmp_ne_u32_e32 vcc, 0, v10
	v_cndmask_b32_e64 v11, v20, v16, s[0:1]
	v_cndmask_b32_e32 v10, v13, v14, vcc
	v_cndmask_b32_e32 v11, v12, v11, vcc
	v_xor_b32_e32 v12, v10, v3
	v_xor_b32_e32 v10, v11, v3
	v_sub_co_u32_e32 v10, vcc, v10, v3
	v_subb_co_u32_e32 v11, vcc, v12, v3, vcc
.LBB86_24:                              ;   in Loop: Header=BB86_22 Depth=2
	s_andn2_saveexec_b64 s[0:1], s[46:47]
	s_cbranch_execz .LBB86_26
; %bb.25:                               ;   in Loop: Header=BB86_22 Depth=2
	v_cvt_f32_u32_e32 v3, s44
	s_sub_i32 s46, 0, s44
	v_rcp_iflag_f32_e32 v3, v3
	v_mul_f32_e32 v3, 0x4f7ffffe, v3
	v_cvt_u32_f32_e32 v3, v3
	v_mul_lo_u32 v10, s46, v3
	v_mul_hi_u32 v10, v3, v10
	v_add_u32_e32 v3, v3, v10
	v_mul_hi_u32 v3, v8, v3
	v_mul_lo_u32 v10, v3, s44
	v_add_u32_e32 v11, 1, v3
	v_sub_u32_e32 v10, v8, v10
	v_subrev_u32_e32 v12, s44, v10
	v_cmp_le_u32_e32 vcc, s44, v10
	v_cndmask_b32_e32 v10, v10, v12, vcc
	v_cndmask_b32_e32 v3, v3, v11, vcc
	v_add_u32_e32 v11, 1, v3
	v_cmp_le_u32_e32 vcc, s44, v10
	v_cndmask_b32_e32 v10, v3, v11, vcc
	v_mov_b32_e32 v11, v2
.LBB86_26:                              ;   in Loop: Header=BB86_22 Depth=2
	s_or_b64 exec, exec, s[0:1]
	s_load_dwordx2 s[46:47], s[40:41], 0x10
	s_load_dwordx2 s[48:49], s[38:39], 0x18
                                        ; implicit-def: $vgpr12_vgpr13
	s_waitcnt lgkmcnt(0)
	v_or_b32_e32 v3, s47, v11
	v_cmp_ne_u64_e32 vcc, 0, v[2:3]
	s_and_saveexec_b64 s[0:1], vcc
	s_xor_b64 s[50:51], exec, s[0:1]
	s_cbranch_execz .LBB86_28
; %bb.27:                               ;   in Loop: Header=BB86_22 Depth=2
	s_ashr_i32 s52, s47, 31
	s_add_u32 s0, s46, s52
	s_mov_b32 s53, s52
	s_addc_u32 s1, s47, s52
	s_xor_b64 s[54:55], s[0:1], s[52:53]
	v_cvt_f32_u32_e32 v3, s54
	v_cvt_f32_u32_e32 v12, s55
	s_sub_u32 s53, 0, s54
	s_subb_u32 s56, 0, s55
	v_mac_f32_e32 v3, 0x4f800000, v12
	v_rcp_f32_e32 v3, v3
	v_mul_f32_e32 v3, 0x5f7ffffc, v3
	v_mul_f32_e32 v12, 0x2f800000, v3
	v_trunc_f32_e32 v12, v12
	v_mac_f32_e32 v3, 0xcf800000, v12
	v_cvt_u32_f32_e32 v12, v12
	v_cvt_u32_f32_e32 v3, v3
	v_readfirstlane_b32 s57, v12
	v_readfirstlane_b32 s0, v3
	s_mul_i32 s1, s53, s57
	s_mul_hi_u32 s59, s53, s0
	s_mul_i32 s58, s56, s0
	s_add_i32 s1, s59, s1
	s_add_i32 s1, s1, s58
	s_mul_i32 s60, s53, s0
	s_mul_i32 s59, s0, s1
	s_mul_hi_u32 s61, s0, s60
	s_mul_hi_u32 s58, s0, s1
	s_add_u32 s59, s61, s59
	s_addc_u32 s58, 0, s58
	s_mul_hi_u32 s62, s57, s60
	s_mul_i32 s60, s57, s60
	s_add_u32 s59, s59, s60
	s_mul_hi_u32 s61, s57, s1
	s_addc_u32 s58, s58, s62
	s_addc_u32 s59, s61, 0
	s_mul_i32 s1, s57, s1
	s_add_u32 s1, s58, s1
	s_addc_u32 s58, 0, s59
	s_add_u32 s59, s0, s1
	s_cselect_b64 s[0:1], -1, 0
	s_cmp_lg_u64 s[0:1], 0
	s_addc_u32 s57, s57, s58
	s_mul_i32 s0, s53, s57
	s_mul_hi_u32 s1, s53, s59
	s_add_i32 s0, s1, s0
	s_mul_i32 s56, s56, s59
	s_add_i32 s0, s0, s56
	s_mul_i32 s53, s53, s59
	s_mul_hi_u32 s56, s57, s53
	s_mul_i32 s58, s57, s53
	s_mul_i32 s61, s59, s0
	s_mul_hi_u32 s53, s59, s53
	s_mul_hi_u32 s60, s59, s0
	s_add_u32 s53, s53, s61
	s_addc_u32 s60, 0, s60
	s_add_u32 s53, s53, s58
	s_mul_hi_u32 s1, s57, s0
	s_addc_u32 s53, s60, s56
	s_addc_u32 s1, s1, 0
	s_mul_i32 s0, s57, s0
	s_add_u32 s0, s53, s0
	s_addc_u32 s53, 0, s1
	s_add_u32 s56, s59, s0
	s_cselect_b64 s[0:1], -1, 0
	v_ashrrev_i32_e32 v3, 31, v11
	s_cmp_lg_u64 s[0:1], 0
	v_add_co_u32_e32 v12, vcc, v10, v3
	s_addc_u32 s53, s57, s53
	v_xor_b32_e32 v16, v12, v3
	v_mad_u64_u32 v[12:13], s[0:1], v16, s53, 0
	v_mul_hi_u32 v15, v16, s56
	v_addc_co_u32_e32 v14, vcc, v11, v3, vcc
	v_xor_b32_e32 v17, v14, v3
	v_add_co_u32_e32 v20, vcc, v15, v12
	v_addc_co_u32_e32 v21, vcc, 0, v13, vcc
	v_mad_u64_u32 v[12:13], s[0:1], v17, s56, 0
	v_mad_u64_u32 v[14:15], s[0:1], v17, s53, 0
	v_add_co_u32_e32 v12, vcc, v20, v12
	v_addc_co_u32_e32 v12, vcc, v21, v13, vcc
	v_addc_co_u32_e32 v13, vcc, 0, v15, vcc
	v_add_co_u32_e32 v14, vcc, v12, v14
	v_addc_co_u32_e32 v15, vcc, 0, v13, vcc
	v_mul_lo_u32 v20, s55, v14
	v_mul_lo_u32 v21, s54, v15
	v_mad_u64_u32 v[12:13], s[0:1], s54, v14, 0
	v_xor_b32_e32 v3, s52, v3
	v_add3_u32 v13, v13, v21, v20
	v_sub_u32_e32 v20, v17, v13
	v_mov_b32_e32 v21, s55
	v_sub_co_u32_e32 v12, vcc, v16, v12
	v_subb_co_u32_e64 v16, s[0:1], v20, v21, vcc
	v_subrev_co_u32_e64 v20, s[0:1], s54, v12
	v_subbrev_co_u32_e64 v16, s[0:1], 0, v16, s[0:1]
	v_cmp_le_u32_e64 s[0:1], s55, v16
	v_cndmask_b32_e64 v21, 0, -1, s[0:1]
	v_cmp_le_u32_e64 s[0:1], s54, v20
	v_cndmask_b32_e64 v20, 0, -1, s[0:1]
	v_cmp_eq_u32_e64 s[0:1], s55, v16
	v_cndmask_b32_e64 v16, v21, v20, s[0:1]
	v_add_co_u32_e64 v20, s[0:1], 2, v14
	v_subb_co_u32_e32 v13, vcc, v17, v13, vcc
	v_addc_co_u32_e64 v21, s[0:1], 0, v15, s[0:1]
	v_cmp_le_u32_e32 vcc, s55, v13
	v_add_co_u32_e64 v22, s[0:1], 1, v14
	v_cndmask_b32_e64 v17, 0, -1, vcc
	v_cmp_le_u32_e32 vcc, s54, v12
	v_addc_co_u32_e64 v23, s[0:1], 0, v15, s[0:1]
	v_cndmask_b32_e64 v12, 0, -1, vcc
	v_cmp_eq_u32_e32 vcc, s55, v13
	v_cmp_ne_u32_e64 s[0:1], 0, v16
	v_cndmask_b32_e32 v12, v17, v12, vcc
	v_cndmask_b32_e64 v16, v23, v21, s[0:1]
	v_cmp_ne_u32_e32 vcc, 0, v12
	v_cndmask_b32_e64 v13, v22, v20, s[0:1]
	v_cndmask_b32_e32 v12, v15, v16, vcc
	v_cndmask_b32_e32 v13, v14, v13, vcc
	v_xor_b32_e32 v14, v12, v3
	v_xor_b32_e32 v12, v13, v3
	v_sub_co_u32_e32 v12, vcc, v12, v3
	v_subb_co_u32_e32 v13, vcc, v14, v3, vcc
.LBB86_28:                              ;   in Loop: Header=BB86_22 Depth=2
	s_andn2_saveexec_b64 s[0:1], s[50:51]
	s_cbranch_execz .LBB86_30
; %bb.29:                               ;   in Loop: Header=BB86_22 Depth=2
	v_cvt_f32_u32_e32 v3, s46
	s_sub_i32 s50, 0, s46
	v_rcp_iflag_f32_e32 v3, v3
	v_mul_f32_e32 v3, 0x4f7ffffe, v3
	v_cvt_u32_f32_e32 v3, v3
	v_mul_lo_u32 v12, s50, v3
	v_mul_hi_u32 v12, v3, v12
	v_add_u32_e32 v3, v3, v12
	v_mul_hi_u32 v3, v10, v3
	v_mul_lo_u32 v12, v3, s46
	v_add_u32_e32 v13, 1, v3
	v_sub_u32_e32 v12, v10, v12
	v_subrev_u32_e32 v14, s46, v12
	v_cmp_le_u32_e32 vcc, s46, v12
	v_cndmask_b32_e32 v12, v12, v14, vcc
	v_cndmask_b32_e32 v3, v3, v13, vcc
	v_add_u32_e32 v13, 1, v3
	v_cmp_le_u32_e32 vcc, s46, v12
	v_cndmask_b32_e32 v12, v3, v13, vcc
	v_mov_b32_e32 v13, v2
.LBB86_30:                              ;   in Loop: Header=BB86_22 Depth=2
	s_or_b64 exec, exec, s[0:1]
	s_load_dwordx2 s[50:51], s[40:41], 0x8
	s_load_dwordx2 s[52:53], s[38:39], 0x10
                                        ; implicit-def: $vgpr14_vgpr15
	s_waitcnt lgkmcnt(0)
	v_or_b32_e32 v3, s51, v13
	v_cmp_ne_u64_e32 vcc, 0, v[2:3]
	s_and_saveexec_b64 s[0:1], vcc
	s_xor_b64 s[54:55], exec, s[0:1]
	s_cbranch_execz .LBB86_32
; %bb.31:                               ;   in Loop: Header=BB86_22 Depth=2
	s_ashr_i32 s56, s51, 31
	s_add_u32 s0, s50, s56
	s_mov_b32 s57, s56
	s_addc_u32 s1, s51, s56
	s_xor_b64 s[58:59], s[0:1], s[56:57]
	v_cvt_f32_u32_e32 v3, s58
	v_cvt_f32_u32_e32 v14, s59
	s_sub_u32 s57, 0, s58
	s_subb_u32 s60, 0, s59
	v_mac_f32_e32 v3, 0x4f800000, v14
	v_rcp_f32_e32 v3, v3
	v_mul_f32_e32 v3, 0x5f7ffffc, v3
	v_mul_f32_e32 v14, 0x2f800000, v3
	v_trunc_f32_e32 v14, v14
	v_mac_f32_e32 v3, 0xcf800000, v14
	v_cvt_u32_f32_e32 v14, v14
	v_cvt_u32_f32_e32 v3, v3
	v_readfirstlane_b32 s61, v14
	v_readfirstlane_b32 s0, v3
	s_mul_i32 s1, s57, s61
	s_mul_hi_u32 s63, s57, s0
	s_mul_i32 s62, s60, s0
	s_add_i32 s1, s63, s1
	s_add_i32 s1, s1, s62
	s_mul_i32 s68, s57, s0
	s_mul_i32 s63, s0, s1
	s_mul_hi_u32 s69, s0, s68
	s_mul_hi_u32 s62, s0, s1
	s_add_u32 s63, s69, s63
	s_addc_u32 s62, 0, s62
	s_mul_hi_u32 s70, s61, s68
	s_mul_i32 s68, s61, s68
	s_add_u32 s63, s63, s68
	s_mul_hi_u32 s69, s61, s1
	s_addc_u32 s62, s62, s70
	s_addc_u32 s63, s69, 0
	s_mul_i32 s1, s61, s1
	s_add_u32 s1, s62, s1
	s_addc_u32 s62, 0, s63
	s_add_u32 s63, s0, s1
	s_cselect_b64 s[0:1], -1, 0
	s_cmp_lg_u64 s[0:1], 0
	s_addc_u32 s61, s61, s62
	s_mul_i32 s0, s57, s61
	s_mul_hi_u32 s1, s57, s63
	s_add_i32 s0, s1, s0
	s_mul_i32 s60, s60, s63
	s_add_i32 s0, s0, s60
	s_mul_i32 s57, s57, s63
	s_mul_hi_u32 s60, s61, s57
	s_mul_i32 s62, s61, s57
	s_mul_i32 s69, s63, s0
	s_mul_hi_u32 s57, s63, s57
	s_mul_hi_u32 s68, s63, s0
	s_add_u32 s57, s57, s69
	s_addc_u32 s68, 0, s68
	s_add_u32 s57, s57, s62
	s_mul_hi_u32 s1, s61, s0
	s_addc_u32 s57, s68, s60
	s_addc_u32 s1, s1, 0
	s_mul_i32 s0, s61, s0
	s_add_u32 s0, s57, s0
	s_addc_u32 s57, 0, s1
	s_add_u32 s60, s63, s0
	s_cselect_b64 s[0:1], -1, 0
	v_ashrrev_i32_e32 v3, 31, v13
	s_cmp_lg_u64 s[0:1], 0
	v_add_co_u32_e32 v14, vcc, v12, v3
	s_addc_u32 s57, s61, s57
	v_xor_b32_e32 v20, v14, v3
	v_mad_u64_u32 v[14:15], s[0:1], v20, s57, 0
	v_mul_hi_u32 v17, v20, s60
	v_addc_co_u32_e32 v16, vcc, v13, v3, vcc
	v_xor_b32_e32 v21, v16, v3
	v_add_co_u32_e32 v22, vcc, v17, v14
	v_addc_co_u32_e32 v23, vcc, 0, v15, vcc
	v_mad_u64_u32 v[14:15], s[0:1], v21, s60, 0
	v_mad_u64_u32 v[16:17], s[0:1], v21, s57, 0
	v_add_co_u32_e32 v14, vcc, v22, v14
	v_addc_co_u32_e32 v14, vcc, v23, v15, vcc
	v_addc_co_u32_e32 v15, vcc, 0, v17, vcc
	v_add_co_u32_e32 v16, vcc, v14, v16
	v_addc_co_u32_e32 v17, vcc, 0, v15, vcc
	v_mul_lo_u32 v22, s59, v16
	v_mul_lo_u32 v23, s58, v17
	v_mad_u64_u32 v[14:15], s[0:1], s58, v16, 0
	v_xor_b32_e32 v3, s56, v3
	v_add3_u32 v15, v15, v23, v22
	v_sub_u32_e32 v22, v21, v15
	v_mov_b32_e32 v23, s59
	v_sub_co_u32_e32 v14, vcc, v20, v14
	v_subb_co_u32_e64 v20, s[0:1], v22, v23, vcc
	v_subrev_co_u32_e64 v22, s[0:1], s58, v14
	v_subbrev_co_u32_e64 v20, s[0:1], 0, v20, s[0:1]
	v_cmp_le_u32_e64 s[0:1], s59, v20
	v_cndmask_b32_e64 v23, 0, -1, s[0:1]
	v_cmp_le_u32_e64 s[0:1], s58, v22
	v_cndmask_b32_e64 v22, 0, -1, s[0:1]
	v_cmp_eq_u32_e64 s[0:1], s59, v20
	v_cndmask_b32_e64 v20, v23, v22, s[0:1]
	v_add_co_u32_e64 v22, s[0:1], 2, v16
	v_subb_co_u32_e32 v15, vcc, v21, v15, vcc
	v_addc_co_u32_e64 v23, s[0:1], 0, v17, s[0:1]
	v_cmp_le_u32_e32 vcc, s59, v15
	v_add_co_u32_e64 v24, s[0:1], 1, v16
	v_cndmask_b32_e64 v21, 0, -1, vcc
	v_cmp_le_u32_e32 vcc, s58, v14
	v_addc_co_u32_e64 v25, s[0:1], 0, v17, s[0:1]
	v_cndmask_b32_e64 v14, 0, -1, vcc
	v_cmp_eq_u32_e32 vcc, s59, v15
	v_cmp_ne_u32_e64 s[0:1], 0, v20
	v_cndmask_b32_e32 v14, v21, v14, vcc
	v_cndmask_b32_e64 v20, v25, v23, s[0:1]
	v_cmp_ne_u32_e32 vcc, 0, v14
	v_cndmask_b32_e64 v15, v24, v22, s[0:1]
	v_cndmask_b32_e32 v14, v17, v20, vcc
	v_cndmask_b32_e32 v15, v16, v15, vcc
	v_xor_b32_e32 v16, v14, v3
	v_xor_b32_e32 v14, v15, v3
	v_sub_co_u32_e32 v14, vcc, v14, v3
	v_subb_co_u32_e32 v15, vcc, v16, v3, vcc
.LBB86_32:                              ;   in Loop: Header=BB86_22 Depth=2
	s_andn2_saveexec_b64 s[0:1], s[54:55]
	s_cbranch_execz .LBB86_34
; %bb.33:                               ;   in Loop: Header=BB86_22 Depth=2
	v_cvt_f32_u32_e32 v3, s50
	s_sub_i32 s54, 0, s50
	v_rcp_iflag_f32_e32 v3, v3
	v_mul_f32_e32 v3, 0x4f7ffffe, v3
	v_cvt_u32_f32_e32 v3, v3
	v_mul_lo_u32 v14, s54, v3
	v_mul_hi_u32 v14, v3, v14
	v_add_u32_e32 v3, v3, v14
	v_mul_hi_u32 v3, v12, v3
	v_mul_lo_u32 v14, v3, s50
	v_add_u32_e32 v15, 1, v3
	v_sub_u32_e32 v14, v12, v14
	v_subrev_u32_e32 v16, s50, v14
	v_cmp_le_u32_e32 vcc, s50, v14
	v_cndmask_b32_e32 v14, v14, v16, vcc
	v_cndmask_b32_e32 v3, v3, v15, vcc
	v_add_u32_e32 v15, 1, v3
	v_cmp_le_u32_e32 vcc, s50, v14
	v_cndmask_b32_e32 v14, v3, v15, vcc
	v_mov_b32_e32 v15, v2
.LBB86_34:                              ;   in Loop: Header=BB86_22 Depth=2
	s_or_b64 exec, exec, s[0:1]
	s_load_dwordx2 s[54:55], s[40:41], 0x0
	s_load_dwordx2 s[56:57], s[38:39], 0x8
                                        ; implicit-def: $vgpr16_vgpr17
	s_waitcnt lgkmcnt(0)
	v_or_b32_e32 v3, s55, v15
	v_cmp_ne_u64_e32 vcc, 0, v[2:3]
	s_and_saveexec_b64 s[0:1], vcc
	s_xor_b64 s[58:59], exec, s[0:1]
	s_cbranch_execz .LBB86_36
; %bb.35:                               ;   in Loop: Header=BB86_22 Depth=2
	s_ashr_i32 s60, s55, 31
	s_add_u32 s0, s54, s60
	s_mov_b32 s61, s60
	s_addc_u32 s1, s55, s60
	s_xor_b64 s[62:63], s[0:1], s[60:61]
	v_cvt_f32_u32_e32 v3, s62
	v_cvt_f32_u32_e32 v16, s63
	s_sub_u32 s61, 0, s62
	s_subb_u32 s68, 0, s63
	v_mac_f32_e32 v3, 0x4f800000, v16
	v_rcp_f32_e32 v3, v3
	v_mul_f32_e32 v3, 0x5f7ffffc, v3
	v_mul_f32_e32 v16, 0x2f800000, v3
	v_trunc_f32_e32 v16, v16
	v_mac_f32_e32 v3, 0xcf800000, v16
	v_cvt_u32_f32_e32 v16, v16
	v_cvt_u32_f32_e32 v3, v3
	v_readfirstlane_b32 s69, v16
	v_readfirstlane_b32 s0, v3
	s_mul_i32 s1, s61, s69
	s_mul_hi_u32 s71, s61, s0
	s_mul_i32 s70, s68, s0
	s_add_i32 s1, s71, s1
	s_add_i32 s1, s1, s70
	s_mul_i32 s72, s61, s0
	s_mul_i32 s71, s0, s1
	s_mul_hi_u32 s73, s0, s72
	s_mul_hi_u32 s70, s0, s1
	s_add_u32 s71, s73, s71
	s_addc_u32 s70, 0, s70
	s_mul_hi_u32 s74, s69, s72
	s_mul_i32 s72, s69, s72
	s_add_u32 s71, s71, s72
	s_mul_hi_u32 s73, s69, s1
	s_addc_u32 s70, s70, s74
	s_addc_u32 s71, s73, 0
	s_mul_i32 s1, s69, s1
	s_add_u32 s1, s70, s1
	s_addc_u32 s70, 0, s71
	s_add_u32 s71, s0, s1
	s_cselect_b64 s[0:1], -1, 0
	s_cmp_lg_u64 s[0:1], 0
	s_addc_u32 s69, s69, s70
	s_mul_i32 s0, s61, s69
	s_mul_hi_u32 s1, s61, s71
	s_add_i32 s0, s1, s0
	s_mul_i32 s68, s68, s71
	s_add_i32 s0, s0, s68
	s_mul_i32 s61, s61, s71
	s_mul_hi_u32 s68, s69, s61
	s_mul_i32 s70, s69, s61
	s_mul_i32 s73, s71, s0
	s_mul_hi_u32 s61, s71, s61
	s_mul_hi_u32 s72, s71, s0
	s_add_u32 s61, s61, s73
	s_addc_u32 s72, 0, s72
	s_add_u32 s61, s61, s70
	s_mul_hi_u32 s1, s69, s0
	s_addc_u32 s61, s72, s68
	s_addc_u32 s1, s1, 0
	s_mul_i32 s0, s69, s0
	s_add_u32 s0, s61, s0
	s_addc_u32 s61, 0, s1
	s_add_u32 s68, s71, s0
	s_cselect_b64 s[0:1], -1, 0
	v_ashrrev_i32_e32 v3, 31, v15
	s_cmp_lg_u64 s[0:1], 0
	v_add_co_u32_e32 v16, vcc, v14, v3
	s_addc_u32 s61, s69, s61
	v_xor_b32_e32 v22, v16, v3
	v_mad_u64_u32 v[16:17], s[0:1], v22, s61, 0
	v_mul_hi_u32 v21, v22, s68
	v_addc_co_u32_e32 v20, vcc, v15, v3, vcc
	v_xor_b32_e32 v23, v20, v3
	v_add_co_u32_e32 v24, vcc, v21, v16
	v_addc_co_u32_e32 v25, vcc, 0, v17, vcc
	v_mad_u64_u32 v[16:17], s[0:1], v23, s68, 0
	v_mad_u64_u32 v[20:21], s[0:1], v23, s61, 0
	v_add_co_u32_e32 v16, vcc, v24, v16
	v_addc_co_u32_e32 v16, vcc, v25, v17, vcc
	v_addc_co_u32_e32 v17, vcc, 0, v21, vcc
	v_add_co_u32_e32 v20, vcc, v16, v20
	v_addc_co_u32_e32 v21, vcc, 0, v17, vcc
	v_mul_lo_u32 v24, s63, v20
	v_mul_lo_u32 v25, s62, v21
	v_mad_u64_u32 v[16:17], s[0:1], s62, v20, 0
	v_xor_b32_e32 v3, s60, v3
	v_add3_u32 v17, v17, v25, v24
	v_sub_u32_e32 v24, v23, v17
	v_mov_b32_e32 v25, s63
	v_sub_co_u32_e32 v16, vcc, v22, v16
	v_subb_co_u32_e64 v22, s[0:1], v24, v25, vcc
	v_subrev_co_u32_e64 v24, s[0:1], s62, v16
	v_subbrev_co_u32_e64 v22, s[0:1], 0, v22, s[0:1]
	v_cmp_le_u32_e64 s[0:1], s63, v22
	v_cndmask_b32_e64 v25, 0, -1, s[0:1]
	v_cmp_le_u32_e64 s[0:1], s62, v24
	v_cndmask_b32_e64 v24, 0, -1, s[0:1]
	v_cmp_eq_u32_e64 s[0:1], s63, v22
	v_cndmask_b32_e64 v22, v25, v24, s[0:1]
	v_add_co_u32_e64 v24, s[0:1], 2, v20
	v_subb_co_u32_e32 v17, vcc, v23, v17, vcc
	v_addc_co_u32_e64 v25, s[0:1], 0, v21, s[0:1]
	v_cmp_le_u32_e32 vcc, s63, v17
	v_add_co_u32_e64 v26, s[0:1], 1, v20
	v_cndmask_b32_e64 v23, 0, -1, vcc
	v_cmp_le_u32_e32 vcc, s62, v16
	v_addc_co_u32_e64 v27, s[0:1], 0, v21, s[0:1]
	v_cndmask_b32_e64 v16, 0, -1, vcc
	v_cmp_eq_u32_e32 vcc, s63, v17
	v_cmp_ne_u32_e64 s[0:1], 0, v22
	v_cndmask_b32_e32 v16, v23, v16, vcc
	v_cndmask_b32_e64 v22, v27, v25, s[0:1]
	v_cmp_ne_u32_e32 vcc, 0, v16
	v_cndmask_b32_e64 v17, v26, v24, s[0:1]
	v_cndmask_b32_e32 v16, v21, v22, vcc
	v_cndmask_b32_e32 v17, v20, v17, vcc
	v_xor_b32_e32 v20, v16, v3
	v_xor_b32_e32 v16, v17, v3
	v_sub_co_u32_e32 v16, vcc, v16, v3
	v_subb_co_u32_e32 v17, vcc, v20, v3, vcc
.LBB86_36:                              ;   in Loop: Header=BB86_22 Depth=2
	s_andn2_saveexec_b64 s[0:1], s[58:59]
	s_cbranch_execz .LBB86_21
; %bb.37:                               ;   in Loop: Header=BB86_22 Depth=2
	v_cvt_f32_u32_e32 v3, s54
	s_sub_i32 s58, 0, s54
	v_rcp_iflag_f32_e32 v3, v3
	v_mul_f32_e32 v3, 0x4f7ffffe, v3
	v_cvt_u32_f32_e32 v3, v3
	v_mul_lo_u32 v16, s58, v3
	v_mul_hi_u32 v16, v3, v16
	v_add_u32_e32 v3, v3, v16
	v_mul_hi_u32 v3, v14, v3
	v_mul_lo_u32 v16, v3, s54
	v_add_u32_e32 v17, 1, v3
	v_sub_u32_e32 v16, v14, v16
	v_subrev_u32_e32 v20, s54, v16
	v_cmp_le_u32_e32 vcc, s54, v16
	v_cndmask_b32_e32 v16, v16, v20, vcc
	v_cndmask_b32_e32 v3, v3, v17, vcc
	v_add_u32_e32 v17, 1, v3
	v_cmp_le_u32_e32 vcc, s54, v16
	v_cndmask_b32_e32 v16, v3, v17, vcc
	v_mov_b32_e32 v17, v2
	s_branch .LBB86_21
.LBB86_38:                              ;   in Loop: Header=BB86_3 Depth=1
	s_load_dwordx2 s[0:1], s[22:23], 0x0
	s_waitcnt lgkmcnt(0)
	v_cmp_gt_i64_e32 vcc, s[0:1], v[4:5]
	s_and_b64 exec, exec, vcc
	s_cbranch_execz .LBB86_2
; %bb.39:                               ;   in Loop: Header=BB86_3 Depth=1
	v_lshlrev_b64 v[6:7], 3, v[6:7]
	v_mov_b32_e32 v3, s13
	v_add_co_u32_e32 v6, vcc, s12, v6
	v_addc_co_u32_e32 v7, vcc, v3, v7, vcc
	v_add_co_u32_e32 v4, vcc, 1, v4
	v_addc_co_u32_e32 v5, vcc, 0, v5, vcc
	v_cmp_gt_i64_e32 vcc, s[0:1], v[4:5]
	v_sub_co_u32_e64 v4, s[0:1], v4, v18
	v_subb_co_u32_e64 v5, s[0:1], v5, v19, s[0:1]
	v_cmp_gt_i64_e64 s[0:1], s[8:9], v[4:5]
	v_mov_b32_e32 v3, v2
	s_and_b64 s[0:1], vcc, s[0:1]
	global_store_dwordx2 v[6:7], v[2:3], off
	s_and_b64 exec, exec, s[0:1]
	s_cbranch_execz .LBB86_2
; %bb.40:                               ;   in Loop: Header=BB86_3 Depth=1
	s_lshl_b64 s[0:1], s[2:3], 3
	v_mov_b32_e32 v5, s1
	v_add_co_u32_e32 v4, vcc, s0, v6
	v_addc_co_u32_e32 v5, vcc, v7, v5, vcc
	global_store_dwordx2 v[4:5], v[2:3], off
	s_branch .LBB86_2
.LBB86_41:
	s_endpgm
	.section	.rodata,"a",@progbits
	.p2align	6, 0x0
	.amdhsa_kernel _ZN2at6native16triu_tril_kernelIN3c107complexIfEElLb1ELi2ELb1EEEvNS_4cuda6detail10TensorInfoIT_T0_EENS7_IKS8_S9_EEllS9_
		.amdhsa_group_segment_fixed_size 0
		.amdhsa_private_segment_fixed_size 0
		.amdhsa_kernarg_size 1112
		.amdhsa_user_sgpr_count 6
		.amdhsa_user_sgpr_private_segment_buffer 1
		.amdhsa_user_sgpr_dispatch_ptr 0
		.amdhsa_user_sgpr_queue_ptr 0
		.amdhsa_user_sgpr_kernarg_segment_ptr 1
		.amdhsa_user_sgpr_dispatch_id 0
		.amdhsa_user_sgpr_flat_scratch_init 0
		.amdhsa_user_sgpr_private_segment_size 0
		.amdhsa_uses_dynamic_stack 0
		.amdhsa_system_sgpr_private_segment_wavefront_offset 0
		.amdhsa_system_sgpr_workgroup_id_x 1
		.amdhsa_system_sgpr_workgroup_id_y 0
		.amdhsa_system_sgpr_workgroup_id_z 0
		.amdhsa_system_sgpr_workgroup_info 0
		.amdhsa_system_vgpr_workitem_id 0
		.amdhsa_next_free_vgpr 28
		.amdhsa_next_free_sgpr 75
		.amdhsa_reserve_vcc 1
		.amdhsa_reserve_flat_scratch 0
		.amdhsa_float_round_mode_32 0
		.amdhsa_float_round_mode_16_64 0
		.amdhsa_float_denorm_mode_32 3
		.amdhsa_float_denorm_mode_16_64 3
		.amdhsa_dx10_clamp 1
		.amdhsa_ieee_mode 1
		.amdhsa_fp16_overflow 0
		.amdhsa_exception_fp_ieee_invalid_op 0
		.amdhsa_exception_fp_denorm_src 0
		.amdhsa_exception_fp_ieee_div_zero 0
		.amdhsa_exception_fp_ieee_overflow 0
		.amdhsa_exception_fp_ieee_underflow 0
		.amdhsa_exception_fp_ieee_inexact 0
		.amdhsa_exception_int_div_zero 0
	.end_amdhsa_kernel
	.section	.text._ZN2at6native16triu_tril_kernelIN3c107complexIfEElLb1ELi2ELb1EEEvNS_4cuda6detail10TensorInfoIT_T0_EENS7_IKS8_S9_EEllS9_,"axG",@progbits,_ZN2at6native16triu_tril_kernelIN3c107complexIfEElLb1ELi2ELb1EEEvNS_4cuda6detail10TensorInfoIT_T0_EENS7_IKS8_S9_EEllS9_,comdat
.Lfunc_end86:
	.size	_ZN2at6native16triu_tril_kernelIN3c107complexIfEElLb1ELi2ELb1EEEvNS_4cuda6detail10TensorInfoIT_T0_EENS7_IKS8_S9_EEllS9_, .Lfunc_end86-_ZN2at6native16triu_tril_kernelIN3c107complexIfEElLb1ELi2ELb1EEEvNS_4cuda6detail10TensorInfoIT_T0_EENS7_IKS8_S9_EEllS9_
                                        ; -- End function
	.set _ZN2at6native16triu_tril_kernelIN3c107complexIfEElLb1ELi2ELb1EEEvNS_4cuda6detail10TensorInfoIT_T0_EENS7_IKS8_S9_EEllS9_.num_vgpr, 28
	.set _ZN2at6native16triu_tril_kernelIN3c107complexIfEElLb1ELi2ELb1EEEvNS_4cuda6detail10TensorInfoIT_T0_EENS7_IKS8_S9_EEllS9_.num_agpr, 0
	.set _ZN2at6native16triu_tril_kernelIN3c107complexIfEElLb1ELi2ELb1EEEvNS_4cuda6detail10TensorInfoIT_T0_EENS7_IKS8_S9_EEllS9_.numbered_sgpr, 75
	.set _ZN2at6native16triu_tril_kernelIN3c107complexIfEElLb1ELi2ELb1EEEvNS_4cuda6detail10TensorInfoIT_T0_EENS7_IKS8_S9_EEllS9_.num_named_barrier, 0
	.set _ZN2at6native16triu_tril_kernelIN3c107complexIfEElLb1ELi2ELb1EEEvNS_4cuda6detail10TensorInfoIT_T0_EENS7_IKS8_S9_EEllS9_.private_seg_size, 0
	.set _ZN2at6native16triu_tril_kernelIN3c107complexIfEElLb1ELi2ELb1EEEvNS_4cuda6detail10TensorInfoIT_T0_EENS7_IKS8_S9_EEllS9_.uses_vcc, 1
	.set _ZN2at6native16triu_tril_kernelIN3c107complexIfEElLb1ELi2ELb1EEEvNS_4cuda6detail10TensorInfoIT_T0_EENS7_IKS8_S9_EEllS9_.uses_flat_scratch, 0
	.set _ZN2at6native16triu_tril_kernelIN3c107complexIfEElLb1ELi2ELb1EEEvNS_4cuda6detail10TensorInfoIT_T0_EENS7_IKS8_S9_EEllS9_.has_dyn_sized_stack, 0
	.set _ZN2at6native16triu_tril_kernelIN3c107complexIfEElLb1ELi2ELb1EEEvNS_4cuda6detail10TensorInfoIT_T0_EENS7_IKS8_S9_EEllS9_.has_recursion, 0
	.set _ZN2at6native16triu_tril_kernelIN3c107complexIfEElLb1ELi2ELb1EEEvNS_4cuda6detail10TensorInfoIT_T0_EENS7_IKS8_S9_EEllS9_.has_indirect_call, 0
	.section	.AMDGPU.csdata,"",@progbits
; Kernel info:
; codeLenInByte = 6444
; TotalNumSgprs: 79
; NumVgprs: 28
; ScratchSize: 0
; MemoryBound: 0
; FloatMode: 240
; IeeeMode: 1
; LDSByteSize: 0 bytes/workgroup (compile time only)
; SGPRBlocks: 9
; VGPRBlocks: 6
; NumSGPRsForWavesPerEU: 79
; NumVGPRsForWavesPerEU: 28
; Occupancy: 9
; WaveLimiterHint : 0
; COMPUTE_PGM_RSRC2:SCRATCH_EN: 0
; COMPUTE_PGM_RSRC2:USER_SGPR: 6
; COMPUTE_PGM_RSRC2:TRAP_HANDLER: 0
; COMPUTE_PGM_RSRC2:TGID_X_EN: 1
; COMPUTE_PGM_RSRC2:TGID_Y_EN: 0
; COMPUTE_PGM_RSRC2:TGID_Z_EN: 0
; COMPUTE_PGM_RSRC2:TIDIG_COMP_CNT: 0
	.section	.text._ZN2at6native16triu_tril_kernelIN3c107complexIfEElLb1ELi2ELb0EEEvNS_4cuda6detail10TensorInfoIT_T0_EENS7_IKS8_S9_EEllS9_,"axG",@progbits,_ZN2at6native16triu_tril_kernelIN3c107complexIfEElLb1ELi2ELb0EEEvNS_4cuda6detail10TensorInfoIT_T0_EENS7_IKS8_S9_EEllS9_,comdat
	.protected	_ZN2at6native16triu_tril_kernelIN3c107complexIfEElLb1ELi2ELb0EEEvNS_4cuda6detail10TensorInfoIT_T0_EENS7_IKS8_S9_EEllS9_ ; -- Begin function _ZN2at6native16triu_tril_kernelIN3c107complexIfEElLb1ELi2ELb0EEEvNS_4cuda6detail10TensorInfoIT_T0_EENS7_IKS8_S9_EEllS9_
	.globl	_ZN2at6native16triu_tril_kernelIN3c107complexIfEElLb1ELi2ELb0EEEvNS_4cuda6detail10TensorInfoIT_T0_EENS7_IKS8_S9_EEllS9_
	.p2align	8
	.type	_ZN2at6native16triu_tril_kernelIN3c107complexIfEElLb1ELi2ELb0EEEvNS_4cuda6detail10TensorInfoIT_T0_EENS7_IKS8_S9_EEllS9_,@function
_ZN2at6native16triu_tril_kernelIN3c107complexIfEElLb1ELi2ELb0EEEvNS_4cuda6detail10TensorInfoIT_T0_EENS7_IKS8_S9_EEllS9_: ; @_ZN2at6native16triu_tril_kernelIN3c107complexIfEElLb1ELi2ELb0EEEvNS_4cuda6detail10TensorInfoIT_T0_EENS7_IKS8_S9_EEllS9_
; %bb.0:
	s_load_dword s2, s[4:5], 0x364
	s_load_dwordx4 s[8:11], s[4:5], 0x340
	s_add_u32 s0, s4, 0x358
	v_mov_b32_e32 v2, 0
	s_addc_u32 s1, s5, 0
	s_waitcnt lgkmcnt(0)
	s_and_b32 s7, s2, 0xffff
	v_mov_b32_e32 v1, v2
	v_mov_b32_e32 v3, s6
	v_mad_u64_u32 v[0:1], s[2:3], s7, v3, v[0:1]
	v_lshlrev_b64 v[0:1], 1, v[0:1]
	v_cmp_gt_i64_e32 vcc, s[10:11], v[0:1]
	s_and_saveexec_b64 s[2:3], vcc
	s_cbranch_execz .LBB87_38
; %bb.1:
	s_load_dword s6, s[0:1], 0x0
	s_load_dword s24, s[4:5], 0x338
	s_add_u32 s33, s4, 0x1a0
	s_addc_u32 s62, s5, 0
	s_load_dwordx2 s[2:3], s[4:5], 0x1a0
	s_waitcnt lgkmcnt(0)
	s_mul_i32 s30, s6, s7
	s_ashr_i32 s25, s24, 31
	s_lshl_b64 s[0:1], s[24:25], 3
	s_add_u32 s20, s33, s0
	s_addc_u32 s21, s62, s1
	s_add_u32 s22, s20, -8
	s_addc_u32 s23, s21, -1
	s_add_u32 s0, s4, s0
	v_cmp_gt_i64_e64 s[6:7], s[24:25], 2
	s_addc_u32 s1, s5, s1
	s_add_i32 s24, s24, -3
	s_ashr_i32 s25, s24, 31
	s_lshl_b32 s63, s30, 1
	s_bitcmp0_b32 s24, 0
	s_load_dwordx4 s[12:15], s[22:23], 0x0
	s_load_dwordx4 s[16:19], s[20:21], 0xc0
	s_cselect_b64 s[30:31], -1, 0
	s_load_dwordx4 s[20:23], s[0:1], 0xc0
	s_lshl_b64 s[0:1], s[24:25], 3
	s_add_u32 s34, s33, s0
	s_addc_u32 s35, s62, s1
	s_add_u32 s36, s4, s0
	s_addc_u32 s37, s5, s1
	s_load_dwordx2 s[26:27], s[4:5], 0x350
	s_load_dwordx2 s[28:29], s[4:5], 0x0
	s_add_u32 s38, s24, -1
	s_addc_u32 s39, s25, -1
	s_cmp_lg_u32 s24, 0
	s_cselect_b64 s[40:41], -1, 0
	s_add_u32 s64, s4, 0xc8
	s_addc_u32 s65, s5, 0
	s_mov_b64 s[4:5], 0
	s_branch .LBB87_3
.LBB87_2:                               ;   in Loop: Header=BB87_3 Depth=1
	s_or_b64 exec, exec, s[0:1]
	v_add_co_u32_e32 v0, vcc, s63, v0
	v_addc_co_u32_e32 v1, vcc, 0, v1, vcc
	v_cmp_le_i64_e32 vcc, s[10:11], v[0:1]
	s_or_b64 s[4:5], vcc, s[4:5]
	s_andn2_b64 exec, exec, s[4:5]
	s_cbranch_execz .LBB87_38
.LBB87_3:                               ; =>This Loop Header: Depth=1
                                        ;     Child Loop BB87_21 Depth 2
	s_waitcnt lgkmcnt(0)
	v_or_b32_e32 v3, s27, v1
	v_cmp_ne_u64_e32 vcc, 0, v[2:3]
                                        ; implicit-def: $vgpr6_vgpr7
	s_and_saveexec_b64 s[0:1], vcc
	s_xor_b64 s[42:43], exec, s[0:1]
	s_cbranch_execz .LBB87_5
; %bb.4:                                ;   in Loop: Header=BB87_3 Depth=1
	s_ashr_i32 s44, s27, 31
	s_add_u32 s0, s26, s44
	s_mov_b32 s45, s44
	s_addc_u32 s1, s27, s44
	s_xor_b64 s[46:47], s[0:1], s[44:45]
	v_cvt_f32_u32_e32 v3, s46
	v_cvt_f32_u32_e32 v4, s47
	s_sub_u32 s45, 0, s46
	s_subb_u32 s48, 0, s47
	v_ashrrev_i32_e32 v7, 31, v1
	v_mac_f32_e32 v3, 0x4f800000, v4
	v_rcp_f32_e32 v3, v3
	v_mul_f32_e32 v3, 0x5f7ffffc, v3
	v_mul_f32_e32 v4, 0x2f800000, v3
	v_trunc_f32_e32 v4, v4
	v_mac_f32_e32 v3, 0xcf800000, v4
	v_cvt_u32_f32_e32 v4, v4
	v_cvt_u32_f32_e32 v3, v3
	v_readfirstlane_b32 s49, v4
	v_readfirstlane_b32 s0, v3
	s_mul_i32 s1, s45, s49
	s_mul_hi_u32 s51, s45, s0
	s_mul_i32 s50, s48, s0
	s_add_i32 s1, s51, s1
	s_add_i32 s1, s1, s50
	s_mul_i32 s52, s45, s0
	s_mul_i32 s51, s0, s1
	s_mul_hi_u32 s53, s0, s52
	s_mul_hi_u32 s50, s0, s1
	s_add_u32 s51, s53, s51
	s_addc_u32 s50, 0, s50
	s_mul_hi_u32 s54, s49, s52
	s_mul_i32 s52, s49, s52
	s_add_u32 s51, s51, s52
	s_mul_hi_u32 s53, s49, s1
	s_addc_u32 s50, s50, s54
	s_addc_u32 s51, s53, 0
	s_mul_i32 s1, s49, s1
	s_add_u32 s1, s50, s1
	s_addc_u32 s50, 0, s51
	s_add_u32 s51, s0, s1
	s_cselect_b64 s[0:1], -1, 0
	s_cmp_lg_u64 s[0:1], 0
	s_addc_u32 s49, s49, s50
	s_mul_i32 s0, s45, s49
	s_mul_hi_u32 s1, s45, s51
	s_add_i32 s0, s1, s0
	s_mul_i32 s48, s48, s51
	s_add_i32 s0, s0, s48
	s_mul_i32 s45, s45, s51
	s_mul_hi_u32 s48, s49, s45
	s_mul_i32 s50, s49, s45
	s_mul_i32 s53, s51, s0
	s_mul_hi_u32 s45, s51, s45
	s_mul_hi_u32 s52, s51, s0
	s_add_u32 s45, s45, s53
	s_addc_u32 s52, 0, s52
	s_add_u32 s45, s45, s50
	s_mul_hi_u32 s1, s49, s0
	s_addc_u32 s45, s52, s48
	s_addc_u32 s1, s1, 0
	s_mul_i32 s0, s49, s0
	s_add_u32 s0, s45, s0
	s_addc_u32 s45, 0, s1
	s_add_u32 s48, s51, s0
	s_cselect_b64 s[0:1], -1, 0
	s_cmp_lg_u64 s[0:1], 0
	v_add_co_u32_e32 v3, vcc, v0, v7
	s_addc_u32 s45, s49, s45
	v_xor_b32_e32 v8, v3, v7
	v_mad_u64_u32 v[3:4], s[0:1], v8, s45, 0
	v_mul_hi_u32 v6, v8, s48
	v_addc_co_u32_e32 v5, vcc, v1, v7, vcc
	v_xor_b32_e32 v9, v5, v7
	v_add_co_u32_e32 v10, vcc, v6, v3
	v_addc_co_u32_e32 v11, vcc, 0, v4, vcc
	v_mad_u64_u32 v[3:4], s[0:1], v9, s48, 0
	v_mad_u64_u32 v[5:6], s[0:1], v9, s45, 0
	v_add_co_u32_e32 v3, vcc, v10, v3
	v_addc_co_u32_e32 v3, vcc, v11, v4, vcc
	v_addc_co_u32_e32 v4, vcc, 0, v6, vcc
	v_add_co_u32_e32 v5, vcc, v3, v5
	v_addc_co_u32_e32 v6, vcc, 0, v4, vcc
	v_mul_lo_u32 v10, s47, v5
	v_mul_lo_u32 v11, s46, v6
	v_mad_u64_u32 v[3:4], s[0:1], s46, v5, 0
	v_add3_u32 v4, v4, v11, v10
	v_sub_u32_e32 v10, v9, v4
	v_mov_b32_e32 v11, s47
	v_sub_co_u32_e32 v3, vcc, v8, v3
	v_subb_co_u32_e64 v8, s[0:1], v10, v11, vcc
	v_subrev_co_u32_e64 v10, s[0:1], s46, v3
	v_subbrev_co_u32_e64 v8, s[0:1], 0, v8, s[0:1]
	v_cmp_le_u32_e64 s[0:1], s47, v8
	v_cndmask_b32_e64 v11, 0, -1, s[0:1]
	v_cmp_le_u32_e64 s[0:1], s46, v10
	v_cndmask_b32_e64 v10, 0, -1, s[0:1]
	v_cmp_eq_u32_e64 s[0:1], s47, v8
	v_cndmask_b32_e64 v8, v11, v10, s[0:1]
	v_add_co_u32_e64 v10, s[0:1], 2, v5
	v_subb_co_u32_e32 v4, vcc, v9, v4, vcc
	v_addc_co_u32_e64 v11, s[0:1], 0, v6, s[0:1]
	v_cmp_le_u32_e32 vcc, s47, v4
	v_add_co_u32_e64 v12, s[0:1], 1, v5
	v_cndmask_b32_e64 v9, 0, -1, vcc
	v_cmp_le_u32_e32 vcc, s46, v3
	v_addc_co_u32_e64 v13, s[0:1], 0, v6, s[0:1]
	v_cndmask_b32_e64 v3, 0, -1, vcc
	v_cmp_eq_u32_e32 vcc, s47, v4
	v_cmp_ne_u32_e64 s[0:1], 0, v8
	v_cndmask_b32_e32 v3, v9, v3, vcc
	v_cmp_ne_u32_e32 vcc, 0, v3
	v_cndmask_b32_e64 v4, v12, v10, s[0:1]
	v_cndmask_b32_e64 v8, v13, v11, s[0:1]
	v_cndmask_b32_e32 v4, v5, v4, vcc
	v_xor_b32_e32 v5, s44, v7
	v_cndmask_b32_e32 v3, v6, v8, vcc
	v_xor_b32_e32 v4, v4, v5
	v_xor_b32_e32 v3, v3, v5
	v_sub_co_u32_e32 v6, vcc, v4, v5
	v_subb_co_u32_e32 v7, vcc, v3, v5, vcc
.LBB87_5:                               ;   in Loop: Header=BB87_3 Depth=1
	s_andn2_saveexec_b64 s[0:1], s[42:43]
	s_cbranch_execz .LBB87_7
; %bb.6:                                ;   in Loop: Header=BB87_3 Depth=1
	v_cvt_f32_u32_e32 v3, s26
	s_sub_i32 s42, 0, s26
	v_mov_b32_e32 v7, v2
	v_rcp_iflag_f32_e32 v3, v3
	v_mul_f32_e32 v3, 0x4f7ffffe, v3
	v_cvt_u32_f32_e32 v3, v3
	v_mul_lo_u32 v4, s42, v3
	v_mul_hi_u32 v4, v3, v4
	v_add_u32_e32 v3, v3, v4
	v_mul_hi_u32 v3, v0, v3
	v_mul_lo_u32 v4, v3, s26
	v_add_u32_e32 v5, 1, v3
	v_sub_u32_e32 v4, v0, v4
	v_subrev_u32_e32 v6, s26, v4
	v_cmp_le_u32_e32 vcc, s26, v4
	v_cndmask_b32_e32 v4, v4, v6, vcc
	v_cndmask_b32_e32 v3, v3, v5, vcc
	v_add_u32_e32 v5, 1, v3
	v_cmp_le_u32_e32 vcc, s26, v4
	v_cndmask_b32_e32 v6, v3, v5, vcc
.LBB87_7:                               ;   in Loop: Header=BB87_3 Depth=1
	s_or_b64 exec, exec, s[0:1]
	v_or_b32_e32 v3, s13, v7
	v_cmp_ne_u64_e32 vcc, 0, v[2:3]
                                        ; implicit-def: $vgpr10_vgpr11
	s_and_saveexec_b64 s[0:1], vcc
	s_xor_b64 s[42:43], exec, s[0:1]
	s_cbranch_execz .LBB87_9
; %bb.8:                                ;   in Loop: Header=BB87_3 Depth=1
	s_ashr_i32 s44, s13, 31
	s_add_u32 s0, s12, s44
	s_mov_b32 s45, s44
	s_addc_u32 s1, s13, s44
	s_xor_b64 s[46:47], s[0:1], s[44:45]
	v_cvt_f32_u32_e32 v3, s46
	v_cvt_f32_u32_e32 v4, s47
	s_sub_u32 s45, 0, s46
	s_subb_u32 s48, 0, s47
	v_ashrrev_i32_e32 v5, 31, v7
	v_mac_f32_e32 v3, 0x4f800000, v4
	v_rcp_f32_e32 v3, v3
	v_mul_f32_e32 v3, 0x5f7ffffc, v3
	v_mul_f32_e32 v4, 0x2f800000, v3
	v_trunc_f32_e32 v4, v4
	v_mac_f32_e32 v3, 0xcf800000, v4
	v_cvt_u32_f32_e32 v4, v4
	v_cvt_u32_f32_e32 v3, v3
	v_readfirstlane_b32 s49, v4
	v_readfirstlane_b32 s0, v3
	s_mul_i32 s1, s45, s49
	s_mul_hi_u32 s51, s45, s0
	s_mul_i32 s50, s48, s0
	s_add_i32 s1, s51, s1
	s_add_i32 s1, s1, s50
	s_mul_i32 s52, s45, s0
	s_mul_i32 s51, s0, s1
	s_mul_hi_u32 s53, s0, s52
	s_mul_hi_u32 s50, s0, s1
	s_add_u32 s51, s53, s51
	s_addc_u32 s50, 0, s50
	s_mul_hi_u32 s54, s49, s52
	s_mul_i32 s52, s49, s52
	s_add_u32 s51, s51, s52
	s_mul_hi_u32 s53, s49, s1
	s_addc_u32 s50, s50, s54
	s_addc_u32 s51, s53, 0
	s_mul_i32 s1, s49, s1
	s_add_u32 s1, s50, s1
	s_addc_u32 s50, 0, s51
	s_add_u32 s51, s0, s1
	s_cselect_b64 s[0:1], -1, 0
	s_cmp_lg_u64 s[0:1], 0
	s_addc_u32 s49, s49, s50
	s_mul_i32 s0, s45, s49
	s_mul_hi_u32 s1, s45, s51
	s_add_i32 s0, s1, s0
	s_mul_i32 s48, s48, s51
	s_add_i32 s0, s0, s48
	s_mul_i32 s45, s45, s51
	s_mul_hi_u32 s48, s49, s45
	s_mul_i32 s50, s49, s45
	s_mul_i32 s53, s51, s0
	s_mul_hi_u32 s45, s51, s45
	s_mul_hi_u32 s52, s51, s0
	s_add_u32 s45, s45, s53
	s_addc_u32 s52, 0, s52
	s_add_u32 s45, s45, s50
	s_mul_hi_u32 s1, s49, s0
	s_addc_u32 s45, s52, s48
	s_addc_u32 s1, s1, 0
	s_mul_i32 s0, s49, s0
	s_add_u32 s0, s45, s0
	s_addc_u32 s45, 0, s1
	s_add_u32 s48, s51, s0
	s_cselect_b64 s[0:1], -1, 0
	s_cmp_lg_u64 s[0:1], 0
	v_add_co_u32_e32 v3, vcc, v6, v5
	s_addc_u32 s45, s49, s45
	v_xor_b32_e32 v10, v3, v5
	v_mad_u64_u32 v[3:4], s[0:1], v10, s45, 0
	v_mul_hi_u32 v9, v10, s48
	v_addc_co_u32_e32 v8, vcc, v7, v5, vcc
	v_xor_b32_e32 v11, v8, v5
	v_add_co_u32_e32 v12, vcc, v9, v3
	v_addc_co_u32_e32 v13, vcc, 0, v4, vcc
	v_mad_u64_u32 v[3:4], s[0:1], v11, s48, 0
	v_mad_u64_u32 v[8:9], s[0:1], v11, s45, 0
	v_add_co_u32_e32 v3, vcc, v12, v3
	v_addc_co_u32_e32 v3, vcc, v13, v4, vcc
	v_addc_co_u32_e32 v4, vcc, 0, v9, vcc
	v_add_co_u32_e32 v8, vcc, v3, v8
	v_addc_co_u32_e32 v9, vcc, 0, v4, vcc
	v_mul_lo_u32 v12, s47, v8
	v_mul_lo_u32 v13, s46, v9
	v_mad_u64_u32 v[3:4], s[0:1], s46, v8, 0
	v_xor_b32_e32 v5, s44, v5
	v_add3_u32 v4, v4, v13, v12
	v_sub_u32_e32 v12, v11, v4
	v_mov_b32_e32 v13, s47
	v_sub_co_u32_e32 v3, vcc, v10, v3
	v_subb_co_u32_e64 v10, s[0:1], v12, v13, vcc
	v_subrev_co_u32_e64 v12, s[0:1], s46, v3
	v_subbrev_co_u32_e64 v10, s[0:1], 0, v10, s[0:1]
	v_cmp_le_u32_e64 s[0:1], s47, v10
	v_cndmask_b32_e64 v13, 0, -1, s[0:1]
	v_cmp_le_u32_e64 s[0:1], s46, v12
	v_cndmask_b32_e64 v12, 0, -1, s[0:1]
	v_cmp_eq_u32_e64 s[0:1], s47, v10
	v_cndmask_b32_e64 v10, v13, v12, s[0:1]
	v_add_co_u32_e64 v12, s[0:1], 2, v8
	v_subb_co_u32_e32 v4, vcc, v11, v4, vcc
	v_addc_co_u32_e64 v13, s[0:1], 0, v9, s[0:1]
	v_cmp_le_u32_e32 vcc, s47, v4
	v_add_co_u32_e64 v14, s[0:1], 1, v8
	v_cndmask_b32_e64 v11, 0, -1, vcc
	v_cmp_le_u32_e32 vcc, s46, v3
	v_addc_co_u32_e64 v15, s[0:1], 0, v9, s[0:1]
	v_cndmask_b32_e64 v3, 0, -1, vcc
	v_cmp_eq_u32_e32 vcc, s47, v4
	v_cmp_ne_u32_e64 s[0:1], 0, v10
	v_cndmask_b32_e32 v3, v11, v3, vcc
	v_cmp_ne_u32_e32 vcc, 0, v3
	v_cndmask_b32_e64 v4, v14, v12, s[0:1]
	v_cndmask_b32_e64 v10, v15, v13, s[0:1]
	v_cndmask_b32_e32 v4, v8, v4, vcc
	v_cndmask_b32_e32 v3, v9, v10, vcc
	v_xor_b32_e32 v4, v4, v5
	v_xor_b32_e32 v3, v3, v5
	v_sub_co_u32_e32 v10, vcc, v4, v5
	v_subb_co_u32_e32 v11, vcc, v3, v5, vcc
.LBB87_9:                               ;   in Loop: Header=BB87_3 Depth=1
	s_andn2_saveexec_b64 s[0:1], s[42:43]
	s_cbranch_execz .LBB87_11
; %bb.10:                               ;   in Loop: Header=BB87_3 Depth=1
	v_cvt_f32_u32_e32 v3, s12
	s_sub_i32 s42, 0, s12
	v_mov_b32_e32 v11, v2
	v_rcp_iflag_f32_e32 v3, v3
	v_mul_f32_e32 v3, 0x4f7ffffe, v3
	v_cvt_u32_f32_e32 v3, v3
	v_mul_lo_u32 v4, s42, v3
	v_mul_hi_u32 v4, v3, v4
	v_add_u32_e32 v3, v3, v4
	v_mul_hi_u32 v3, v6, v3
	v_mul_lo_u32 v4, v3, s12
	v_add_u32_e32 v5, 1, v3
	v_sub_u32_e32 v4, v6, v4
	v_subrev_u32_e32 v8, s12, v4
	v_cmp_le_u32_e32 vcc, s12, v4
	v_cndmask_b32_e32 v4, v4, v8, vcc
	v_cndmask_b32_e32 v3, v3, v5, vcc
	v_add_u32_e32 v5, 1, v3
	v_cmp_le_u32_e32 vcc, s12, v4
	v_cndmask_b32_e32 v10, v3, v5, vcc
.LBB87_11:                              ;   in Loop: Header=BB87_3 Depth=1
	s_or_b64 exec, exec, s[0:1]
	v_mul_lo_u32 v5, v7, s26
	v_mul_lo_u32 v8, v6, s27
	v_mad_u64_u32 v[3:4], s[0:1], v6, s26, 0
	v_mul_lo_u32 v12, v11, s12
	v_mul_lo_u32 v13, v10, s13
	v_add3_u32 v5, v4, v8, v5
	v_mad_u64_u32 v[8:9], s[0:1], v10, s12, 0
	v_sub_co_u32_e32 v4, vcc, v0, v3
	v_subb_co_u32_e32 v5, vcc, v1, v5, vcc
	v_add3_u32 v3, v9, v13, v12
	v_mul_lo_u32 v9, s19, v4
	v_mul_lo_u32 v14, s18, v5
	v_mad_u64_u32 v[12:13], s[0:1], s18, v4, 0
	v_sub_co_u32_e32 v16, vcc, v6, v8
	v_subb_co_u32_e32 v17, vcc, v7, v3, vcc
	v_add3_u32 v13, v13, v14, v9
	v_mul_lo_u32 v3, s23, v4
	v_mul_lo_u32 v14, s22, v5
	v_mad_u64_u32 v[6:7], s[0:1], s22, v4, 0
	v_mad_u64_u32 v[8:9], s[0:1], s16, v16, v[12:13]
	v_mul_lo_u32 v12, s16, v17
	v_mul_lo_u32 v13, s17, v16
	v_add3_u32 v7, v7, v14, v3
	v_mad_u64_u32 v[6:7], s[0:1], s20, v16, v[6:7]
	v_add3_u32 v9, v13, v9, v12
	v_mul_lo_u32 v3, s20, v17
	v_mul_lo_u32 v12, s21, v16
	s_andn2_b64 vcc, exec, s[6:7]
	v_add3_u32 v7, v12, v7, v3
	s_cbranch_vccnz .LBB87_29
; %bb.12:                               ;   in Loop: Header=BB87_3 Depth=1
	s_andn2_b64 vcc, exec, s[30:31]
	s_cbranch_vccnz .LBB87_18
; %bb.13:                               ;   in Loop: Header=BB87_3 Depth=1
	s_load_dwordx2 s[42:43], s[34:35], 0x8
                                        ; implicit-def: $vgpr12_vgpr13
	s_waitcnt lgkmcnt(0)
	v_or_b32_e32 v3, s43, v11
	v_cmp_ne_u64_e32 vcc, 0, v[2:3]
	s_and_saveexec_b64 s[0:1], vcc
	s_xor_b64 s[44:45], exec, s[0:1]
	s_cbranch_execz .LBB87_15
; %bb.14:                               ;   in Loop: Header=BB87_3 Depth=1
	s_ashr_i32 s46, s43, 31
	s_add_u32 s0, s42, s46
	s_mov_b32 s47, s46
	s_addc_u32 s1, s43, s46
	s_xor_b64 s[48:49], s[0:1], s[46:47]
	v_cvt_f32_u32_e32 v3, s48
	v_cvt_f32_u32_e32 v12, s49
	s_sub_u32 s47, 0, s48
	s_subb_u32 s50, 0, s49
	v_mac_f32_e32 v3, 0x4f800000, v12
	v_rcp_f32_e32 v3, v3
	v_mul_f32_e32 v3, 0x5f7ffffc, v3
	v_mul_f32_e32 v12, 0x2f800000, v3
	v_trunc_f32_e32 v12, v12
	v_mac_f32_e32 v3, 0xcf800000, v12
	v_cvt_u32_f32_e32 v12, v12
	v_cvt_u32_f32_e32 v3, v3
	v_readfirstlane_b32 s51, v12
	v_readfirstlane_b32 s0, v3
	s_mul_i32 s1, s47, s51
	s_mul_hi_u32 s53, s47, s0
	s_mul_i32 s52, s50, s0
	s_add_i32 s1, s53, s1
	s_add_i32 s1, s1, s52
	s_mul_i32 s54, s47, s0
	s_mul_i32 s53, s0, s1
	s_mul_hi_u32 s55, s0, s54
	s_mul_hi_u32 s52, s0, s1
	s_add_u32 s53, s55, s53
	s_addc_u32 s52, 0, s52
	s_mul_hi_u32 s56, s51, s54
	s_mul_i32 s54, s51, s54
	s_add_u32 s53, s53, s54
	s_mul_hi_u32 s55, s51, s1
	s_addc_u32 s52, s52, s56
	s_addc_u32 s53, s55, 0
	s_mul_i32 s1, s51, s1
	s_add_u32 s1, s52, s1
	s_addc_u32 s52, 0, s53
	s_add_u32 s53, s0, s1
	s_cselect_b64 s[0:1], -1, 0
	s_cmp_lg_u64 s[0:1], 0
	s_addc_u32 s51, s51, s52
	s_mul_i32 s0, s47, s51
	s_mul_hi_u32 s1, s47, s53
	s_add_i32 s0, s1, s0
	s_mul_i32 s50, s50, s53
	s_add_i32 s0, s0, s50
	s_mul_i32 s47, s47, s53
	s_mul_hi_u32 s50, s51, s47
	s_mul_i32 s52, s51, s47
	s_mul_i32 s55, s53, s0
	s_mul_hi_u32 s47, s53, s47
	s_mul_hi_u32 s54, s53, s0
	s_add_u32 s47, s47, s55
	s_addc_u32 s54, 0, s54
	s_add_u32 s47, s47, s52
	s_mul_hi_u32 s1, s51, s0
	s_addc_u32 s47, s54, s50
	s_addc_u32 s1, s1, 0
	s_mul_i32 s0, s51, s0
	s_add_u32 s0, s47, s0
	s_addc_u32 s47, 0, s1
	s_add_u32 s50, s53, s0
	s_cselect_b64 s[0:1], -1, 0
	v_ashrrev_i32_e32 v3, 31, v11
	s_cmp_lg_u64 s[0:1], 0
	v_add_co_u32_e32 v12, vcc, v10, v3
	s_addc_u32 s47, s51, s47
	v_xor_b32_e32 v18, v12, v3
	v_mad_u64_u32 v[12:13], s[0:1], v18, s47, 0
	v_mul_hi_u32 v15, v18, s50
	v_addc_co_u32_e32 v14, vcc, v11, v3, vcc
	v_xor_b32_e32 v19, v14, v3
	v_add_co_u32_e32 v20, vcc, v15, v12
	v_addc_co_u32_e32 v21, vcc, 0, v13, vcc
	v_mad_u64_u32 v[12:13], s[0:1], v19, s50, 0
	v_mad_u64_u32 v[14:15], s[0:1], v19, s47, 0
	v_add_co_u32_e32 v12, vcc, v20, v12
	v_addc_co_u32_e32 v12, vcc, v21, v13, vcc
	v_addc_co_u32_e32 v13, vcc, 0, v15, vcc
	v_add_co_u32_e32 v14, vcc, v12, v14
	v_addc_co_u32_e32 v15, vcc, 0, v13, vcc
	v_mul_lo_u32 v20, s49, v14
	v_mul_lo_u32 v21, s48, v15
	v_mad_u64_u32 v[12:13], s[0:1], s48, v14, 0
	v_xor_b32_e32 v3, s46, v3
	v_add3_u32 v13, v13, v21, v20
	v_sub_u32_e32 v20, v19, v13
	v_mov_b32_e32 v21, s49
	v_sub_co_u32_e32 v12, vcc, v18, v12
	v_subb_co_u32_e64 v18, s[0:1], v20, v21, vcc
	v_subrev_co_u32_e64 v20, s[0:1], s48, v12
	v_subbrev_co_u32_e64 v18, s[0:1], 0, v18, s[0:1]
	v_cmp_le_u32_e64 s[0:1], s49, v18
	v_cndmask_b32_e64 v21, 0, -1, s[0:1]
	v_cmp_le_u32_e64 s[0:1], s48, v20
	v_cndmask_b32_e64 v20, 0, -1, s[0:1]
	v_cmp_eq_u32_e64 s[0:1], s49, v18
	v_cndmask_b32_e64 v18, v21, v20, s[0:1]
	v_add_co_u32_e64 v20, s[0:1], 2, v14
	v_subb_co_u32_e32 v13, vcc, v19, v13, vcc
	v_addc_co_u32_e64 v21, s[0:1], 0, v15, s[0:1]
	v_cmp_le_u32_e32 vcc, s49, v13
	v_add_co_u32_e64 v22, s[0:1], 1, v14
	v_cndmask_b32_e64 v19, 0, -1, vcc
	v_cmp_le_u32_e32 vcc, s48, v12
	v_addc_co_u32_e64 v23, s[0:1], 0, v15, s[0:1]
	v_cndmask_b32_e64 v12, 0, -1, vcc
	v_cmp_eq_u32_e32 vcc, s49, v13
	v_cmp_ne_u32_e64 s[0:1], 0, v18
	v_cndmask_b32_e32 v12, v19, v12, vcc
	v_cndmask_b32_e64 v18, v23, v21, s[0:1]
	v_cmp_ne_u32_e32 vcc, 0, v12
	v_cndmask_b32_e64 v13, v22, v20, s[0:1]
	v_cndmask_b32_e32 v12, v15, v18, vcc
	v_cndmask_b32_e32 v13, v14, v13, vcc
	v_xor_b32_e32 v14, v12, v3
	v_xor_b32_e32 v12, v13, v3
	v_sub_co_u32_e32 v12, vcc, v12, v3
	v_subb_co_u32_e32 v13, vcc, v14, v3, vcc
.LBB87_15:                              ;   in Loop: Header=BB87_3 Depth=1
	s_andn2_saveexec_b64 s[0:1], s[44:45]
	s_cbranch_execz .LBB87_17
; %bb.16:                               ;   in Loop: Header=BB87_3 Depth=1
	v_cvt_f32_u32_e32 v3, s42
	s_sub_i32 s44, 0, s42
	v_rcp_iflag_f32_e32 v3, v3
	v_mul_f32_e32 v3, 0x4f7ffffe, v3
	v_cvt_u32_f32_e32 v3, v3
	v_mul_lo_u32 v12, s44, v3
	v_mul_hi_u32 v12, v3, v12
	v_add_u32_e32 v3, v3, v12
	v_mul_hi_u32 v3, v10, v3
	v_mul_lo_u32 v12, v3, s42
	v_add_u32_e32 v13, 1, v3
	v_sub_u32_e32 v12, v10, v12
	v_subrev_u32_e32 v14, s42, v12
	v_cmp_le_u32_e32 vcc, s42, v12
	v_cndmask_b32_e32 v12, v12, v14, vcc
	v_cndmask_b32_e32 v3, v3, v13, vcc
	v_add_u32_e32 v13, 1, v3
	v_cmp_le_u32_e32 vcc, s42, v12
	v_cndmask_b32_e32 v12, v3, v13, vcc
	v_mov_b32_e32 v13, v2
.LBB87_17:                              ;   in Loop: Header=BB87_3 Depth=1
	s_or_b64 exec, exec, s[0:1]
	v_mul_lo_u32 v3, v13, s42
	v_mul_lo_u32 v18, v12, s43
	v_mad_u64_u32 v[14:15], s[0:1], v12, s42, 0
	s_load_dwordx2 s[0:1], s[34:35], 0xd0
	s_load_dwordx2 s[42:43], s[36:37], 0xd0
	v_add3_u32 v3, v15, v18, v3
	v_sub_co_u32_e32 v10, vcc, v10, v14
	v_subb_co_u32_e32 v3, vcc, v11, v3, vcc
	s_waitcnt lgkmcnt(0)
	v_mul_lo_u32 v11, s0, v3
	v_mul_lo_u32 v14, s1, v10
	v_mad_u64_u32 v[8:9], s[0:1], s0, v10, v[8:9]
	v_mul_lo_u32 v3, s42, v3
	v_mul_lo_u32 v15, s43, v10
	v_mad_u64_u32 v[6:7], s[0:1], s42, v10, v[6:7]
	v_add3_u32 v9, v14, v9, v11
	v_mov_b32_e32 v10, v12
	v_add3_u32 v7, v15, v7, v3
	v_mov_b32_e32 v11, v13
	s_mov_b64 s[0:1], s[38:39]
	s_andn2_b64 vcc, exec, s[40:41]
	s_cbranch_vccz .LBB87_19
	s_branch .LBB87_29
.LBB87_18:                              ;   in Loop: Header=BB87_3 Depth=1
	s_mov_b64 s[0:1], s[24:25]
	s_andn2_b64 vcc, exec, s[40:41]
	s_cbranch_vccnz .LBB87_29
.LBB87_19:                              ;   in Loop: Header=BB87_3 Depth=1
	s_lshl_b64 s[44:45], s[0:1], 3
	s_add_u32 s42, s64, s44
	s_addc_u32 s43, s65, s45
	s_add_u32 s44, s33, s44
	s_addc_u32 s45, s62, s45
	;; [unrolled: 2-line block ×3, first 2 shown]
	s_branch .LBB87_21
.LBB87_20:                              ;   in Loop: Header=BB87_21 Depth=2
	s_or_b64 exec, exec, s[0:1]
	v_mul_lo_u32 v3, v13, s48
	v_mul_lo_u32 v20, v12, s49
	v_mad_u64_u32 v[18:19], s[0:1], v12, s48, 0
	v_mul_lo_u32 v21, v15, s50
	v_mul_lo_u32 v22, v14, s51
	v_add3_u32 v3, v19, v20, v3
	v_sub_co_u32_e32 v10, vcc, v10, v18
	v_subb_co_u32_e32 v3, vcc, v11, v3, vcc
	v_mul_lo_u32 v18, s54, v3
	v_mul_lo_u32 v19, s55, v10
	v_mad_u64_u32 v[8:9], s[0:1], s54, v10, v[8:9]
	v_mul_lo_u32 v3, s52, v3
	v_mul_lo_u32 v20, s53, v10
	v_mad_u64_u32 v[6:7], s[0:1], s52, v10, v[6:7]
	v_mad_u64_u32 v[10:11], s[0:1], v14, s50, 0
	s_load_dwordx2 s[0:1], s[44:45], 0xc8
	s_load_dwordx2 s[48:49], s[42:43], 0x0
	v_add3_u32 v7, v20, v7, v3
	v_add3_u32 v3, v11, v22, v21
	v_sub_co_u32_e32 v10, vcc, v12, v10
	v_add3_u32 v9, v19, v9, v18
	v_subb_co_u32_e32 v3, vcc, v13, v3, vcc
	s_add_u32 s42, s42, -16
	s_waitcnt lgkmcnt(0)
	v_mad_u64_u32 v[8:9], s[50:51], s0, v10, v[8:9]
	v_mul_lo_u32 v11, s0, v3
	v_mul_lo_u32 v12, s1, v10
	v_mad_u64_u32 v[6:7], s[0:1], s48, v10, v[6:7]
	v_mul_lo_u32 v3, s48, v3
	v_mul_lo_u32 v10, s49, v10
	s_addc_u32 s43, s43, -1
	s_add_u32 s44, s44, -16
	s_addc_u32 s45, s45, -1
	s_add_u32 s46, s46, -2
	v_add3_u32 v9, v12, v9, v11
	v_add3_u32 v7, v10, v7, v3
	s_addc_u32 s47, s47, -1
	v_mov_b32_e32 v10, v14
	s_cmp_eq_u64 s[46:47], 0
	v_mov_b32_e32 v11, v15
	s_cbranch_scc1 .LBB87_29
.LBB87_21:                              ;   Parent Loop BB87_3 Depth=1
                                        ; =>  This Inner Loop Header: Depth=2
	s_load_dwordx2 s[48:49], s[44:45], 0x8
                                        ; implicit-def: $vgpr12_vgpr13
	s_waitcnt lgkmcnt(0)
	v_or_b32_e32 v3, s49, v11
	v_cmp_ne_u64_e32 vcc, 0, v[2:3]
	s_and_saveexec_b64 s[0:1], vcc
	s_xor_b64 s[50:51], exec, s[0:1]
	s_cbranch_execz .LBB87_23
; %bb.22:                               ;   in Loop: Header=BB87_21 Depth=2
	s_ashr_i32 s52, s49, 31
	s_add_u32 s0, s48, s52
	s_mov_b32 s53, s52
	s_addc_u32 s1, s49, s52
	s_xor_b64 s[54:55], s[0:1], s[52:53]
	v_cvt_f32_u32_e32 v3, s54
	v_cvt_f32_u32_e32 v12, s55
	s_sub_u32 s53, 0, s54
	s_subb_u32 s56, 0, s55
	v_mac_f32_e32 v3, 0x4f800000, v12
	v_rcp_f32_e32 v3, v3
	v_mul_f32_e32 v3, 0x5f7ffffc, v3
	v_mul_f32_e32 v12, 0x2f800000, v3
	v_trunc_f32_e32 v12, v12
	v_mac_f32_e32 v3, 0xcf800000, v12
	v_cvt_u32_f32_e32 v12, v12
	v_cvt_u32_f32_e32 v3, v3
	v_readfirstlane_b32 s57, v12
	v_readfirstlane_b32 s0, v3
	s_mul_i32 s1, s53, s57
	s_mul_hi_u32 s59, s53, s0
	s_mul_i32 s58, s56, s0
	s_add_i32 s1, s59, s1
	s_add_i32 s1, s1, s58
	s_mul_i32 s60, s53, s0
	s_mul_i32 s59, s0, s1
	s_mul_hi_u32 s61, s0, s60
	s_mul_hi_u32 s58, s0, s1
	s_add_u32 s59, s61, s59
	s_addc_u32 s58, 0, s58
	s_mul_hi_u32 s66, s57, s60
	s_mul_i32 s60, s57, s60
	s_add_u32 s59, s59, s60
	s_mul_hi_u32 s61, s57, s1
	s_addc_u32 s58, s58, s66
	s_addc_u32 s59, s61, 0
	s_mul_i32 s1, s57, s1
	s_add_u32 s1, s58, s1
	s_addc_u32 s58, 0, s59
	s_add_u32 s59, s0, s1
	s_cselect_b64 s[0:1], -1, 0
	s_cmp_lg_u64 s[0:1], 0
	s_addc_u32 s57, s57, s58
	s_mul_i32 s0, s53, s57
	s_mul_hi_u32 s1, s53, s59
	s_add_i32 s0, s1, s0
	s_mul_i32 s56, s56, s59
	s_add_i32 s0, s0, s56
	s_mul_i32 s53, s53, s59
	s_mul_hi_u32 s56, s57, s53
	s_mul_i32 s58, s57, s53
	s_mul_i32 s61, s59, s0
	s_mul_hi_u32 s53, s59, s53
	s_mul_hi_u32 s60, s59, s0
	s_add_u32 s53, s53, s61
	s_addc_u32 s60, 0, s60
	s_add_u32 s53, s53, s58
	s_mul_hi_u32 s1, s57, s0
	s_addc_u32 s53, s60, s56
	s_addc_u32 s1, s1, 0
	s_mul_i32 s0, s57, s0
	s_add_u32 s0, s53, s0
	s_addc_u32 s53, 0, s1
	s_add_u32 s56, s59, s0
	s_cselect_b64 s[0:1], -1, 0
	v_ashrrev_i32_e32 v3, 31, v11
	s_cmp_lg_u64 s[0:1], 0
	v_add_co_u32_e32 v12, vcc, v10, v3
	s_addc_u32 s53, s57, s53
	v_xor_b32_e32 v18, v12, v3
	v_mad_u64_u32 v[12:13], s[0:1], v18, s53, 0
	v_mul_hi_u32 v15, v18, s56
	v_addc_co_u32_e32 v14, vcc, v11, v3, vcc
	v_xor_b32_e32 v19, v14, v3
	v_add_co_u32_e32 v20, vcc, v15, v12
	v_addc_co_u32_e32 v21, vcc, 0, v13, vcc
	v_mad_u64_u32 v[12:13], s[0:1], v19, s56, 0
	v_mad_u64_u32 v[14:15], s[0:1], v19, s53, 0
	v_add_co_u32_e32 v12, vcc, v20, v12
	v_addc_co_u32_e32 v12, vcc, v21, v13, vcc
	v_addc_co_u32_e32 v13, vcc, 0, v15, vcc
	v_add_co_u32_e32 v14, vcc, v12, v14
	v_addc_co_u32_e32 v15, vcc, 0, v13, vcc
	v_mul_lo_u32 v20, s55, v14
	v_mul_lo_u32 v21, s54, v15
	v_mad_u64_u32 v[12:13], s[0:1], s54, v14, 0
	v_xor_b32_e32 v3, s52, v3
	v_add3_u32 v13, v13, v21, v20
	v_sub_u32_e32 v20, v19, v13
	v_mov_b32_e32 v21, s55
	v_sub_co_u32_e32 v12, vcc, v18, v12
	v_subb_co_u32_e64 v18, s[0:1], v20, v21, vcc
	v_subrev_co_u32_e64 v20, s[0:1], s54, v12
	v_subbrev_co_u32_e64 v18, s[0:1], 0, v18, s[0:1]
	v_cmp_le_u32_e64 s[0:1], s55, v18
	v_cndmask_b32_e64 v21, 0, -1, s[0:1]
	v_cmp_le_u32_e64 s[0:1], s54, v20
	v_cndmask_b32_e64 v20, 0, -1, s[0:1]
	v_cmp_eq_u32_e64 s[0:1], s55, v18
	v_cndmask_b32_e64 v18, v21, v20, s[0:1]
	v_add_co_u32_e64 v20, s[0:1], 2, v14
	v_subb_co_u32_e32 v13, vcc, v19, v13, vcc
	v_addc_co_u32_e64 v21, s[0:1], 0, v15, s[0:1]
	v_cmp_le_u32_e32 vcc, s55, v13
	v_add_co_u32_e64 v22, s[0:1], 1, v14
	v_cndmask_b32_e64 v19, 0, -1, vcc
	v_cmp_le_u32_e32 vcc, s54, v12
	v_addc_co_u32_e64 v23, s[0:1], 0, v15, s[0:1]
	v_cndmask_b32_e64 v12, 0, -1, vcc
	v_cmp_eq_u32_e32 vcc, s55, v13
	v_cmp_ne_u32_e64 s[0:1], 0, v18
	v_cndmask_b32_e32 v12, v19, v12, vcc
	v_cndmask_b32_e64 v18, v23, v21, s[0:1]
	v_cmp_ne_u32_e32 vcc, 0, v12
	v_cndmask_b32_e64 v13, v22, v20, s[0:1]
	v_cndmask_b32_e32 v12, v15, v18, vcc
	v_cndmask_b32_e32 v13, v14, v13, vcc
	v_xor_b32_e32 v14, v12, v3
	v_xor_b32_e32 v12, v13, v3
	v_sub_co_u32_e32 v12, vcc, v12, v3
	v_subb_co_u32_e32 v13, vcc, v14, v3, vcc
.LBB87_23:                              ;   in Loop: Header=BB87_21 Depth=2
	s_andn2_saveexec_b64 s[0:1], s[50:51]
	s_cbranch_execz .LBB87_25
; %bb.24:                               ;   in Loop: Header=BB87_21 Depth=2
	v_cvt_f32_u32_e32 v3, s48
	s_sub_i32 s50, 0, s48
	v_rcp_iflag_f32_e32 v3, v3
	v_mul_f32_e32 v3, 0x4f7ffffe, v3
	v_cvt_u32_f32_e32 v3, v3
	v_mul_lo_u32 v12, s50, v3
	v_mul_hi_u32 v12, v3, v12
	v_add_u32_e32 v3, v3, v12
	v_mul_hi_u32 v3, v10, v3
	v_mul_lo_u32 v12, v3, s48
	v_add_u32_e32 v13, 1, v3
	v_sub_u32_e32 v12, v10, v12
	v_subrev_u32_e32 v14, s48, v12
	v_cmp_le_u32_e32 vcc, s48, v12
	v_cndmask_b32_e32 v12, v12, v14, vcc
	v_cndmask_b32_e32 v3, v3, v13, vcc
	v_add_u32_e32 v13, 1, v3
	v_cmp_le_u32_e32 vcc, s48, v12
	v_cndmask_b32_e32 v12, v3, v13, vcc
	v_mov_b32_e32 v13, v2
.LBB87_25:                              ;   in Loop: Header=BB87_21 Depth=2
	s_or_b64 exec, exec, s[0:1]
	s_load_dwordx2 s[50:51], s[44:45], 0x0
	s_load_dwordx2 s[54:55], s[44:45], 0xd0
	;; [unrolled: 1-line block ×3, first 2 shown]
                                        ; implicit-def: $vgpr14_vgpr15
	s_waitcnt lgkmcnt(0)
	v_or_b32_e32 v3, s51, v13
	v_cmp_ne_u64_e32 vcc, 0, v[2:3]
	s_and_saveexec_b64 s[0:1], vcc
	s_xor_b64 s[56:57], exec, s[0:1]
	s_cbranch_execz .LBB87_27
; %bb.26:                               ;   in Loop: Header=BB87_21 Depth=2
	s_ashr_i32 s58, s51, 31
	s_add_u32 s0, s50, s58
	s_mov_b32 s59, s58
	s_addc_u32 s1, s51, s58
	s_xor_b64 s[60:61], s[0:1], s[58:59]
	v_cvt_f32_u32_e32 v3, s60
	v_cvt_f32_u32_e32 v14, s61
	s_sub_u32 s59, 0, s60
	s_subb_u32 s66, 0, s61
	v_mac_f32_e32 v3, 0x4f800000, v14
	v_rcp_f32_e32 v3, v3
	v_mul_f32_e32 v3, 0x5f7ffffc, v3
	v_mul_f32_e32 v14, 0x2f800000, v3
	v_trunc_f32_e32 v14, v14
	v_mac_f32_e32 v3, 0xcf800000, v14
	v_cvt_u32_f32_e32 v14, v14
	v_cvt_u32_f32_e32 v3, v3
	v_readfirstlane_b32 s67, v14
	v_readfirstlane_b32 s0, v3
	s_mul_i32 s1, s59, s67
	s_mul_hi_u32 s69, s59, s0
	s_mul_i32 s68, s66, s0
	s_add_i32 s1, s69, s1
	s_add_i32 s1, s1, s68
	s_mul_i32 s70, s59, s0
	s_mul_i32 s69, s0, s1
	s_mul_hi_u32 s71, s0, s70
	s_mul_hi_u32 s68, s0, s1
	s_add_u32 s69, s71, s69
	s_addc_u32 s68, 0, s68
	s_mul_hi_u32 s72, s67, s70
	s_mul_i32 s70, s67, s70
	s_add_u32 s69, s69, s70
	s_mul_hi_u32 s71, s67, s1
	s_addc_u32 s68, s68, s72
	s_addc_u32 s69, s71, 0
	s_mul_i32 s1, s67, s1
	s_add_u32 s1, s68, s1
	s_addc_u32 s68, 0, s69
	s_add_u32 s69, s0, s1
	s_cselect_b64 s[0:1], -1, 0
	s_cmp_lg_u64 s[0:1], 0
	s_addc_u32 s67, s67, s68
	s_mul_i32 s0, s59, s67
	s_mul_hi_u32 s1, s59, s69
	s_add_i32 s0, s1, s0
	s_mul_i32 s66, s66, s69
	s_add_i32 s0, s0, s66
	s_mul_i32 s59, s59, s69
	s_mul_hi_u32 s66, s67, s59
	s_mul_i32 s68, s67, s59
	s_mul_i32 s71, s69, s0
	s_mul_hi_u32 s59, s69, s59
	s_mul_hi_u32 s70, s69, s0
	s_add_u32 s59, s59, s71
	s_addc_u32 s70, 0, s70
	s_add_u32 s59, s59, s68
	s_mul_hi_u32 s1, s67, s0
	s_addc_u32 s59, s70, s66
	s_addc_u32 s1, s1, 0
	s_mul_i32 s0, s67, s0
	s_add_u32 s0, s59, s0
	s_addc_u32 s59, 0, s1
	s_add_u32 s66, s69, s0
	s_cselect_b64 s[0:1], -1, 0
	v_ashrrev_i32_e32 v3, 31, v13
	s_cmp_lg_u64 s[0:1], 0
	v_add_co_u32_e32 v14, vcc, v12, v3
	s_addc_u32 s59, s67, s59
	v_xor_b32_e32 v20, v14, v3
	v_mad_u64_u32 v[14:15], s[0:1], v20, s59, 0
	v_mul_hi_u32 v19, v20, s66
	v_addc_co_u32_e32 v18, vcc, v13, v3, vcc
	v_xor_b32_e32 v21, v18, v3
	v_add_co_u32_e32 v22, vcc, v19, v14
	v_addc_co_u32_e32 v23, vcc, 0, v15, vcc
	v_mad_u64_u32 v[14:15], s[0:1], v21, s66, 0
	v_mad_u64_u32 v[18:19], s[0:1], v21, s59, 0
	v_add_co_u32_e32 v14, vcc, v22, v14
	v_addc_co_u32_e32 v14, vcc, v23, v15, vcc
	v_addc_co_u32_e32 v15, vcc, 0, v19, vcc
	v_add_co_u32_e32 v18, vcc, v14, v18
	v_addc_co_u32_e32 v19, vcc, 0, v15, vcc
	v_mul_lo_u32 v22, s61, v18
	v_mul_lo_u32 v23, s60, v19
	v_mad_u64_u32 v[14:15], s[0:1], s60, v18, 0
	v_xor_b32_e32 v3, s58, v3
	v_add3_u32 v15, v15, v23, v22
	v_sub_u32_e32 v22, v21, v15
	v_mov_b32_e32 v23, s61
	v_sub_co_u32_e32 v14, vcc, v20, v14
	v_subb_co_u32_e64 v20, s[0:1], v22, v23, vcc
	v_subrev_co_u32_e64 v22, s[0:1], s60, v14
	v_subbrev_co_u32_e64 v20, s[0:1], 0, v20, s[0:1]
	v_cmp_le_u32_e64 s[0:1], s61, v20
	v_cndmask_b32_e64 v23, 0, -1, s[0:1]
	v_cmp_le_u32_e64 s[0:1], s60, v22
	v_cndmask_b32_e64 v22, 0, -1, s[0:1]
	v_cmp_eq_u32_e64 s[0:1], s61, v20
	v_cndmask_b32_e64 v20, v23, v22, s[0:1]
	v_add_co_u32_e64 v22, s[0:1], 2, v18
	v_subb_co_u32_e32 v15, vcc, v21, v15, vcc
	v_addc_co_u32_e64 v23, s[0:1], 0, v19, s[0:1]
	v_cmp_le_u32_e32 vcc, s61, v15
	v_add_co_u32_e64 v24, s[0:1], 1, v18
	v_cndmask_b32_e64 v21, 0, -1, vcc
	v_cmp_le_u32_e32 vcc, s60, v14
	v_addc_co_u32_e64 v25, s[0:1], 0, v19, s[0:1]
	v_cndmask_b32_e64 v14, 0, -1, vcc
	v_cmp_eq_u32_e32 vcc, s61, v15
	v_cmp_ne_u32_e64 s[0:1], 0, v20
	v_cndmask_b32_e32 v14, v21, v14, vcc
	v_cndmask_b32_e64 v20, v25, v23, s[0:1]
	v_cmp_ne_u32_e32 vcc, 0, v14
	v_cndmask_b32_e64 v15, v24, v22, s[0:1]
	v_cndmask_b32_e32 v14, v19, v20, vcc
	v_cndmask_b32_e32 v15, v18, v15, vcc
	v_xor_b32_e32 v18, v14, v3
	v_xor_b32_e32 v14, v15, v3
	v_sub_co_u32_e32 v14, vcc, v14, v3
	v_subb_co_u32_e32 v15, vcc, v18, v3, vcc
.LBB87_27:                              ;   in Loop: Header=BB87_21 Depth=2
	s_andn2_saveexec_b64 s[0:1], s[56:57]
	s_cbranch_execz .LBB87_20
; %bb.28:                               ;   in Loop: Header=BB87_21 Depth=2
	v_cvt_f32_u32_e32 v3, s50
	s_sub_i32 s56, 0, s50
	v_rcp_iflag_f32_e32 v3, v3
	v_mul_f32_e32 v3, 0x4f7ffffe, v3
	v_cvt_u32_f32_e32 v3, v3
	v_mul_lo_u32 v14, s56, v3
	v_mul_hi_u32 v14, v3, v14
	v_add_u32_e32 v3, v3, v14
	v_mul_hi_u32 v3, v12, v3
	v_mul_lo_u32 v14, v3, s50
	v_add_u32_e32 v15, 1, v3
	v_sub_u32_e32 v14, v12, v14
	v_subrev_u32_e32 v18, s50, v14
	v_cmp_le_u32_e32 vcc, s50, v14
	v_cndmask_b32_e32 v14, v14, v18, vcc
	v_cndmask_b32_e32 v3, v3, v15, vcc
	v_add_u32_e32 v15, 1, v3
	v_cmp_le_u32_e32 vcc, s50, v14
	v_cndmask_b32_e32 v14, v3, v15, vcc
	v_mov_b32_e32 v15, v2
	s_branch .LBB87_20
.LBB87_29:                              ;   in Loop: Header=BB87_3 Depth=1
	v_sub_co_u32_e32 v10, vcc, v4, v16
	v_subb_co_u32_e32 v11, vcc, v5, v17, vcc
	v_add_co_u32_e32 v12, vcc, 2, v10
	v_addc_co_u32_e32 v13, vcc, 0, v11, vcc
	v_cmp_le_i64_e32 vcc, s[8:9], v[12:13]
	v_mov_b32_e32 v12, 0
	v_mov_b32_e32 v13, 0
	;; [unrolled: 1-line block ×4, first 2 shown]
	s_and_saveexec_b64 s[0:1], vcc
	s_cbranch_execz .LBB87_35
; %bb.30:                               ;   in Loop: Header=BB87_3 Depth=1
	v_cmp_gt_i64_e32 vcc, s[14:15], v[4:5]
	v_mov_b32_e32 v13, 0
	v_mov_b32_e32 v12, 0
	;; [unrolled: 1-line block ×4, first 2 shown]
	s_and_saveexec_b64 s[42:43], vcc
	s_cbranch_execz .LBB87_34
; %bb.31:                               ;   in Loop: Header=BB87_3 Depth=1
	v_lshlrev_b64 v[8:9], 3, v[8:9]
	v_mov_b32_e32 v3, s3
	v_add_co_u32_e32 v8, vcc, s2, v8
	v_addc_co_u32_e32 v9, vcc, v3, v9, vcc
	global_load_dwordx2 v[12:13], v[8:9], off
	v_add_co_u32_e32 v14, vcc, 1, v4
	v_addc_co_u32_e32 v15, vcc, 0, v5, vcc
	v_cmp_gt_i64_e32 vcc, s[14:15], v[14:15]
	v_mov_b32_e32 v16, 0
	v_mov_b32_e32 v17, 0
	s_and_saveexec_b64 s[44:45], vcc
	s_xor_b64 s[44:45], exec, s[44:45]
	s_cbranch_execz .LBB87_33
; %bb.32:                               ;   in Loop: Header=BB87_3 Depth=1
	s_lshl_b64 s[46:47], s[18:19], 3
	v_mov_b32_e32 v3, s47
	v_add_co_u32_e32 v8, vcc, s46, v8
	v_addc_co_u32_e32 v9, vcc, v9, v3, vcc
	global_load_dwordx2 v[16:17], v[8:9], off
.LBB87_33:                              ;   in Loop: Header=BB87_3 Depth=1
	s_or_b64 exec, exec, s[44:45]
.LBB87_34:                              ;   in Loop: Header=BB87_3 Depth=1
	s_or_b64 exec, exec, s[42:43]
	v_cmp_gt_i64_e32 vcc, s[8:9], v[10:11]
	s_waitcnt vmcnt(0)
	v_cndmask_b32_e64 v14, v12, 0, vcc
	v_cndmask_b32_e64 v15, v13, 0, vcc
	v_add_co_u32_e32 v8, vcc, 1, v10
	v_addc_co_u32_e32 v9, vcc, 0, v11, vcc
	v_cmp_gt_i64_e32 vcc, s[8:9], v[8:9]
	v_cndmask_b32_e64 v12, v16, 0, vcc
	v_cndmask_b32_e64 v13, v17, 0, vcc
.LBB87_35:                              ;   in Loop: Header=BB87_3 Depth=1
	s_or_b64 exec, exec, s[0:1]
	v_cmp_gt_i64_e32 vcc, s[14:15], v[4:5]
	s_and_saveexec_b64 s[0:1], vcc
	s_cbranch_execz .LBB87_2
; %bb.36:                               ;   in Loop: Header=BB87_3 Depth=1
	v_lshlrev_b64 v[6:7], 3, v[6:7]
	v_mov_b32_e32 v3, s29
	v_add_co_u32_e32 v6, vcc, s28, v6
	v_addc_co_u32_e32 v7, vcc, v3, v7, vcc
	v_add_co_u32_e32 v3, vcc, 1, v4
	v_addc_co_u32_e32 v4, vcc, 0, v5, vcc
	v_cmp_gt_i64_e32 vcc, s[14:15], v[3:4]
	global_store_dwordx2 v[6:7], v[14:15], off
	s_and_saveexec_b64 s[42:43], vcc
	s_xor_b64 s[42:43], exec, s[42:43]
	s_cbranch_execz .LBB87_2
; %bb.37:                               ;   in Loop: Header=BB87_3 Depth=1
	s_lshl_b64 s[42:43], s[22:23], 3
	v_mov_b32_e32 v4, s43
	v_add_co_u32_e32 v3, vcc, s42, v6
	v_addc_co_u32_e32 v4, vcc, v7, v4, vcc
	global_store_dwordx2 v[3:4], v[12:13], off
	s_branch .LBB87_2
.LBB87_38:
	s_endpgm
	.section	.rodata,"a",@progbits
	.p2align	6, 0x0
	.amdhsa_kernel _ZN2at6native16triu_tril_kernelIN3c107complexIfEElLb1ELi2ELb0EEEvNS_4cuda6detail10TensorInfoIT_T0_EENS7_IKS8_S9_EEllS9_
		.amdhsa_group_segment_fixed_size 0
		.amdhsa_private_segment_fixed_size 0
		.amdhsa_kernarg_size 1112
		.amdhsa_user_sgpr_count 6
		.amdhsa_user_sgpr_private_segment_buffer 1
		.amdhsa_user_sgpr_dispatch_ptr 0
		.amdhsa_user_sgpr_queue_ptr 0
		.amdhsa_user_sgpr_kernarg_segment_ptr 1
		.amdhsa_user_sgpr_dispatch_id 0
		.amdhsa_user_sgpr_flat_scratch_init 0
		.amdhsa_user_sgpr_private_segment_size 0
		.amdhsa_uses_dynamic_stack 0
		.amdhsa_system_sgpr_private_segment_wavefront_offset 0
		.amdhsa_system_sgpr_workgroup_id_x 1
		.amdhsa_system_sgpr_workgroup_id_y 0
		.amdhsa_system_sgpr_workgroup_id_z 0
		.amdhsa_system_sgpr_workgroup_info 0
		.amdhsa_system_vgpr_workitem_id 0
		.amdhsa_next_free_vgpr 26
		.amdhsa_next_free_sgpr 73
		.amdhsa_reserve_vcc 1
		.amdhsa_reserve_flat_scratch 0
		.amdhsa_float_round_mode_32 0
		.amdhsa_float_round_mode_16_64 0
		.amdhsa_float_denorm_mode_32 3
		.amdhsa_float_denorm_mode_16_64 3
		.amdhsa_dx10_clamp 1
		.amdhsa_ieee_mode 1
		.amdhsa_fp16_overflow 0
		.amdhsa_exception_fp_ieee_invalid_op 0
		.amdhsa_exception_fp_denorm_src 0
		.amdhsa_exception_fp_ieee_div_zero 0
		.amdhsa_exception_fp_ieee_overflow 0
		.amdhsa_exception_fp_ieee_underflow 0
		.amdhsa_exception_fp_ieee_inexact 0
		.amdhsa_exception_int_div_zero 0
	.end_amdhsa_kernel
	.section	.text._ZN2at6native16triu_tril_kernelIN3c107complexIfEElLb1ELi2ELb0EEEvNS_4cuda6detail10TensorInfoIT_T0_EENS7_IKS8_S9_EEllS9_,"axG",@progbits,_ZN2at6native16triu_tril_kernelIN3c107complexIfEElLb1ELi2ELb0EEEvNS_4cuda6detail10TensorInfoIT_T0_EENS7_IKS8_S9_EEllS9_,comdat
.Lfunc_end87:
	.size	_ZN2at6native16triu_tril_kernelIN3c107complexIfEElLb1ELi2ELb0EEEvNS_4cuda6detail10TensorInfoIT_T0_EENS7_IKS8_S9_EEllS9_, .Lfunc_end87-_ZN2at6native16triu_tril_kernelIN3c107complexIfEElLb1ELi2ELb0EEEvNS_4cuda6detail10TensorInfoIT_T0_EENS7_IKS8_S9_EEllS9_
                                        ; -- End function
	.set _ZN2at6native16triu_tril_kernelIN3c107complexIfEElLb1ELi2ELb0EEEvNS_4cuda6detail10TensorInfoIT_T0_EENS7_IKS8_S9_EEllS9_.num_vgpr, 26
	.set _ZN2at6native16triu_tril_kernelIN3c107complexIfEElLb1ELi2ELb0EEEvNS_4cuda6detail10TensorInfoIT_T0_EENS7_IKS8_S9_EEllS9_.num_agpr, 0
	.set _ZN2at6native16triu_tril_kernelIN3c107complexIfEElLb1ELi2ELb0EEEvNS_4cuda6detail10TensorInfoIT_T0_EENS7_IKS8_S9_EEllS9_.numbered_sgpr, 73
	.set _ZN2at6native16triu_tril_kernelIN3c107complexIfEElLb1ELi2ELb0EEEvNS_4cuda6detail10TensorInfoIT_T0_EENS7_IKS8_S9_EEllS9_.num_named_barrier, 0
	.set _ZN2at6native16triu_tril_kernelIN3c107complexIfEElLb1ELi2ELb0EEEvNS_4cuda6detail10TensorInfoIT_T0_EENS7_IKS8_S9_EEllS9_.private_seg_size, 0
	.set _ZN2at6native16triu_tril_kernelIN3c107complexIfEElLb1ELi2ELb0EEEvNS_4cuda6detail10TensorInfoIT_T0_EENS7_IKS8_S9_EEllS9_.uses_vcc, 1
	.set _ZN2at6native16triu_tril_kernelIN3c107complexIfEElLb1ELi2ELb0EEEvNS_4cuda6detail10TensorInfoIT_T0_EENS7_IKS8_S9_EEllS9_.uses_flat_scratch, 0
	.set _ZN2at6native16triu_tril_kernelIN3c107complexIfEElLb1ELi2ELb0EEEvNS_4cuda6detail10TensorInfoIT_T0_EENS7_IKS8_S9_EEllS9_.has_dyn_sized_stack, 0
	.set _ZN2at6native16triu_tril_kernelIN3c107complexIfEElLb1ELi2ELb0EEEvNS_4cuda6detail10TensorInfoIT_T0_EENS7_IKS8_S9_EEllS9_.has_recursion, 0
	.set _ZN2at6native16triu_tril_kernelIN3c107complexIfEElLb1ELi2ELb0EEEvNS_4cuda6detail10TensorInfoIT_T0_EENS7_IKS8_S9_EEllS9_.has_indirect_call, 0
	.section	.AMDGPU.csdata,"",@progbits
; Kernel info:
; codeLenInByte = 5048
; TotalNumSgprs: 77
; NumVgprs: 26
; ScratchSize: 0
; MemoryBound: 0
; FloatMode: 240
; IeeeMode: 1
; LDSByteSize: 0 bytes/workgroup (compile time only)
; SGPRBlocks: 9
; VGPRBlocks: 6
; NumSGPRsForWavesPerEU: 77
; NumVGPRsForWavesPerEU: 26
; Occupancy: 9
; WaveLimiterHint : 0
; COMPUTE_PGM_RSRC2:SCRATCH_EN: 0
; COMPUTE_PGM_RSRC2:USER_SGPR: 6
; COMPUTE_PGM_RSRC2:TRAP_HANDLER: 0
; COMPUTE_PGM_RSRC2:TGID_X_EN: 1
; COMPUTE_PGM_RSRC2:TGID_Y_EN: 0
; COMPUTE_PGM_RSRC2:TGID_Z_EN: 0
; COMPUTE_PGM_RSRC2:TIDIG_COMP_CNT: 0
	.section	.text._ZN2at6native16triu_tril_kernelIN3c107complexINS2_4HalfEEEiLb1ELi2ELb1EEEvNS_4cuda6detail10TensorInfoIT_T0_EENS8_IKS9_SA_EEllSA_,"axG",@progbits,_ZN2at6native16triu_tril_kernelIN3c107complexINS2_4HalfEEEiLb1ELi2ELb1EEEvNS_4cuda6detail10TensorInfoIT_T0_EENS8_IKS9_SA_EEllSA_,comdat
	.protected	_ZN2at6native16triu_tril_kernelIN3c107complexINS2_4HalfEEEiLb1ELi2ELb1EEEvNS_4cuda6detail10TensorInfoIT_T0_EENS8_IKS9_SA_EEllSA_ ; -- Begin function _ZN2at6native16triu_tril_kernelIN3c107complexINS2_4HalfEEEiLb1ELi2ELb1EEEvNS_4cuda6detail10TensorInfoIT_T0_EENS8_IKS9_SA_EEllSA_
	.globl	_ZN2at6native16triu_tril_kernelIN3c107complexINS2_4HalfEEEiLb1ELi2ELb1EEEvNS_4cuda6detail10TensorInfoIT_T0_EENS8_IKS9_SA_EEllSA_
	.p2align	8
	.type	_ZN2at6native16triu_tril_kernelIN3c107complexINS2_4HalfEEEiLb1ELi2ELb1EEEvNS_4cuda6detail10TensorInfoIT_T0_EENS8_IKS9_SA_EEllSA_,@function
_ZN2at6native16triu_tril_kernelIN3c107complexINS2_4HalfEEEiLb1ELi2ELb1EEEvNS_4cuda6detail10TensorInfoIT_T0_EENS8_IKS9_SA_EEllSA_: ; @_ZN2at6native16triu_tril_kernelIN3c107complexINS2_4HalfEEEiLb1ELi2ELb1EEEvNS_4cuda6detail10TensorInfoIT_T0_EENS8_IKS9_SA_EEllSA_
; %bb.0:
	s_load_dword s2, s[4:5], 0x1d4
	s_load_dwordx4 s[8:11], s[4:5], 0x1b0
	s_add_u32 s0, s4, 0x1c8
	v_mov_b32_e32 v2, 0
	s_addc_u32 s1, s5, 0
	s_waitcnt lgkmcnt(0)
	s_and_b32 s7, s2, 0xffff
	v_mov_b32_e32 v1, v2
	v_mov_b32_e32 v3, s6
	v_mad_u64_u32 v[0:1], s[2:3], s7, v3, v[0:1]
	v_lshlrev_b64 v[0:1], 1, v[0:1]
	v_cmp_gt_i64_e32 vcc, s[10:11], v[0:1]
	s_and_saveexec_b64 s[2:3], vcc
	s_cbranch_execz .LBB88_61
; %bb.1:
	s_load_dword s33, s[4:5], 0x1c0
	s_load_dword s16, s[4:5], 0x1a8
	s_add_u32 s42, s4, 0xd8
	s_addc_u32 s43, s5, 0
	s_load_dword s6, s[0:1], 0x0
	s_waitcnt lgkmcnt(0)
	s_ashr_i32 s44, s33, 31
	s_ashr_i32 s17, s16, 31
	s_lshl_b64 s[0:1], s[16:17], 2
	s_add_u32 s2, s42, s0
	s_addc_u32 s3, s43, s1
	s_load_dword s45, s[2:3], 0x0
	s_load_dwordx2 s[12:13], s[4:5], 0x0
	s_mul_i32 s18, s6, s7
	v_cmp_gt_i64_e64 s[6:7], s[16:17], 2
	s_mov_b32 s17, 0
	s_waitcnt lgkmcnt(0)
	s_ashr_i32 s46, s45, 31
	s_add_u32 s14, s4, s0
	s_addc_u32 s15, s5, s1
	s_add_i32 s0, s16, 6
	s_add_i32 s47, s16, -3
	s_lshl_b32 s48, s18, 1
	s_and_b32 s49, s0, 7
	s_and_b32 s0, s16, 7
	s_cmp_lg_u32 s0, 2
	s_cselect_b64 s[18:19], -1, 0
	s_cmp_gt_u32 s47, 6
	s_cselect_b64 s[20:21], -1, 0
	s_mov_b64 s[22:23], 0
	s_ashr_i32 s24, s44, 31
	s_branch .LBB88_3
.LBB88_2:                               ;   in Loop: Header=BB88_3 Depth=1
	s_or_b64 exec, exec, s[26:27]
	v_add_co_u32_e32 v0, vcc, s48, v0
	v_addc_co_u32_e32 v1, vcc, 0, v1, vcc
	v_cmp_le_i64_e32 vcc, s[10:11], v[0:1]
	s_or_b64 s[22:23], vcc, s[22:23]
	s_andn2_b64 exec, exec, s[22:23]
	s_cbranch_execz .LBB88_61
.LBB88_3:                               ; =>This Loop Header: Depth=1
                                        ;     Child Loop BB88_14 Depth 2
                                        ;     Child Loop BB88_23 Depth 2
	v_or_b32_e32 v3, s44, v1
	v_cmp_ne_u64_e32 vcc, 0, v[2:3]
                                        ; implicit-def: $vgpr4_vgpr5
	s_and_saveexec_b64 s[0:1], vcc
	s_xor_b64 s[26:27], exec, s[0:1]
	s_cbranch_execz .LBB88_5
; %bb.4:                                ;   in Loop: Header=BB88_3 Depth=1
	s_add_u32 s0, s33, s24
	s_mov_b32 s25, s24
	s_addc_u32 s1, s44, s24
	s_xor_b64 s[28:29], s[0:1], s[24:25]
	v_cvt_f32_u32_e32 v3, s28
	v_cvt_f32_u32_e32 v4, s29
	s_sub_u32 s16, 0, s28
	s_subb_u32 s25, 0, s29
	v_ashrrev_i32_e32 v7, 31, v1
	v_mac_f32_e32 v3, 0x4f800000, v4
	v_rcp_f32_e32 v3, v3
	v_mul_f32_e32 v3, 0x5f7ffffc, v3
	v_mul_f32_e32 v4, 0x2f800000, v3
	v_trunc_f32_e32 v4, v4
	v_mac_f32_e32 v3, 0xcf800000, v4
	v_cvt_u32_f32_e32 v4, v4
	v_cvt_u32_f32_e32 v3, v3
	v_readfirstlane_b32 s30, v4
	v_readfirstlane_b32 s0, v3
	s_mul_i32 s1, s16, s30
	s_mul_hi_u32 s34, s16, s0
	s_mul_i32 s31, s25, s0
	s_add_i32 s1, s34, s1
	s_add_i32 s1, s1, s31
	s_mul_i32 s35, s16, s0
	s_mul_i32 s34, s0, s1
	s_mul_hi_u32 s36, s0, s35
	s_mul_hi_u32 s31, s0, s1
	s_add_u32 s34, s36, s34
	s_addc_u32 s31, 0, s31
	s_mul_hi_u32 s37, s30, s35
	s_mul_i32 s35, s30, s35
	s_add_u32 s34, s34, s35
	s_mul_hi_u32 s36, s30, s1
	s_addc_u32 s31, s31, s37
	s_addc_u32 s34, s36, 0
	s_mul_i32 s1, s30, s1
	s_add_u32 s1, s31, s1
	s_addc_u32 s31, 0, s34
	s_add_u32 s34, s0, s1
	s_cselect_b64 s[0:1], -1, 0
	s_cmp_lg_u64 s[0:1], 0
	s_addc_u32 s30, s30, s31
	s_mul_i32 s0, s16, s30
	s_mul_hi_u32 s1, s16, s34
	s_add_i32 s0, s1, s0
	s_mul_i32 s25, s25, s34
	s_add_i32 s0, s0, s25
	s_mul_i32 s16, s16, s34
	s_mul_hi_u32 s25, s30, s16
	s_mul_i32 s31, s30, s16
	s_mul_i32 s36, s34, s0
	s_mul_hi_u32 s16, s34, s16
	s_mul_hi_u32 s35, s34, s0
	s_add_u32 s16, s16, s36
	s_addc_u32 s35, 0, s35
	s_add_u32 s16, s16, s31
	s_mul_hi_u32 s1, s30, s0
	s_addc_u32 s16, s35, s25
	s_addc_u32 s1, s1, 0
	s_mul_i32 s0, s30, s0
	s_add_u32 s0, s16, s0
	s_addc_u32 s16, 0, s1
	s_add_u32 s25, s34, s0
	s_cselect_b64 s[0:1], -1, 0
	s_cmp_lg_u64 s[0:1], 0
	v_add_co_u32_e32 v3, vcc, v0, v7
	s_addc_u32 s16, s30, s16
	v_xor_b32_e32 v8, v3, v7
	v_mad_u64_u32 v[3:4], s[0:1], v8, s16, 0
	v_mul_hi_u32 v6, v8, s25
	v_addc_co_u32_e32 v5, vcc, v1, v7, vcc
	v_xor_b32_e32 v9, v5, v7
	v_add_co_u32_e32 v10, vcc, v6, v3
	v_addc_co_u32_e32 v11, vcc, 0, v4, vcc
	v_mad_u64_u32 v[3:4], s[0:1], v9, s25, 0
	v_mad_u64_u32 v[5:6], s[0:1], v9, s16, 0
	v_add_co_u32_e32 v3, vcc, v10, v3
	v_addc_co_u32_e32 v3, vcc, v11, v4, vcc
	v_addc_co_u32_e32 v4, vcc, 0, v6, vcc
	v_add_co_u32_e32 v5, vcc, v3, v5
	v_addc_co_u32_e32 v6, vcc, 0, v4, vcc
	v_mul_lo_u32 v10, s29, v5
	v_mul_lo_u32 v11, s28, v6
	v_mad_u64_u32 v[3:4], s[0:1], s28, v5, 0
	v_add3_u32 v4, v4, v11, v10
	v_sub_u32_e32 v10, v9, v4
	v_mov_b32_e32 v11, s29
	v_sub_co_u32_e32 v3, vcc, v8, v3
	v_subb_co_u32_e64 v8, s[0:1], v10, v11, vcc
	v_subrev_co_u32_e64 v10, s[0:1], s28, v3
	v_subbrev_co_u32_e64 v8, s[0:1], 0, v8, s[0:1]
	v_cmp_le_u32_e64 s[0:1], s29, v8
	v_cndmask_b32_e64 v11, 0, -1, s[0:1]
	v_cmp_le_u32_e64 s[0:1], s28, v10
	v_cndmask_b32_e64 v10, 0, -1, s[0:1]
	v_cmp_eq_u32_e64 s[0:1], s29, v8
	v_cndmask_b32_e64 v8, v11, v10, s[0:1]
	v_add_co_u32_e64 v10, s[0:1], 2, v5
	v_subb_co_u32_e32 v4, vcc, v9, v4, vcc
	v_addc_co_u32_e64 v11, s[0:1], 0, v6, s[0:1]
	v_cmp_le_u32_e32 vcc, s29, v4
	v_add_co_u32_e64 v12, s[0:1], 1, v5
	v_cndmask_b32_e64 v9, 0, -1, vcc
	v_cmp_le_u32_e32 vcc, s28, v3
	v_addc_co_u32_e64 v13, s[0:1], 0, v6, s[0:1]
	v_cndmask_b32_e64 v3, 0, -1, vcc
	v_cmp_eq_u32_e32 vcc, s29, v4
	v_cmp_ne_u32_e64 s[0:1], 0, v8
	v_cndmask_b32_e32 v3, v9, v3, vcc
	v_cmp_ne_u32_e32 vcc, 0, v3
	v_cndmask_b32_e64 v4, v12, v10, s[0:1]
	v_cndmask_b32_e64 v8, v13, v11, s[0:1]
	v_cndmask_b32_e32 v4, v5, v4, vcc
	v_xor_b32_e32 v5, s24, v7
	v_cndmask_b32_e32 v3, v6, v8, vcc
	v_xor_b32_e32 v4, v4, v5
	v_xor_b32_e32 v3, v3, v5
	v_sub_co_u32_e32 v4, vcc, v4, v5
	v_subb_co_u32_e32 v5, vcc, v3, v5, vcc
.LBB88_5:                               ;   in Loop: Header=BB88_3 Depth=1
	s_andn2_saveexec_b64 s[0:1], s[26:27]
	s_cbranch_execz .LBB88_7
; %bb.6:                                ;   in Loop: Header=BB88_3 Depth=1
	v_cvt_f32_u32_e32 v3, s33
	s_sub_i32 s16, 0, s33
	v_rcp_iflag_f32_e32 v3, v3
	v_mul_f32_e32 v3, 0x4f7ffffe, v3
	v_cvt_u32_f32_e32 v3, v3
	v_mul_lo_u32 v4, s16, v3
	v_mul_hi_u32 v4, v3, v4
	v_add_u32_e32 v3, v3, v4
	v_mul_hi_u32 v3, v0, v3
	v_mul_lo_u32 v4, v3, s33
	v_add_u32_e32 v5, 1, v3
	v_sub_u32_e32 v4, v0, v4
	v_subrev_u32_e32 v6, s33, v4
	v_cmp_le_u32_e32 vcc, s33, v4
	v_cndmask_b32_e32 v4, v4, v6, vcc
	v_cndmask_b32_e32 v3, v3, v5, vcc
	v_add_u32_e32 v5, 1, v3
	v_cmp_le_u32_e32 vcc, s33, v4
	v_cndmask_b32_e32 v4, v3, v5, vcc
	v_mov_b32_e32 v5, v2
.LBB88_7:                               ;   in Loop: Header=BB88_3 Depth=1
	s_or_b64 exec, exec, s[0:1]
	v_or_b32_e32 v3, s46, v5
	v_cmp_ne_u64_e32 vcc, 0, v[2:3]
                                        ; implicit-def: $vgpr6_vgpr7
	s_and_saveexec_b64 s[0:1], vcc
	s_xor_b64 s[26:27], exec, s[0:1]
	s_cbranch_execz .LBB88_9
; %bb.8:                                ;   in Loop: Header=BB88_3 Depth=1
	s_ashr_i32 s28, s46, 31
	s_add_u32 s0, s45, s28
	s_mov_b32 s29, s28
	s_addc_u32 s1, s46, s28
	s_xor_b64 s[30:31], s[0:1], s[28:29]
	v_cvt_f32_u32_e32 v3, s30
	v_cvt_f32_u32_e32 v6, s31
	s_sub_u32 s16, 0, s30
	s_subb_u32 s25, 0, s31
	v_mac_f32_e32 v3, 0x4f800000, v6
	v_rcp_f32_e32 v3, v3
	v_mul_f32_e32 v3, 0x5f7ffffc, v3
	v_mul_f32_e32 v6, 0x2f800000, v3
	v_trunc_f32_e32 v6, v6
	v_mac_f32_e32 v3, 0xcf800000, v6
	v_cvt_u32_f32_e32 v6, v6
	v_cvt_u32_f32_e32 v3, v3
	v_readfirstlane_b32 s29, v6
	v_readfirstlane_b32 s0, v3
	s_mul_i32 s1, s16, s29
	s_mul_hi_u32 s35, s16, s0
	s_mul_i32 s34, s25, s0
	s_add_i32 s1, s35, s1
	s_add_i32 s1, s1, s34
	s_mul_i32 s36, s16, s0
	s_mul_i32 s35, s0, s1
	s_mul_hi_u32 s37, s0, s36
	s_mul_hi_u32 s34, s0, s1
	s_add_u32 s35, s37, s35
	s_addc_u32 s34, 0, s34
	s_mul_hi_u32 s38, s29, s36
	s_mul_i32 s36, s29, s36
	s_add_u32 s35, s35, s36
	s_mul_hi_u32 s37, s29, s1
	s_addc_u32 s34, s34, s38
	s_addc_u32 s35, s37, 0
	s_mul_i32 s1, s29, s1
	s_add_u32 s1, s34, s1
	s_addc_u32 s34, 0, s35
	s_add_u32 s35, s0, s1
	s_cselect_b64 s[0:1], -1, 0
	s_cmp_lg_u64 s[0:1], 0
	s_addc_u32 s29, s29, s34
	s_mul_i32 s0, s16, s29
	s_mul_hi_u32 s1, s16, s35
	s_add_i32 s0, s1, s0
	s_mul_i32 s25, s25, s35
	s_add_i32 s0, s0, s25
	s_mul_i32 s16, s16, s35
	s_mul_hi_u32 s25, s29, s16
	s_mul_i32 s34, s29, s16
	s_mul_i32 s37, s35, s0
	s_mul_hi_u32 s16, s35, s16
	s_mul_hi_u32 s36, s35, s0
	s_add_u32 s16, s16, s37
	s_addc_u32 s36, 0, s36
	s_add_u32 s16, s16, s34
	s_mul_hi_u32 s1, s29, s0
	s_addc_u32 s16, s36, s25
	s_addc_u32 s1, s1, 0
	s_mul_i32 s0, s29, s0
	s_add_u32 s0, s16, s0
	s_addc_u32 s16, 0, s1
	s_add_u32 s25, s35, s0
	s_cselect_b64 s[0:1], -1, 0
	v_ashrrev_i32_e32 v3, 31, v5
	s_cmp_lg_u64 s[0:1], 0
	v_add_co_u32_e32 v6, vcc, v4, v3
	s_addc_u32 s16, s29, s16
	v_xor_b32_e32 v9, v6, v3
	v_addc_co_u32_e32 v7, vcc, v5, v3, vcc
	v_mad_u64_u32 v[5:6], s[0:1], v9, s16, 0
	v_mul_hi_u32 v8, v9, s25
	v_xor_b32_e32 v10, v7, v3
	v_xor_b32_e32 v3, s28, v3
	v_add_co_u32_e32 v11, vcc, v8, v5
	v_addc_co_u32_e32 v12, vcc, 0, v6, vcc
	v_mad_u64_u32 v[5:6], s[0:1], v10, s25, 0
	v_mad_u64_u32 v[7:8], s[0:1], v10, s16, 0
	v_add_co_u32_e32 v5, vcc, v11, v5
	v_addc_co_u32_e32 v5, vcc, v12, v6, vcc
	v_addc_co_u32_e32 v6, vcc, 0, v8, vcc
	v_add_co_u32_e32 v7, vcc, v5, v7
	v_addc_co_u32_e32 v8, vcc, 0, v6, vcc
	v_mul_lo_u32 v11, s31, v7
	v_mul_lo_u32 v12, s30, v8
	v_mad_u64_u32 v[5:6], s[0:1], s30, v7, 0
	v_add3_u32 v6, v6, v12, v11
	v_sub_u32_e32 v11, v10, v6
	v_mov_b32_e32 v12, s31
	v_sub_co_u32_e32 v5, vcc, v9, v5
	v_subb_co_u32_e64 v9, s[0:1], v11, v12, vcc
	v_subrev_co_u32_e64 v11, s[0:1], s30, v5
	v_subbrev_co_u32_e64 v9, s[0:1], 0, v9, s[0:1]
	v_cmp_le_u32_e64 s[0:1], s31, v9
	v_cndmask_b32_e64 v12, 0, -1, s[0:1]
	v_cmp_le_u32_e64 s[0:1], s30, v11
	v_cndmask_b32_e64 v11, 0, -1, s[0:1]
	v_cmp_eq_u32_e64 s[0:1], s31, v9
	v_cndmask_b32_e64 v9, v12, v11, s[0:1]
	v_add_co_u32_e64 v11, s[0:1], 2, v7
	v_subb_co_u32_e32 v6, vcc, v10, v6, vcc
	v_addc_co_u32_e64 v12, s[0:1], 0, v8, s[0:1]
	v_cmp_le_u32_e32 vcc, s31, v6
	v_add_co_u32_e64 v13, s[0:1], 1, v7
	v_cndmask_b32_e64 v10, 0, -1, vcc
	v_cmp_le_u32_e32 vcc, s30, v5
	v_addc_co_u32_e64 v14, s[0:1], 0, v8, s[0:1]
	v_cndmask_b32_e64 v5, 0, -1, vcc
	v_cmp_eq_u32_e32 vcc, s31, v6
	v_cmp_ne_u32_e64 s[0:1], 0, v9
	v_cndmask_b32_e32 v5, v10, v5, vcc
	v_cmp_ne_u32_e32 vcc, 0, v5
	v_cndmask_b32_e64 v6, v13, v11, s[0:1]
	v_cndmask_b32_e64 v9, v14, v12, s[0:1]
	v_cndmask_b32_e32 v6, v7, v6, vcc
	v_cndmask_b32_e32 v5, v8, v9, vcc
	v_xor_b32_e32 v6, v6, v3
	v_xor_b32_e32 v5, v5, v3
	v_sub_co_u32_e32 v6, vcc, v6, v3
	v_subb_co_u32_e32 v7, vcc, v5, v3, vcc
.LBB88_9:                               ;   in Loop: Header=BB88_3 Depth=1
	s_andn2_saveexec_b64 s[0:1], s[26:27]
	s_cbranch_execz .LBB88_11
; %bb.10:                               ;   in Loop: Header=BB88_3 Depth=1
	v_cvt_f32_u32_e32 v3, s45
	s_sub_i32 s16, 0, s45
	v_rcp_iflag_f32_e32 v3, v3
	v_mul_f32_e32 v3, 0x4f7ffffe, v3
	v_cvt_u32_f32_e32 v3, v3
	v_mul_lo_u32 v5, s16, v3
	v_mul_hi_u32 v5, v3, v5
	v_add_u32_e32 v3, v3, v5
	v_mul_hi_u32 v3, v4, v3
	v_mul_lo_u32 v5, v3, s45
	v_add_u32_e32 v6, 1, v3
	v_sub_u32_e32 v5, v4, v5
	v_subrev_u32_e32 v7, s45, v5
	v_cmp_le_u32_e32 vcc, s45, v5
	v_cndmask_b32_e32 v5, v5, v7, vcc
	v_cndmask_b32_e32 v3, v3, v6, vcc
	v_add_u32_e32 v6, 1, v3
	v_cmp_le_u32_e32 vcc, s45, v5
	v_cndmask_b32_e32 v6, v3, v6, vcc
	v_mov_b32_e32 v7, v2
.LBB88_11:                              ;   in Loop: Header=BB88_3 Depth=1
	s_or_b64 exec, exec, s[0:1]
	v_mad_u64_u32 v[8:9], s[0:1], v4, s33, 0
	v_mad_u64_u32 v[9:10], s[0:1], v6, s45, 0
	v_sub_co_u32_e32 v25, vcc, v0, v8
	v_sub_co_u32_e32 v24, vcc, v4, v9
	v_sub_u32_e32 v3, v25, v24
	v_ashrrev_i32_e32 v4, 31, v3
	v_cmp_gt_i64_e32 vcc, s[8:9], v[3:4]
	s_and_saveexec_b64 s[26:27], vcc
	s_cbranch_execz .LBB88_2
; %bb.12:                               ;   in Loop: Header=BB88_3 Depth=1
	s_load_dwordx2 s[28:29], s[14:15], 0x64
	s_andn2_b64 vcc, exec, s[6:7]
	s_waitcnt lgkmcnt(0)
	v_mul_lo_u32 v3, s29, v25
	v_mad_u64_u32 v[4:5], s[0:1], s28, v24, v[3:4]
	s_cbranch_vccnz .LBB88_57
; %bb.13:                               ;   in Loop: Header=BB88_3 Depth=1
	s_andn2_b64 vcc, exec, s[18:19]
	s_mov_b32 s25, s49
	s_mov_b32 s16, s47
	;; [unrolled: 1-line block ×3, first 2 shown]
	s_cbranch_vccnz .LBB88_21
.LBB88_14:                              ;   Parent Loop BB88_3 Depth=1
                                        ; =>  This Inner Loop Header: Depth=2
	s_lshl_b64 s[30:31], s[16:17], 2
	s_add_u32 s0, s42, s30
	s_addc_u32 s1, s43, s31
	s_load_dword s28, s[0:1], 0x8
                                        ; implicit-def: $vgpr8_vgpr9
	s_waitcnt lgkmcnt(0)
	s_ashr_i32 s0, s28, 31
	v_or_b32_e32 v3, s0, v7
	v_cmp_ne_u64_e32 vcc, 0, v[2:3]
	s_and_saveexec_b64 s[34:35], vcc
	s_xor_b64 s[34:35], exec, s[34:35]
	s_cbranch_execz .LBB88_16
; %bb.15:                               ;   in Loop: Header=BB88_14 Depth=2
	s_ashr_i32 s36, s0, 31
	s_add_u32 s38, s28, s36
	s_mov_b32 s37, s36
	s_addc_u32 s39, s0, s36
	s_xor_b64 s[38:39], s[38:39], s[36:37]
	v_cvt_f32_u32_e32 v3, s38
	v_cvt_f32_u32_e32 v5, s39
	s_sub_u32 s37, 0, s38
	s_subb_u32 s40, 0, s39
	v_mac_f32_e32 v3, 0x4f800000, v5
	v_rcp_f32_e32 v3, v3
	v_mul_f32_e32 v3, 0x5f7ffffc, v3
	v_mul_f32_e32 v5, 0x2f800000, v3
	v_trunc_f32_e32 v5, v5
	v_mac_f32_e32 v3, 0xcf800000, v5
	v_cvt_u32_f32_e32 v5, v5
	v_cvt_u32_f32_e32 v3, v3
	v_readfirstlane_b32 s41, v5
	v_readfirstlane_b32 s0, v3
	s_mul_i32 s1, s37, s41
	s_mul_hi_u32 s51, s37, s0
	s_mul_i32 s50, s40, s0
	s_add_i32 s1, s51, s1
	s_add_i32 s1, s1, s50
	s_mul_i32 s52, s37, s0
	s_mul_i32 s51, s0, s1
	s_mul_hi_u32 s53, s0, s52
	s_mul_hi_u32 s50, s0, s1
	s_add_u32 s51, s53, s51
	s_addc_u32 s50, 0, s50
	s_mul_hi_u32 s54, s41, s52
	s_mul_i32 s52, s41, s52
	s_add_u32 s51, s51, s52
	s_mul_hi_u32 s53, s41, s1
	s_addc_u32 s50, s50, s54
	s_addc_u32 s51, s53, 0
	s_mul_i32 s1, s41, s1
	s_add_u32 s1, s50, s1
	s_addc_u32 s50, 0, s51
	s_add_u32 s51, s0, s1
	s_cselect_b64 s[0:1], -1, 0
	s_cmp_lg_u64 s[0:1], 0
	s_addc_u32 s41, s41, s50
	s_mul_i32 s0, s37, s41
	s_mul_hi_u32 s1, s37, s51
	s_add_i32 s0, s1, s0
	s_mul_i32 s40, s40, s51
	s_add_i32 s0, s0, s40
	s_mul_i32 s37, s37, s51
	s_mul_hi_u32 s40, s41, s37
	s_mul_i32 s50, s41, s37
	s_mul_i32 s53, s51, s0
	s_mul_hi_u32 s37, s51, s37
	s_mul_hi_u32 s52, s51, s0
	s_add_u32 s37, s37, s53
	s_addc_u32 s52, 0, s52
	s_add_u32 s37, s37, s50
	s_mul_hi_u32 s1, s41, s0
	s_addc_u32 s37, s52, s40
	s_addc_u32 s1, s1, 0
	s_mul_i32 s0, s41, s0
	s_add_u32 s0, s37, s0
	s_addc_u32 s37, 0, s1
	s_add_u32 s40, s51, s0
	s_cselect_b64 s[0:1], -1, 0
	v_ashrrev_i32_e32 v3, 31, v7
	s_cmp_lg_u64 s[0:1], 0
	v_add_co_u32_e32 v5, vcc, v6, v3
	s_addc_u32 s37, s41, s37
	v_xor_b32_e32 v5, v5, v3
	v_addc_co_u32_e32 v9, vcc, v7, v3, vcc
	v_mad_u64_u32 v[7:8], s[0:1], v5, s37, 0
	v_mul_hi_u32 v10, v5, s40
	v_xor_b32_e32 v11, v9, v3
	v_xor_b32_e32 v3, s36, v3
	v_add_co_u32_e32 v12, vcc, v10, v7
	v_addc_co_u32_e32 v13, vcc, 0, v8, vcc
	v_mad_u64_u32 v[7:8], s[0:1], v11, s40, 0
	v_mad_u64_u32 v[9:10], s[0:1], v11, s37, 0
	v_add_co_u32_e32 v7, vcc, v12, v7
	v_addc_co_u32_e32 v7, vcc, v13, v8, vcc
	v_addc_co_u32_e32 v8, vcc, 0, v10, vcc
	v_add_co_u32_e32 v9, vcc, v7, v9
	v_addc_co_u32_e32 v10, vcc, 0, v8, vcc
	v_mul_lo_u32 v12, s39, v9
	v_mul_lo_u32 v13, s38, v10
	v_mad_u64_u32 v[7:8], s[0:1], s38, v9, 0
	v_add3_u32 v8, v8, v13, v12
	v_sub_u32_e32 v12, v11, v8
	v_mov_b32_e32 v13, s39
	v_sub_co_u32_e32 v5, vcc, v5, v7
	v_subb_co_u32_e64 v7, s[0:1], v12, v13, vcc
	v_subrev_co_u32_e64 v12, s[0:1], s38, v5
	v_subbrev_co_u32_e64 v7, s[0:1], 0, v7, s[0:1]
	v_cmp_le_u32_e64 s[0:1], s39, v7
	v_cndmask_b32_e64 v13, 0, -1, s[0:1]
	v_cmp_le_u32_e64 s[0:1], s38, v12
	v_cndmask_b32_e64 v12, 0, -1, s[0:1]
	v_cmp_eq_u32_e64 s[0:1], s39, v7
	v_cndmask_b32_e64 v7, v13, v12, s[0:1]
	v_add_co_u32_e64 v12, s[0:1], 2, v9
	v_subb_co_u32_e32 v8, vcc, v11, v8, vcc
	v_addc_co_u32_e64 v13, s[0:1], 0, v10, s[0:1]
	v_cmp_le_u32_e32 vcc, s39, v8
	v_add_co_u32_e64 v14, s[0:1], 1, v9
	v_cndmask_b32_e64 v11, 0, -1, vcc
	v_cmp_le_u32_e32 vcc, s38, v5
	v_addc_co_u32_e64 v15, s[0:1], 0, v10, s[0:1]
	v_cndmask_b32_e64 v5, 0, -1, vcc
	v_cmp_eq_u32_e32 vcc, s39, v8
	v_cmp_ne_u32_e64 s[0:1], 0, v7
	v_cndmask_b32_e32 v5, v11, v5, vcc
	v_cndmask_b32_e64 v7, v15, v13, s[0:1]
	v_cmp_ne_u32_e32 vcc, 0, v5
	v_cndmask_b32_e32 v5, v10, v7, vcc
	v_cndmask_b32_e64 v7, v14, v12, s[0:1]
	v_cndmask_b32_e32 v7, v9, v7, vcc
	v_xor_b32_e32 v7, v7, v3
	v_xor_b32_e32 v5, v5, v3
	v_sub_co_u32_e32 v8, vcc, v7, v3
	v_subb_co_u32_e32 v9, vcc, v5, v3, vcc
.LBB88_16:                              ;   in Loop: Header=BB88_14 Depth=2
	s_andn2_saveexec_b64 s[0:1], s[34:35]
	s_cbranch_execz .LBB88_18
; %bb.17:                               ;   in Loop: Header=BB88_14 Depth=2
	v_cvt_f32_u32_e32 v3, s28
	s_sub_i32 s34, 0, s28
	v_mov_b32_e32 v9, v2
	v_rcp_iflag_f32_e32 v3, v3
	v_mul_f32_e32 v3, 0x4f7ffffe, v3
	v_cvt_u32_f32_e32 v3, v3
	v_mul_lo_u32 v5, s34, v3
	v_mul_hi_u32 v5, v3, v5
	v_add_u32_e32 v3, v3, v5
	v_mul_hi_u32 v3, v6, v3
	v_mul_lo_u32 v5, v3, s28
	v_add_u32_e32 v7, 1, v3
	v_sub_u32_e32 v5, v6, v5
	v_subrev_u32_e32 v8, s28, v5
	v_cmp_le_u32_e32 vcc, s28, v5
	v_cndmask_b32_e32 v5, v5, v8, vcc
	v_cndmask_b32_e32 v3, v3, v7, vcc
	v_add_u32_e32 v7, 1, v3
	v_cmp_le_u32_e32 vcc, s28, v5
	v_cndmask_b32_e32 v8, v3, v7, vcc
.LBB88_18:                              ;   in Loop: Header=BB88_14 Depth=2
	s_or_b64 exec, exec, s[0:1]
	s_add_u32 s0, s4, s30
	s_addc_u32 s1, s5, s31
	v_mul_lo_u32 v3, v8, s28
	s_load_dword s0, s[0:1], 0x6c
	s_add_i32 s16, s16, -1
	s_add_i32 s25, s25, -1
	v_sub_u32_e32 v3, v6, v3
	s_cmp_lg_u32 s25, 0
	s_waitcnt lgkmcnt(0)
	v_mad_u64_u32 v[4:5], s[0:1], s0, v3, v[4:5]
	s_cbranch_scc0 .LBB88_20
; %bb.19:                               ;   in Loop: Header=BB88_14 Depth=2
	v_mov_b32_e32 v6, v8
	v_mov_b32_e32 v7, v9
	s_branch .LBB88_14
.LBB88_20:                              ;   in Loop: Header=BB88_3 Depth=1
	v_mov_b32_e32 v6, v8
	s_mov_b32 s0, s16
	v_mov_b32_e32 v7, v9
.LBB88_21:                              ;   in Loop: Header=BB88_3 Depth=1
	s_andn2_b64 vcc, exec, s[20:21]
	s_cbranch_vccnz .LBB88_57
; %bb.22:                               ;   in Loop: Header=BB88_3 Depth=1
	s_add_i32 s30, s0, -7
.LBB88_23:                              ;   Parent Loop BB88_3 Depth=1
                                        ; =>  This Inner Loop Header: Depth=2
	s_add_i32 s16, s30, 7
	s_lshl_b64 s[34:35], s[16:17], 2
	s_add_u32 s0, s42, s34
	s_addc_u32 s1, s43, s35
	s_load_dword s25, s[0:1], 0x8
                                        ; implicit-def: $vgpr8_vgpr9
	s_waitcnt lgkmcnt(0)
	s_ashr_i32 s0, s25, 31
	v_or_b32_e32 v3, s0, v7
	v_cmp_ne_u64_e32 vcc, 0, v[2:3]
	s_and_saveexec_b64 s[36:37], vcc
	s_xor_b64 s[36:37], exec, s[36:37]
	s_cbranch_execz .LBB88_25
; %bb.24:                               ;   in Loop: Header=BB88_23 Depth=2
	s_ashr_i32 s38, s0, 31
	s_add_u32 s40, s25, s38
	s_mov_b32 s39, s38
	s_addc_u32 s41, s0, s38
	s_xor_b64 s[40:41], s[40:41], s[38:39]
	v_cvt_f32_u32_e32 v3, s40
	v_cvt_f32_u32_e32 v5, s41
	s_sub_u32 s16, 0, s40
	s_subb_u32 s28, 0, s41
	v_mac_f32_e32 v3, 0x4f800000, v5
	v_rcp_f32_e32 v3, v3
	v_mul_f32_e32 v3, 0x5f7ffffc, v3
	v_mul_f32_e32 v5, 0x2f800000, v3
	v_trunc_f32_e32 v5, v5
	v_mac_f32_e32 v3, 0xcf800000, v5
	v_cvt_u32_f32_e32 v5, v5
	v_cvt_u32_f32_e32 v3, v3
	v_readfirstlane_b32 s31, v5
	v_readfirstlane_b32 s0, v3
	s_mul_i32 s1, s16, s31
	s_mul_hi_u32 s50, s16, s0
	s_mul_i32 s39, s28, s0
	s_add_i32 s1, s50, s1
	s_add_i32 s1, s1, s39
	s_mul_i32 s51, s16, s0
	s_mul_i32 s50, s0, s1
	s_mul_hi_u32 s52, s0, s51
	s_mul_hi_u32 s39, s0, s1
	s_add_u32 s50, s52, s50
	s_addc_u32 s39, 0, s39
	s_mul_hi_u32 s53, s31, s51
	s_mul_i32 s51, s31, s51
	s_add_u32 s50, s50, s51
	s_mul_hi_u32 s52, s31, s1
	s_addc_u32 s39, s39, s53
	s_addc_u32 s50, s52, 0
	s_mul_i32 s1, s31, s1
	s_add_u32 s1, s39, s1
	s_addc_u32 s39, 0, s50
	s_add_u32 s50, s0, s1
	s_cselect_b64 s[0:1], -1, 0
	s_cmp_lg_u64 s[0:1], 0
	s_addc_u32 s31, s31, s39
	s_mul_i32 s0, s16, s31
	s_mul_hi_u32 s1, s16, s50
	s_add_i32 s0, s1, s0
	s_mul_i32 s28, s28, s50
	s_add_i32 s0, s0, s28
	s_mul_i32 s16, s16, s50
	s_mul_hi_u32 s28, s31, s16
	s_mul_i32 s39, s31, s16
	s_mul_i32 s52, s50, s0
	s_mul_hi_u32 s16, s50, s16
	s_mul_hi_u32 s51, s50, s0
	s_add_u32 s16, s16, s52
	s_addc_u32 s51, 0, s51
	s_add_u32 s16, s16, s39
	s_mul_hi_u32 s1, s31, s0
	s_addc_u32 s16, s51, s28
	s_addc_u32 s1, s1, 0
	s_mul_i32 s0, s31, s0
	s_add_u32 s0, s16, s0
	s_addc_u32 s16, 0, s1
	s_add_u32 s28, s50, s0
	s_cselect_b64 s[0:1], -1, 0
	v_ashrrev_i32_e32 v3, 31, v7
	s_cmp_lg_u64 s[0:1], 0
	v_add_co_u32_e32 v5, vcc, v6, v3
	s_addc_u32 s16, s31, s16
	v_xor_b32_e32 v5, v5, v3
	v_addc_co_u32_e32 v9, vcc, v7, v3, vcc
	v_mad_u64_u32 v[7:8], s[0:1], v5, s16, 0
	v_mul_hi_u32 v10, v5, s28
	v_xor_b32_e32 v11, v9, v3
	v_xor_b32_e32 v3, s38, v3
	v_add_co_u32_e32 v12, vcc, v10, v7
	v_addc_co_u32_e32 v13, vcc, 0, v8, vcc
	v_mad_u64_u32 v[7:8], s[0:1], v11, s28, 0
	v_mad_u64_u32 v[9:10], s[0:1], v11, s16, 0
	v_add_co_u32_e32 v7, vcc, v12, v7
	v_addc_co_u32_e32 v7, vcc, v13, v8, vcc
	v_addc_co_u32_e32 v8, vcc, 0, v10, vcc
	v_add_co_u32_e32 v9, vcc, v7, v9
	v_addc_co_u32_e32 v10, vcc, 0, v8, vcc
	v_mul_lo_u32 v12, s41, v9
	v_mul_lo_u32 v13, s40, v10
	v_mad_u64_u32 v[7:8], s[0:1], s40, v9, 0
	v_add3_u32 v8, v8, v13, v12
	v_sub_u32_e32 v12, v11, v8
	v_mov_b32_e32 v13, s41
	v_sub_co_u32_e32 v5, vcc, v5, v7
	v_subb_co_u32_e64 v7, s[0:1], v12, v13, vcc
	v_subrev_co_u32_e64 v12, s[0:1], s40, v5
	v_subbrev_co_u32_e64 v7, s[0:1], 0, v7, s[0:1]
	v_cmp_le_u32_e64 s[0:1], s41, v7
	v_cndmask_b32_e64 v13, 0, -1, s[0:1]
	v_cmp_le_u32_e64 s[0:1], s40, v12
	v_cndmask_b32_e64 v12, 0, -1, s[0:1]
	v_cmp_eq_u32_e64 s[0:1], s41, v7
	v_cndmask_b32_e64 v7, v13, v12, s[0:1]
	v_add_co_u32_e64 v12, s[0:1], 2, v9
	v_subb_co_u32_e32 v8, vcc, v11, v8, vcc
	v_addc_co_u32_e64 v13, s[0:1], 0, v10, s[0:1]
	v_cmp_le_u32_e32 vcc, s41, v8
	v_add_co_u32_e64 v14, s[0:1], 1, v9
	v_cndmask_b32_e64 v11, 0, -1, vcc
	v_cmp_le_u32_e32 vcc, s40, v5
	v_addc_co_u32_e64 v15, s[0:1], 0, v10, s[0:1]
	v_cndmask_b32_e64 v5, 0, -1, vcc
	v_cmp_eq_u32_e32 vcc, s41, v8
	v_cmp_ne_u32_e64 s[0:1], 0, v7
	v_cndmask_b32_e32 v5, v11, v5, vcc
	v_cndmask_b32_e64 v7, v15, v13, s[0:1]
	v_cmp_ne_u32_e32 vcc, 0, v5
	v_cndmask_b32_e32 v5, v10, v7, vcc
	v_cndmask_b32_e64 v7, v14, v12, s[0:1]
	v_cndmask_b32_e32 v7, v9, v7, vcc
	v_xor_b32_e32 v7, v7, v3
	v_xor_b32_e32 v5, v5, v3
	v_sub_co_u32_e32 v8, vcc, v7, v3
	v_subb_co_u32_e32 v9, vcc, v5, v3, vcc
.LBB88_25:                              ;   in Loop: Header=BB88_23 Depth=2
	s_andn2_saveexec_b64 s[0:1], s[36:37]
	s_cbranch_execz .LBB88_27
; %bb.26:                               ;   in Loop: Header=BB88_23 Depth=2
	v_cvt_f32_u32_e32 v3, s25
	s_sub_i32 s16, 0, s25
	v_mov_b32_e32 v9, v2
	v_rcp_iflag_f32_e32 v3, v3
	v_mul_f32_e32 v3, 0x4f7ffffe, v3
	v_cvt_u32_f32_e32 v3, v3
	v_mul_lo_u32 v5, s16, v3
	v_mul_hi_u32 v5, v3, v5
	v_add_u32_e32 v3, v3, v5
	v_mul_hi_u32 v3, v6, v3
	v_mul_lo_u32 v5, v3, s25
	v_add_u32_e32 v7, 1, v3
	v_sub_u32_e32 v5, v6, v5
	v_subrev_u32_e32 v8, s25, v5
	v_cmp_le_u32_e32 vcc, s25, v5
	v_cndmask_b32_e32 v5, v5, v8, vcc
	v_cndmask_b32_e32 v3, v3, v7, vcc
	v_add_u32_e32 v7, 1, v3
	v_cmp_le_u32_e32 vcc, s25, v5
	v_cndmask_b32_e32 v8, v3, v7, vcc
.LBB88_27:                              ;   in Loop: Header=BB88_23 Depth=2
	s_or_b64 exec, exec, s[0:1]
	s_add_u32 s0, s4, s34
	s_addc_u32 s1, s5, s35
	s_add_i32 s16, s30, 6
	s_lshl_b64 s[34:35], s[16:17], 2
	s_add_u32 s36, s42, s34
	s_addc_u32 s37, s43, s35
	s_load_dword s50, s[36:37], 0x8
	s_load_dword s28, s[0:1], 0x6c
                                        ; implicit-def: $vgpr10_vgpr11
	s_waitcnt lgkmcnt(0)
	s_ashr_i32 s0, s50, 31
	v_or_b32_e32 v3, s0, v9
	v_cmp_ne_u64_e32 vcc, 0, v[2:3]
	s_and_saveexec_b64 s[36:37], vcc
	s_xor_b64 s[36:37], exec, s[36:37]
	s_cbranch_execz .LBB88_29
; %bb.28:                               ;   in Loop: Header=BB88_23 Depth=2
	s_ashr_i32 s38, s0, 31
	s_add_u32 s40, s50, s38
	s_mov_b32 s39, s38
	s_addc_u32 s41, s0, s38
	s_xor_b64 s[40:41], s[40:41], s[38:39]
	v_cvt_f32_u32_e32 v3, s40
	v_cvt_f32_u32_e32 v5, s41
	s_sub_u32 s16, 0, s40
	s_subb_u32 s31, 0, s41
	v_mac_f32_e32 v3, 0x4f800000, v5
	v_rcp_f32_e32 v3, v3
	v_mul_f32_e32 v3, 0x5f7ffffc, v3
	v_mul_f32_e32 v5, 0x2f800000, v3
	v_trunc_f32_e32 v5, v5
	v_mac_f32_e32 v3, 0xcf800000, v5
	v_cvt_u32_f32_e32 v5, v5
	v_cvt_u32_f32_e32 v3, v3
	v_readfirstlane_b32 s39, v5
	v_readfirstlane_b32 s0, v3
	s_mul_i32 s1, s16, s39
	s_mul_hi_u32 s52, s16, s0
	s_mul_i32 s51, s31, s0
	s_add_i32 s1, s52, s1
	s_add_i32 s1, s1, s51
	s_mul_i32 s53, s16, s0
	s_mul_i32 s52, s0, s1
	s_mul_hi_u32 s54, s0, s53
	s_mul_hi_u32 s51, s0, s1
	s_add_u32 s52, s54, s52
	s_addc_u32 s51, 0, s51
	s_mul_hi_u32 s55, s39, s53
	s_mul_i32 s53, s39, s53
	s_add_u32 s52, s52, s53
	s_mul_hi_u32 s54, s39, s1
	s_addc_u32 s51, s51, s55
	s_addc_u32 s52, s54, 0
	s_mul_i32 s1, s39, s1
	s_add_u32 s1, s51, s1
	s_addc_u32 s51, 0, s52
	s_add_u32 s52, s0, s1
	s_cselect_b64 s[0:1], -1, 0
	s_cmp_lg_u64 s[0:1], 0
	s_addc_u32 s39, s39, s51
	s_mul_i32 s0, s16, s39
	s_mul_hi_u32 s1, s16, s52
	s_add_i32 s0, s1, s0
	s_mul_i32 s31, s31, s52
	s_add_i32 s0, s0, s31
	s_mul_i32 s16, s16, s52
	s_mul_hi_u32 s31, s39, s16
	s_mul_i32 s51, s39, s16
	s_mul_i32 s54, s52, s0
	s_mul_hi_u32 s16, s52, s16
	s_mul_hi_u32 s53, s52, s0
	s_add_u32 s16, s16, s54
	s_addc_u32 s53, 0, s53
	s_add_u32 s16, s16, s51
	s_mul_hi_u32 s1, s39, s0
	s_addc_u32 s16, s53, s31
	s_addc_u32 s1, s1, 0
	s_mul_i32 s0, s39, s0
	s_add_u32 s0, s16, s0
	s_addc_u32 s16, 0, s1
	s_add_u32 s31, s52, s0
	s_cselect_b64 s[0:1], -1, 0
	v_ashrrev_i32_e32 v3, 31, v9
	s_cmp_lg_u64 s[0:1], 0
	v_add_co_u32_e32 v5, vcc, v8, v3
	s_addc_u32 s16, s39, s16
	v_xor_b32_e32 v5, v5, v3
	v_addc_co_u32_e32 v7, vcc, v9, v3, vcc
	v_mad_u64_u32 v[9:10], s[0:1], v5, s16, 0
	v_mul_hi_u32 v11, v5, s31
	v_xor_b32_e32 v7, v7, v3
	v_xor_b32_e32 v3, s38, v3
	v_add_co_u32_e32 v13, vcc, v11, v9
	v_addc_co_u32_e32 v14, vcc, 0, v10, vcc
	v_mad_u64_u32 v[9:10], s[0:1], v7, s31, 0
	v_mad_u64_u32 v[11:12], s[0:1], v7, s16, 0
	v_add_co_u32_e32 v9, vcc, v13, v9
	v_addc_co_u32_e32 v9, vcc, v14, v10, vcc
	v_addc_co_u32_e32 v10, vcc, 0, v12, vcc
	v_add_co_u32_e32 v11, vcc, v9, v11
	v_addc_co_u32_e32 v12, vcc, 0, v10, vcc
	v_mul_lo_u32 v13, s41, v11
	v_mul_lo_u32 v14, s40, v12
	v_mad_u64_u32 v[9:10], s[0:1], s40, v11, 0
	v_add3_u32 v10, v10, v14, v13
	v_sub_u32_e32 v13, v7, v10
	v_mov_b32_e32 v14, s41
	v_sub_co_u32_e32 v5, vcc, v5, v9
	v_subb_co_u32_e64 v9, s[0:1], v13, v14, vcc
	v_subrev_co_u32_e64 v13, s[0:1], s40, v5
	v_subbrev_co_u32_e64 v9, s[0:1], 0, v9, s[0:1]
	v_cmp_le_u32_e64 s[0:1], s41, v9
	v_cndmask_b32_e64 v14, 0, -1, s[0:1]
	v_cmp_le_u32_e64 s[0:1], s40, v13
	v_cndmask_b32_e64 v13, 0, -1, s[0:1]
	v_cmp_eq_u32_e64 s[0:1], s41, v9
	v_cndmask_b32_e64 v9, v14, v13, s[0:1]
	v_add_co_u32_e64 v13, s[0:1], 2, v11
	v_subb_co_u32_e32 v7, vcc, v7, v10, vcc
	v_addc_co_u32_e64 v14, s[0:1], 0, v12, s[0:1]
	v_cmp_le_u32_e32 vcc, s41, v7
	v_add_co_u32_e64 v15, s[0:1], 1, v11
	v_cndmask_b32_e64 v10, 0, -1, vcc
	v_cmp_le_u32_e32 vcc, s40, v5
	v_addc_co_u32_e64 v16, s[0:1], 0, v12, s[0:1]
	v_cndmask_b32_e64 v5, 0, -1, vcc
	v_cmp_eq_u32_e32 vcc, s41, v7
	v_cmp_ne_u32_e64 s[0:1], 0, v9
	v_cndmask_b32_e32 v5, v10, v5, vcc
	v_cmp_ne_u32_e32 vcc, 0, v5
	v_cndmask_b32_e64 v7, v15, v13, s[0:1]
	v_cndmask_b32_e64 v9, v16, v14, s[0:1]
	v_cndmask_b32_e32 v7, v11, v7, vcc
	v_cndmask_b32_e32 v5, v12, v9, vcc
	v_xor_b32_e32 v7, v7, v3
	v_xor_b32_e32 v5, v5, v3
	v_sub_co_u32_e32 v10, vcc, v7, v3
	v_subb_co_u32_e32 v11, vcc, v5, v3, vcc
.LBB88_29:                              ;   in Loop: Header=BB88_23 Depth=2
	s_andn2_saveexec_b64 s[0:1], s[36:37]
	s_cbranch_execz .LBB88_31
; %bb.30:                               ;   in Loop: Header=BB88_23 Depth=2
	v_cvt_f32_u32_e32 v3, s50
	s_sub_i32 s16, 0, s50
	v_mov_b32_e32 v11, v2
	v_rcp_iflag_f32_e32 v3, v3
	v_mul_f32_e32 v3, 0x4f7ffffe, v3
	v_cvt_u32_f32_e32 v3, v3
	v_mul_lo_u32 v5, s16, v3
	v_mul_hi_u32 v5, v3, v5
	v_add_u32_e32 v3, v3, v5
	v_mul_hi_u32 v3, v8, v3
	v_mul_lo_u32 v5, v3, s50
	v_add_u32_e32 v7, 1, v3
	v_sub_u32_e32 v5, v8, v5
	v_subrev_u32_e32 v9, s50, v5
	v_cmp_le_u32_e32 vcc, s50, v5
	v_cndmask_b32_e32 v5, v5, v9, vcc
	v_cndmask_b32_e32 v3, v3, v7, vcc
	v_add_u32_e32 v7, 1, v3
	v_cmp_le_u32_e32 vcc, s50, v5
	v_cndmask_b32_e32 v10, v3, v7, vcc
.LBB88_31:                              ;   in Loop: Header=BB88_23 Depth=2
	s_or_b64 exec, exec, s[0:1]
	s_add_u32 s0, s4, s34
	s_addc_u32 s1, s5, s35
	s_add_i32 s16, s30, 5
	s_lshl_b64 s[34:35], s[16:17], 2
	s_add_u32 s36, s42, s34
	s_addc_u32 s37, s43, s35
	s_load_dword s52, s[36:37], 0x8
	s_load_dword s51, s[0:1], 0x6c
                                        ; implicit-def: $vgpr12_vgpr13
	s_waitcnt lgkmcnt(0)
	s_ashr_i32 s0, s52, 31
	v_or_b32_e32 v3, s0, v11
	v_cmp_ne_u64_e32 vcc, 0, v[2:3]
	s_and_saveexec_b64 s[36:37], vcc
	s_xor_b64 s[36:37], exec, s[36:37]
	s_cbranch_execz .LBB88_33
; %bb.32:                               ;   in Loop: Header=BB88_23 Depth=2
	s_ashr_i32 s38, s0, 31
	s_add_u32 s40, s52, s38
	s_mov_b32 s39, s38
	s_addc_u32 s41, s0, s38
	s_xor_b64 s[40:41], s[40:41], s[38:39]
	v_cvt_f32_u32_e32 v3, s40
	v_cvt_f32_u32_e32 v5, s41
	s_sub_u32 s16, 0, s40
	s_subb_u32 s31, 0, s41
	v_mac_f32_e32 v3, 0x4f800000, v5
	v_rcp_f32_e32 v3, v3
	v_mul_f32_e32 v3, 0x5f7ffffc, v3
	v_mul_f32_e32 v5, 0x2f800000, v3
	v_trunc_f32_e32 v5, v5
	v_mac_f32_e32 v3, 0xcf800000, v5
	v_cvt_u32_f32_e32 v5, v5
	v_cvt_u32_f32_e32 v3, v3
	v_readfirstlane_b32 s39, v5
	v_readfirstlane_b32 s0, v3
	s_mul_i32 s1, s16, s39
	s_mul_hi_u32 s54, s16, s0
	s_mul_i32 s53, s31, s0
	s_add_i32 s1, s54, s1
	s_add_i32 s1, s1, s53
	s_mul_i32 s55, s16, s0
	s_mul_i32 s54, s0, s1
	s_mul_hi_u32 s56, s0, s55
	s_mul_hi_u32 s53, s0, s1
	s_add_u32 s54, s56, s54
	s_addc_u32 s53, 0, s53
	s_mul_hi_u32 s57, s39, s55
	s_mul_i32 s55, s39, s55
	s_add_u32 s54, s54, s55
	s_mul_hi_u32 s56, s39, s1
	s_addc_u32 s53, s53, s57
	s_addc_u32 s54, s56, 0
	s_mul_i32 s1, s39, s1
	s_add_u32 s1, s53, s1
	s_addc_u32 s53, 0, s54
	s_add_u32 s54, s0, s1
	s_cselect_b64 s[0:1], -1, 0
	s_cmp_lg_u64 s[0:1], 0
	s_addc_u32 s39, s39, s53
	s_mul_i32 s0, s16, s39
	s_mul_hi_u32 s1, s16, s54
	s_add_i32 s0, s1, s0
	s_mul_i32 s31, s31, s54
	s_add_i32 s0, s0, s31
	s_mul_i32 s16, s16, s54
	s_mul_hi_u32 s31, s39, s16
	s_mul_i32 s53, s39, s16
	s_mul_i32 s56, s54, s0
	s_mul_hi_u32 s16, s54, s16
	s_mul_hi_u32 s55, s54, s0
	s_add_u32 s16, s16, s56
	s_addc_u32 s55, 0, s55
	s_add_u32 s16, s16, s53
	s_mul_hi_u32 s1, s39, s0
	s_addc_u32 s16, s55, s31
	s_addc_u32 s1, s1, 0
	s_mul_i32 s0, s39, s0
	s_add_u32 s0, s16, s0
	s_addc_u32 s16, 0, s1
	s_add_u32 s31, s54, s0
	s_cselect_b64 s[0:1], -1, 0
	v_ashrrev_i32_e32 v3, 31, v11
	s_cmp_lg_u64 s[0:1], 0
	v_add_co_u32_e32 v5, vcc, v10, v3
	s_addc_u32 s16, s39, s16
	v_xor_b32_e32 v5, v5, v3
	v_addc_co_u32_e32 v7, vcc, v11, v3, vcc
	v_mad_u64_u32 v[11:12], s[0:1], v5, s16, 0
	v_mul_hi_u32 v9, v5, s31
	v_xor_b32_e32 v7, v7, v3
	v_mad_u64_u32 v[13:14], s[0:1], v7, s16, 0
	v_add_co_u32_e32 v9, vcc, v9, v11
	v_addc_co_u32_e32 v15, vcc, 0, v12, vcc
	v_mad_u64_u32 v[11:12], s[0:1], v7, s31, 0
	v_xor_b32_e32 v3, s38, v3
	v_add_co_u32_e32 v9, vcc, v9, v11
	v_addc_co_u32_e32 v9, vcc, v15, v12, vcc
	v_addc_co_u32_e32 v11, vcc, 0, v14, vcc
	v_add_co_u32_e32 v9, vcc, v9, v13
	v_addc_co_u32_e32 v13, vcc, 0, v11, vcc
	v_mul_lo_u32 v14, s41, v9
	v_mul_lo_u32 v15, s40, v13
	v_mad_u64_u32 v[11:12], s[0:1], s40, v9, 0
	v_add3_u32 v12, v12, v15, v14
	v_sub_u32_e32 v14, v7, v12
	v_mov_b32_e32 v15, s41
	v_sub_co_u32_e32 v5, vcc, v5, v11
	v_subb_co_u32_e64 v11, s[0:1], v14, v15, vcc
	v_subrev_co_u32_e64 v14, s[0:1], s40, v5
	v_subbrev_co_u32_e64 v11, s[0:1], 0, v11, s[0:1]
	v_cmp_le_u32_e64 s[0:1], s41, v11
	v_cndmask_b32_e64 v15, 0, -1, s[0:1]
	v_cmp_le_u32_e64 s[0:1], s40, v14
	v_cndmask_b32_e64 v14, 0, -1, s[0:1]
	v_cmp_eq_u32_e64 s[0:1], s41, v11
	v_cndmask_b32_e64 v11, v15, v14, s[0:1]
	v_add_co_u32_e64 v14, s[0:1], 2, v9
	v_subb_co_u32_e32 v7, vcc, v7, v12, vcc
	v_addc_co_u32_e64 v15, s[0:1], 0, v13, s[0:1]
	v_cmp_le_u32_e32 vcc, s41, v7
	v_add_co_u32_e64 v16, s[0:1], 1, v9
	v_cndmask_b32_e64 v12, 0, -1, vcc
	v_cmp_le_u32_e32 vcc, s40, v5
	v_addc_co_u32_e64 v17, s[0:1], 0, v13, s[0:1]
	v_cndmask_b32_e64 v5, 0, -1, vcc
	v_cmp_eq_u32_e32 vcc, s41, v7
	v_cmp_ne_u32_e64 s[0:1], 0, v11
	v_cndmask_b32_e32 v5, v12, v5, vcc
	v_cmp_ne_u32_e32 vcc, 0, v5
	v_cndmask_b32_e64 v7, v16, v14, s[0:1]
	v_cndmask_b32_e64 v11, v17, v15, s[0:1]
	v_cndmask_b32_e32 v7, v9, v7, vcc
	v_cndmask_b32_e32 v5, v13, v11, vcc
	v_xor_b32_e32 v7, v7, v3
	v_xor_b32_e32 v5, v5, v3
	v_sub_co_u32_e32 v12, vcc, v7, v3
	v_subb_co_u32_e32 v13, vcc, v5, v3, vcc
.LBB88_33:                              ;   in Loop: Header=BB88_23 Depth=2
	s_andn2_saveexec_b64 s[0:1], s[36:37]
	s_cbranch_execz .LBB88_35
; %bb.34:                               ;   in Loop: Header=BB88_23 Depth=2
	v_cvt_f32_u32_e32 v3, s52
	s_sub_i32 s16, 0, s52
	v_mov_b32_e32 v13, v2
	v_rcp_iflag_f32_e32 v3, v3
	v_mul_f32_e32 v3, 0x4f7ffffe, v3
	v_cvt_u32_f32_e32 v3, v3
	v_mul_lo_u32 v5, s16, v3
	v_mul_hi_u32 v5, v3, v5
	v_add_u32_e32 v3, v3, v5
	v_mul_hi_u32 v3, v10, v3
	v_mul_lo_u32 v5, v3, s52
	v_add_u32_e32 v7, 1, v3
	v_sub_u32_e32 v5, v10, v5
	v_subrev_u32_e32 v9, s52, v5
	v_cmp_le_u32_e32 vcc, s52, v5
	v_cndmask_b32_e32 v5, v5, v9, vcc
	v_cndmask_b32_e32 v3, v3, v7, vcc
	v_add_u32_e32 v7, 1, v3
	v_cmp_le_u32_e32 vcc, s52, v5
	v_cndmask_b32_e32 v12, v3, v7, vcc
.LBB88_35:                              ;   in Loop: Header=BB88_23 Depth=2
	s_or_b64 exec, exec, s[0:1]
	s_add_u32 s0, s4, s34
	s_addc_u32 s1, s5, s35
	s_add_i32 s16, s30, 4
	s_lshl_b64 s[34:35], s[16:17], 2
	s_add_u32 s36, s42, s34
	s_addc_u32 s37, s43, s35
	s_load_dword s54, s[36:37], 0x8
	s_load_dword s53, s[0:1], 0x6c
                                        ; implicit-def: $vgpr14_vgpr15
	s_waitcnt lgkmcnt(0)
	s_ashr_i32 s0, s54, 31
	v_or_b32_e32 v3, s0, v13
	v_cmp_ne_u64_e32 vcc, 0, v[2:3]
	s_and_saveexec_b64 s[36:37], vcc
	s_xor_b64 s[36:37], exec, s[36:37]
	s_cbranch_execz .LBB88_37
; %bb.36:                               ;   in Loop: Header=BB88_23 Depth=2
	s_ashr_i32 s38, s0, 31
	s_add_u32 s40, s54, s38
	s_mov_b32 s39, s38
	s_addc_u32 s41, s0, s38
	s_xor_b64 s[40:41], s[40:41], s[38:39]
	v_cvt_f32_u32_e32 v3, s40
	v_cvt_f32_u32_e32 v5, s41
	s_sub_u32 s16, 0, s40
	s_subb_u32 s31, 0, s41
	v_mac_f32_e32 v3, 0x4f800000, v5
	v_rcp_f32_e32 v3, v3
	v_mul_f32_e32 v3, 0x5f7ffffc, v3
	v_mul_f32_e32 v5, 0x2f800000, v3
	v_trunc_f32_e32 v5, v5
	v_mac_f32_e32 v3, 0xcf800000, v5
	v_cvt_u32_f32_e32 v5, v5
	v_cvt_u32_f32_e32 v3, v3
	v_readfirstlane_b32 s39, v5
	v_readfirstlane_b32 s0, v3
	s_mul_i32 s1, s16, s39
	s_mul_hi_u32 s56, s16, s0
	s_mul_i32 s55, s31, s0
	s_add_i32 s1, s56, s1
	s_add_i32 s1, s1, s55
	s_mul_i32 s57, s16, s0
	s_mul_i32 s56, s0, s1
	s_mul_hi_u32 s58, s0, s57
	s_mul_hi_u32 s55, s0, s1
	s_add_u32 s56, s58, s56
	s_addc_u32 s55, 0, s55
	s_mul_hi_u32 s59, s39, s57
	s_mul_i32 s57, s39, s57
	s_add_u32 s56, s56, s57
	s_mul_hi_u32 s58, s39, s1
	s_addc_u32 s55, s55, s59
	s_addc_u32 s56, s58, 0
	s_mul_i32 s1, s39, s1
	s_add_u32 s1, s55, s1
	s_addc_u32 s55, 0, s56
	s_add_u32 s56, s0, s1
	s_cselect_b64 s[0:1], -1, 0
	s_cmp_lg_u64 s[0:1], 0
	s_addc_u32 s39, s39, s55
	s_mul_i32 s0, s16, s39
	s_mul_hi_u32 s1, s16, s56
	s_add_i32 s0, s1, s0
	s_mul_i32 s31, s31, s56
	s_add_i32 s0, s0, s31
	s_mul_i32 s16, s16, s56
	s_mul_hi_u32 s31, s39, s16
	s_mul_i32 s55, s39, s16
	s_mul_i32 s58, s56, s0
	s_mul_hi_u32 s16, s56, s16
	s_mul_hi_u32 s57, s56, s0
	s_add_u32 s16, s16, s58
	s_addc_u32 s57, 0, s57
	s_add_u32 s16, s16, s55
	s_mul_hi_u32 s1, s39, s0
	s_addc_u32 s16, s57, s31
	s_addc_u32 s1, s1, 0
	s_mul_i32 s0, s39, s0
	s_add_u32 s0, s16, s0
	s_addc_u32 s16, 0, s1
	s_add_u32 s31, s56, s0
	s_cselect_b64 s[0:1], -1, 0
	v_ashrrev_i32_e32 v3, 31, v13
	s_cmp_lg_u64 s[0:1], 0
	v_add_co_u32_e32 v5, vcc, v12, v3
	s_addc_u32 s16, s39, s16
	v_xor_b32_e32 v5, v5, v3
	v_addc_co_u32_e32 v7, vcc, v13, v3, vcc
	v_mad_u64_u32 v[13:14], s[0:1], v5, s16, 0
	v_mul_hi_u32 v9, v5, s31
	v_xor_b32_e32 v7, v7, v3
	v_mad_u64_u32 v[15:16], s[0:1], v7, s16, 0
	v_add_co_u32_e32 v9, vcc, v9, v13
	v_addc_co_u32_e32 v11, vcc, 0, v14, vcc
	v_mad_u64_u32 v[13:14], s[0:1], v7, s31, 0
	v_xor_b32_e32 v3, s38, v3
	v_add_co_u32_e32 v9, vcc, v9, v13
	v_addc_co_u32_e32 v9, vcc, v11, v14, vcc
	v_addc_co_u32_e32 v11, vcc, 0, v16, vcc
	v_add_co_u32_e32 v9, vcc, v9, v15
	v_addc_co_u32_e32 v11, vcc, 0, v11, vcc
	v_mul_lo_u32 v15, s41, v9
	v_mul_lo_u32 v16, s40, v11
	v_mad_u64_u32 v[13:14], s[0:1], s40, v9, 0
	v_add3_u32 v14, v14, v16, v15
	v_sub_u32_e32 v15, v7, v14
	v_mov_b32_e32 v16, s41
	v_sub_co_u32_e32 v5, vcc, v5, v13
	v_subb_co_u32_e64 v13, s[0:1], v15, v16, vcc
	v_subrev_co_u32_e64 v15, s[0:1], s40, v5
	v_subbrev_co_u32_e64 v13, s[0:1], 0, v13, s[0:1]
	v_cmp_le_u32_e64 s[0:1], s41, v13
	v_cndmask_b32_e64 v16, 0, -1, s[0:1]
	v_cmp_le_u32_e64 s[0:1], s40, v15
	v_cndmask_b32_e64 v15, 0, -1, s[0:1]
	v_cmp_eq_u32_e64 s[0:1], s41, v13
	v_cndmask_b32_e64 v13, v16, v15, s[0:1]
	v_add_co_u32_e64 v15, s[0:1], 2, v9
	v_subb_co_u32_e32 v7, vcc, v7, v14, vcc
	v_addc_co_u32_e64 v16, s[0:1], 0, v11, s[0:1]
	v_cmp_le_u32_e32 vcc, s41, v7
	v_add_co_u32_e64 v17, s[0:1], 1, v9
	v_cndmask_b32_e64 v14, 0, -1, vcc
	v_cmp_le_u32_e32 vcc, s40, v5
	v_addc_co_u32_e64 v18, s[0:1], 0, v11, s[0:1]
	v_cndmask_b32_e64 v5, 0, -1, vcc
	v_cmp_eq_u32_e32 vcc, s41, v7
	v_cmp_ne_u32_e64 s[0:1], 0, v13
	v_cndmask_b32_e32 v5, v14, v5, vcc
	v_cmp_ne_u32_e32 vcc, 0, v5
	v_cndmask_b32_e64 v7, v17, v15, s[0:1]
	v_cndmask_b32_e64 v13, v18, v16, s[0:1]
	v_cndmask_b32_e32 v7, v9, v7, vcc
	v_cndmask_b32_e32 v5, v11, v13, vcc
	v_xor_b32_e32 v7, v7, v3
	v_xor_b32_e32 v5, v5, v3
	v_sub_co_u32_e32 v14, vcc, v7, v3
	v_subb_co_u32_e32 v15, vcc, v5, v3, vcc
.LBB88_37:                              ;   in Loop: Header=BB88_23 Depth=2
	s_andn2_saveexec_b64 s[0:1], s[36:37]
	s_cbranch_execz .LBB88_39
; %bb.38:                               ;   in Loop: Header=BB88_23 Depth=2
	v_cvt_f32_u32_e32 v3, s54
	s_sub_i32 s16, 0, s54
	v_mov_b32_e32 v15, v2
	v_rcp_iflag_f32_e32 v3, v3
	v_mul_f32_e32 v3, 0x4f7ffffe, v3
	v_cvt_u32_f32_e32 v3, v3
	v_mul_lo_u32 v5, s16, v3
	v_mul_hi_u32 v5, v3, v5
	v_add_u32_e32 v3, v3, v5
	v_mul_hi_u32 v3, v12, v3
	v_mul_lo_u32 v5, v3, s54
	v_add_u32_e32 v7, 1, v3
	v_sub_u32_e32 v5, v12, v5
	v_subrev_u32_e32 v9, s54, v5
	v_cmp_le_u32_e32 vcc, s54, v5
	v_cndmask_b32_e32 v5, v5, v9, vcc
	v_cndmask_b32_e32 v3, v3, v7, vcc
	v_add_u32_e32 v7, 1, v3
	v_cmp_le_u32_e32 vcc, s54, v5
	v_cndmask_b32_e32 v14, v3, v7, vcc
.LBB88_39:                              ;   in Loop: Header=BB88_23 Depth=2
	s_or_b64 exec, exec, s[0:1]
	s_add_u32 s0, s4, s34
	s_addc_u32 s1, s5, s35
	s_add_i32 s16, s30, 3
	s_lshl_b64 s[34:35], s[16:17], 2
	s_add_u32 s36, s42, s34
	s_addc_u32 s37, s43, s35
	s_load_dword s55, s[36:37], 0x8
	s_load_dword s56, s[0:1], 0x6c
                                        ; implicit-def: $vgpr16_vgpr17
	s_waitcnt lgkmcnt(0)
	s_ashr_i32 s0, s55, 31
	v_or_b32_e32 v3, s0, v15
	v_cmp_ne_u64_e32 vcc, 0, v[2:3]
	s_and_saveexec_b64 s[36:37], vcc
	s_xor_b64 s[36:37], exec, s[36:37]
	s_cbranch_execz .LBB88_41
; %bb.40:                               ;   in Loop: Header=BB88_23 Depth=2
	s_ashr_i32 s38, s0, 31
	s_add_u32 s40, s55, s38
	s_mov_b32 s39, s38
	s_addc_u32 s41, s0, s38
	s_xor_b64 s[40:41], s[40:41], s[38:39]
	v_cvt_f32_u32_e32 v3, s40
	v_cvt_f32_u32_e32 v5, s41
	s_sub_u32 s16, 0, s40
	s_subb_u32 s31, 0, s41
	v_mac_f32_e32 v3, 0x4f800000, v5
	v_rcp_f32_e32 v3, v3
	v_mul_f32_e32 v3, 0x5f7ffffc, v3
	v_mul_f32_e32 v5, 0x2f800000, v3
	v_trunc_f32_e32 v5, v5
	v_mac_f32_e32 v3, 0xcf800000, v5
	v_cvt_u32_f32_e32 v5, v5
	v_cvt_u32_f32_e32 v3, v3
	v_readfirstlane_b32 s39, v5
	v_readfirstlane_b32 s0, v3
	s_mul_i32 s1, s16, s39
	s_mul_hi_u32 s58, s16, s0
	s_mul_i32 s57, s31, s0
	s_add_i32 s1, s58, s1
	s_add_i32 s1, s1, s57
	s_mul_i32 s59, s16, s0
	s_mul_i32 s58, s0, s1
	s_mul_hi_u32 s60, s0, s59
	s_mul_hi_u32 s57, s0, s1
	s_add_u32 s58, s60, s58
	s_addc_u32 s57, 0, s57
	s_mul_hi_u32 s61, s39, s59
	s_mul_i32 s59, s39, s59
	s_add_u32 s58, s58, s59
	s_mul_hi_u32 s60, s39, s1
	s_addc_u32 s57, s57, s61
	s_addc_u32 s58, s60, 0
	s_mul_i32 s1, s39, s1
	s_add_u32 s1, s57, s1
	s_addc_u32 s57, 0, s58
	s_add_u32 s58, s0, s1
	s_cselect_b64 s[0:1], -1, 0
	s_cmp_lg_u64 s[0:1], 0
	s_addc_u32 s39, s39, s57
	s_mul_i32 s0, s16, s39
	s_mul_hi_u32 s1, s16, s58
	s_add_i32 s0, s1, s0
	s_mul_i32 s31, s31, s58
	s_add_i32 s0, s0, s31
	s_mul_i32 s16, s16, s58
	s_mul_hi_u32 s31, s39, s16
	s_mul_i32 s57, s39, s16
	s_mul_i32 s60, s58, s0
	s_mul_hi_u32 s16, s58, s16
	s_mul_hi_u32 s59, s58, s0
	s_add_u32 s16, s16, s60
	s_addc_u32 s59, 0, s59
	s_add_u32 s16, s16, s57
	s_mul_hi_u32 s1, s39, s0
	s_addc_u32 s16, s59, s31
	s_addc_u32 s1, s1, 0
	s_mul_i32 s0, s39, s0
	s_add_u32 s0, s16, s0
	s_addc_u32 s16, 0, s1
	s_add_u32 s31, s58, s0
	s_cselect_b64 s[0:1], -1, 0
	v_ashrrev_i32_e32 v3, 31, v15
	s_cmp_lg_u64 s[0:1], 0
	v_add_co_u32_e32 v5, vcc, v14, v3
	s_addc_u32 s16, s39, s16
	v_xor_b32_e32 v5, v5, v3
	v_addc_co_u32_e32 v7, vcc, v15, v3, vcc
	v_mad_u64_u32 v[15:16], s[0:1], v5, s16, 0
	v_mul_hi_u32 v9, v5, s31
	v_xor_b32_e32 v7, v7, v3
	v_mad_u64_u32 v[17:18], s[0:1], v7, s16, 0
	v_add_co_u32_e32 v9, vcc, v9, v15
	v_addc_co_u32_e32 v11, vcc, 0, v16, vcc
	v_mad_u64_u32 v[15:16], s[0:1], v7, s31, 0
	v_xor_b32_e32 v3, s38, v3
	v_add_co_u32_e32 v9, vcc, v9, v15
	v_addc_co_u32_e32 v9, vcc, v11, v16, vcc
	v_addc_co_u32_e32 v11, vcc, 0, v18, vcc
	v_add_co_u32_e32 v9, vcc, v9, v17
	v_addc_co_u32_e32 v11, vcc, 0, v11, vcc
	v_mul_lo_u32 v13, s41, v9
	v_mul_lo_u32 v17, s40, v11
	v_mad_u64_u32 v[15:16], s[0:1], s40, v9, 0
	v_add3_u32 v13, v16, v17, v13
	v_sub_u32_e32 v16, v7, v13
	v_mov_b32_e32 v17, s41
	v_sub_co_u32_e32 v5, vcc, v5, v15
	v_subb_co_u32_e64 v15, s[0:1], v16, v17, vcc
	v_subrev_co_u32_e64 v16, s[0:1], s40, v5
	v_subbrev_co_u32_e64 v15, s[0:1], 0, v15, s[0:1]
	v_cmp_le_u32_e64 s[0:1], s41, v15
	v_cndmask_b32_e64 v17, 0, -1, s[0:1]
	v_cmp_le_u32_e64 s[0:1], s40, v16
	v_cndmask_b32_e64 v16, 0, -1, s[0:1]
	v_cmp_eq_u32_e64 s[0:1], s41, v15
	v_cndmask_b32_e64 v15, v17, v16, s[0:1]
	v_add_co_u32_e64 v16, s[0:1], 2, v9
	v_subb_co_u32_e32 v7, vcc, v7, v13, vcc
	v_addc_co_u32_e64 v17, s[0:1], 0, v11, s[0:1]
	v_cmp_le_u32_e32 vcc, s41, v7
	v_add_co_u32_e64 v18, s[0:1], 1, v9
	v_cndmask_b32_e64 v13, 0, -1, vcc
	v_cmp_le_u32_e32 vcc, s40, v5
	v_addc_co_u32_e64 v19, s[0:1], 0, v11, s[0:1]
	v_cndmask_b32_e64 v5, 0, -1, vcc
	v_cmp_eq_u32_e32 vcc, s41, v7
	v_cmp_ne_u32_e64 s[0:1], 0, v15
	v_cndmask_b32_e32 v5, v13, v5, vcc
	v_cmp_ne_u32_e32 vcc, 0, v5
	v_cndmask_b32_e64 v7, v18, v16, s[0:1]
	v_cndmask_b32_e64 v15, v19, v17, s[0:1]
	v_cndmask_b32_e32 v7, v9, v7, vcc
	v_cndmask_b32_e32 v5, v11, v15, vcc
	v_xor_b32_e32 v7, v7, v3
	v_xor_b32_e32 v5, v5, v3
	v_sub_co_u32_e32 v16, vcc, v7, v3
	v_subb_co_u32_e32 v17, vcc, v5, v3, vcc
.LBB88_41:                              ;   in Loop: Header=BB88_23 Depth=2
	s_andn2_saveexec_b64 s[0:1], s[36:37]
	s_cbranch_execz .LBB88_43
; %bb.42:                               ;   in Loop: Header=BB88_23 Depth=2
	v_cvt_f32_u32_e32 v3, s55
	s_sub_i32 s16, 0, s55
	v_mov_b32_e32 v17, v2
	v_rcp_iflag_f32_e32 v3, v3
	v_mul_f32_e32 v3, 0x4f7ffffe, v3
	v_cvt_u32_f32_e32 v3, v3
	v_mul_lo_u32 v5, s16, v3
	v_mul_hi_u32 v5, v3, v5
	v_add_u32_e32 v3, v3, v5
	v_mul_hi_u32 v3, v14, v3
	v_mul_lo_u32 v5, v3, s55
	v_add_u32_e32 v7, 1, v3
	v_sub_u32_e32 v5, v14, v5
	v_subrev_u32_e32 v9, s55, v5
	v_cmp_le_u32_e32 vcc, s55, v5
	v_cndmask_b32_e32 v5, v5, v9, vcc
	v_cndmask_b32_e32 v3, v3, v7, vcc
	v_add_u32_e32 v7, 1, v3
	v_cmp_le_u32_e32 vcc, s55, v5
	v_cndmask_b32_e32 v16, v3, v7, vcc
.LBB88_43:                              ;   in Loop: Header=BB88_23 Depth=2
	s_or_b64 exec, exec, s[0:1]
	s_add_u32 s0, s4, s34
	s_addc_u32 s1, s5, s35
	s_add_i32 s16, s30, 2
	s_lshl_b64 s[34:35], s[16:17], 2
	s_add_u32 s36, s42, s34
	s_addc_u32 s37, s43, s35
	s_load_dword s58, s[36:37], 0x8
	s_load_dword s57, s[0:1], 0x6c
                                        ; implicit-def: $vgpr18_vgpr19
	s_waitcnt lgkmcnt(0)
	s_ashr_i32 s0, s58, 31
	v_or_b32_e32 v3, s0, v17
	v_cmp_ne_u64_e32 vcc, 0, v[2:3]
	s_and_saveexec_b64 s[36:37], vcc
	s_xor_b64 s[36:37], exec, s[36:37]
	s_cbranch_execz .LBB88_45
; %bb.44:                               ;   in Loop: Header=BB88_23 Depth=2
	s_ashr_i32 s38, s0, 31
	s_add_u32 s40, s58, s38
	s_mov_b32 s39, s38
	s_addc_u32 s41, s0, s38
	s_xor_b64 s[40:41], s[40:41], s[38:39]
	v_cvt_f32_u32_e32 v3, s40
	v_cvt_f32_u32_e32 v5, s41
	s_sub_u32 s16, 0, s40
	s_subb_u32 s31, 0, s41
	v_mac_f32_e32 v3, 0x4f800000, v5
	v_rcp_f32_e32 v3, v3
	v_mul_f32_e32 v3, 0x5f7ffffc, v3
	v_mul_f32_e32 v5, 0x2f800000, v3
	v_trunc_f32_e32 v5, v5
	v_mac_f32_e32 v3, 0xcf800000, v5
	v_cvt_u32_f32_e32 v5, v5
	v_cvt_u32_f32_e32 v3, v3
	v_readfirstlane_b32 s39, v5
	v_readfirstlane_b32 s0, v3
	s_mul_i32 s1, s16, s39
	s_mul_hi_u32 s60, s16, s0
	s_mul_i32 s59, s31, s0
	s_add_i32 s1, s60, s1
	s_add_i32 s1, s1, s59
	s_mul_i32 s61, s16, s0
	s_mul_i32 s60, s0, s1
	s_mul_hi_u32 s62, s0, s61
	s_mul_hi_u32 s59, s0, s1
	s_add_u32 s60, s62, s60
	s_addc_u32 s59, 0, s59
	s_mul_hi_u32 s63, s39, s61
	s_mul_i32 s61, s39, s61
	s_add_u32 s60, s60, s61
	s_mul_hi_u32 s62, s39, s1
	s_addc_u32 s59, s59, s63
	s_addc_u32 s60, s62, 0
	s_mul_i32 s1, s39, s1
	s_add_u32 s1, s59, s1
	s_addc_u32 s59, 0, s60
	s_add_u32 s60, s0, s1
	s_cselect_b64 s[0:1], -1, 0
	s_cmp_lg_u64 s[0:1], 0
	s_addc_u32 s39, s39, s59
	s_mul_i32 s0, s16, s39
	s_mul_hi_u32 s1, s16, s60
	s_add_i32 s0, s1, s0
	s_mul_i32 s31, s31, s60
	s_add_i32 s0, s0, s31
	s_mul_i32 s16, s16, s60
	s_mul_hi_u32 s31, s39, s16
	s_mul_i32 s59, s39, s16
	s_mul_i32 s62, s60, s0
	s_mul_hi_u32 s16, s60, s16
	s_mul_hi_u32 s61, s60, s0
	s_add_u32 s16, s16, s62
	s_addc_u32 s61, 0, s61
	s_add_u32 s16, s16, s59
	s_mul_hi_u32 s1, s39, s0
	s_addc_u32 s16, s61, s31
	s_addc_u32 s1, s1, 0
	s_mul_i32 s0, s39, s0
	s_add_u32 s0, s16, s0
	s_addc_u32 s16, 0, s1
	s_add_u32 s31, s60, s0
	s_cselect_b64 s[0:1], -1, 0
	v_ashrrev_i32_e32 v3, 31, v17
	s_cmp_lg_u64 s[0:1], 0
	v_add_co_u32_e32 v5, vcc, v16, v3
	s_addc_u32 s16, s39, s16
	v_xor_b32_e32 v5, v5, v3
	v_addc_co_u32_e32 v7, vcc, v17, v3, vcc
	v_mad_u64_u32 v[17:18], s[0:1], v5, s16, 0
	v_mul_hi_u32 v9, v5, s31
	v_xor_b32_e32 v7, v7, v3
	v_mad_u64_u32 v[19:20], s[0:1], v7, s16, 0
	v_add_co_u32_e32 v9, vcc, v9, v17
	v_addc_co_u32_e32 v11, vcc, 0, v18, vcc
	v_mad_u64_u32 v[17:18], s[0:1], v7, s31, 0
	v_xor_b32_e32 v3, s38, v3
	v_add_co_u32_e32 v9, vcc, v9, v17
	v_addc_co_u32_e32 v9, vcc, v11, v18, vcc
	v_addc_co_u32_e32 v11, vcc, 0, v20, vcc
	v_add_co_u32_e32 v9, vcc, v9, v19
	v_addc_co_u32_e32 v11, vcc, 0, v11, vcc
	v_mul_lo_u32 v13, s41, v9
	v_mul_lo_u32 v15, s40, v11
	v_mad_u64_u32 v[17:18], s[0:1], s40, v9, 0
	v_add3_u32 v13, v18, v15, v13
	v_sub_u32_e32 v15, v7, v13
	v_mov_b32_e32 v18, s41
	v_sub_co_u32_e32 v5, vcc, v5, v17
	v_subb_co_u32_e64 v15, s[0:1], v15, v18, vcc
	v_subrev_co_u32_e64 v17, s[0:1], s40, v5
	v_subbrev_co_u32_e64 v15, s[0:1], 0, v15, s[0:1]
	v_cmp_le_u32_e64 s[0:1], s41, v15
	v_cndmask_b32_e64 v18, 0, -1, s[0:1]
	v_cmp_le_u32_e64 s[0:1], s40, v17
	v_cndmask_b32_e64 v17, 0, -1, s[0:1]
	v_cmp_eq_u32_e64 s[0:1], s41, v15
	v_cndmask_b32_e64 v15, v18, v17, s[0:1]
	v_add_co_u32_e64 v17, s[0:1], 2, v9
	v_subb_co_u32_e32 v7, vcc, v7, v13, vcc
	v_addc_co_u32_e64 v18, s[0:1], 0, v11, s[0:1]
	v_cmp_le_u32_e32 vcc, s41, v7
	v_add_co_u32_e64 v19, s[0:1], 1, v9
	v_cndmask_b32_e64 v13, 0, -1, vcc
	v_cmp_le_u32_e32 vcc, s40, v5
	v_addc_co_u32_e64 v20, s[0:1], 0, v11, s[0:1]
	v_cndmask_b32_e64 v5, 0, -1, vcc
	v_cmp_eq_u32_e32 vcc, s41, v7
	v_cmp_ne_u32_e64 s[0:1], 0, v15
	v_cndmask_b32_e32 v5, v13, v5, vcc
	v_cmp_ne_u32_e32 vcc, 0, v5
	v_cndmask_b32_e64 v7, v19, v17, s[0:1]
	v_cndmask_b32_e64 v15, v20, v18, s[0:1]
	v_cndmask_b32_e32 v7, v9, v7, vcc
	v_cndmask_b32_e32 v5, v11, v15, vcc
	v_xor_b32_e32 v7, v7, v3
	v_xor_b32_e32 v5, v5, v3
	v_sub_co_u32_e32 v18, vcc, v7, v3
	v_subb_co_u32_e32 v19, vcc, v5, v3, vcc
.LBB88_45:                              ;   in Loop: Header=BB88_23 Depth=2
	s_andn2_saveexec_b64 s[0:1], s[36:37]
	s_cbranch_execz .LBB88_47
; %bb.46:                               ;   in Loop: Header=BB88_23 Depth=2
	v_cvt_f32_u32_e32 v3, s58
	s_sub_i32 s16, 0, s58
	v_mov_b32_e32 v19, v2
	v_rcp_iflag_f32_e32 v3, v3
	v_mul_f32_e32 v3, 0x4f7ffffe, v3
	v_cvt_u32_f32_e32 v3, v3
	v_mul_lo_u32 v5, s16, v3
	v_mul_hi_u32 v5, v3, v5
	v_add_u32_e32 v3, v3, v5
	v_mul_hi_u32 v3, v16, v3
	v_mul_lo_u32 v5, v3, s58
	v_add_u32_e32 v7, 1, v3
	v_sub_u32_e32 v5, v16, v5
	v_subrev_u32_e32 v9, s58, v5
	v_cmp_le_u32_e32 vcc, s58, v5
	v_cndmask_b32_e32 v5, v5, v9, vcc
	v_cndmask_b32_e32 v3, v3, v7, vcc
	v_add_u32_e32 v7, 1, v3
	v_cmp_le_u32_e32 vcc, s58, v5
	v_cndmask_b32_e32 v18, v3, v7, vcc
.LBB88_47:                              ;   in Loop: Header=BB88_23 Depth=2
	s_or_b64 exec, exec, s[0:1]
	s_add_u32 s0, s4, s34
	s_addc_u32 s1, s5, s35
	s_add_i32 s16, s30, 1
	s_lshl_b64 s[34:35], s[16:17], 2
	s_add_u32 s36, s42, s34
	s_addc_u32 s37, s43, s35
	s_load_dword s59, s[36:37], 0x8
	s_load_dword s16, s[0:1], 0x6c
                                        ; implicit-def: $vgpr20_vgpr21
	s_waitcnt lgkmcnt(0)
	s_ashr_i32 s0, s59, 31
	v_or_b32_e32 v3, s0, v19
	v_cmp_ne_u64_e32 vcc, 0, v[2:3]
	s_and_saveexec_b64 s[36:37], vcc
	s_xor_b64 s[36:37], exec, s[36:37]
	s_cbranch_execz .LBB88_49
; %bb.48:                               ;   in Loop: Header=BB88_23 Depth=2
	s_ashr_i32 s38, s0, 31
	s_add_u32 s40, s59, s38
	s_mov_b32 s39, s38
	s_addc_u32 s41, s0, s38
	s_xor_b64 s[40:41], s[40:41], s[38:39]
	v_cvt_f32_u32_e32 v3, s40
	v_cvt_f32_u32_e32 v5, s41
	s_sub_u32 s31, 0, s40
	s_subb_u32 s39, 0, s41
	v_mov_b32_e32 v17, s41
	v_mac_f32_e32 v3, 0x4f800000, v5
	v_rcp_f32_e32 v3, v3
	v_mul_f32_e32 v3, 0x5f7ffffc, v3
	v_mul_f32_e32 v5, 0x2f800000, v3
	v_trunc_f32_e32 v5, v5
	v_mac_f32_e32 v3, 0xcf800000, v5
	v_cvt_u32_f32_e32 v5, v5
	v_cvt_u32_f32_e32 v3, v3
	v_readfirstlane_b32 s60, v5
	v_readfirstlane_b32 s0, v3
	s_mul_i32 s1, s31, s60
	s_mul_hi_u32 s62, s31, s0
	s_mul_i32 s61, s39, s0
	s_add_i32 s1, s62, s1
	s_add_i32 s1, s1, s61
	s_mul_i32 s63, s31, s0
	s_mul_i32 s62, s0, s1
	s_mul_hi_u32 s64, s0, s63
	s_mul_hi_u32 s61, s0, s1
	s_add_u32 s62, s64, s62
	s_addc_u32 s61, 0, s61
	s_mul_hi_u32 s65, s60, s63
	s_mul_i32 s63, s60, s63
	s_add_u32 s62, s62, s63
	s_mul_hi_u32 s64, s60, s1
	s_addc_u32 s61, s61, s65
	s_addc_u32 s62, s64, 0
	s_mul_i32 s1, s60, s1
	s_add_u32 s1, s61, s1
	s_addc_u32 s61, 0, s62
	s_add_u32 s62, s0, s1
	s_cselect_b64 s[0:1], -1, 0
	s_cmp_lg_u64 s[0:1], 0
	s_addc_u32 s60, s60, s61
	s_mul_i32 s0, s31, s60
	s_mul_hi_u32 s1, s31, s62
	s_add_i32 s0, s1, s0
	s_mul_i32 s39, s39, s62
	s_add_i32 s0, s0, s39
	s_mul_i32 s31, s31, s62
	s_mul_hi_u32 s39, s60, s31
	s_mul_i32 s61, s60, s31
	s_mul_i32 s64, s62, s0
	s_mul_hi_u32 s31, s62, s31
	s_mul_hi_u32 s63, s62, s0
	s_add_u32 s31, s31, s64
	s_addc_u32 s63, 0, s63
	s_add_u32 s31, s31, s61
	s_mul_hi_u32 s1, s60, s0
	s_addc_u32 s31, s63, s39
	s_addc_u32 s1, s1, 0
	s_mul_i32 s0, s60, s0
	s_add_u32 s0, s31, s0
	s_addc_u32 s31, 0, s1
	s_add_u32 s39, s62, s0
	s_cselect_b64 s[0:1], -1, 0
	v_ashrrev_i32_e32 v3, 31, v19
	s_cmp_lg_u64 s[0:1], 0
	v_add_co_u32_e32 v5, vcc, v18, v3
	s_addc_u32 s31, s60, s31
	v_xor_b32_e32 v5, v5, v3
	v_addc_co_u32_e32 v7, vcc, v19, v3, vcc
	v_mad_u64_u32 v[19:20], s[0:1], v5, s31, 0
	v_mul_hi_u32 v9, v5, s39
	v_xor_b32_e32 v7, v7, v3
	v_mad_u64_u32 v[21:22], s[0:1], v7, s31, 0
	v_add_co_u32_e32 v9, vcc, v9, v19
	v_addc_co_u32_e32 v11, vcc, 0, v20, vcc
	v_mad_u64_u32 v[19:20], s[0:1], v7, s39, 0
	v_xor_b32_e32 v3, s38, v3
	v_add_co_u32_e32 v9, vcc, v9, v19
	v_addc_co_u32_e32 v9, vcc, v11, v20, vcc
	v_addc_co_u32_e32 v11, vcc, 0, v22, vcc
	v_add_co_u32_e32 v9, vcc, v9, v21
	v_addc_co_u32_e32 v11, vcc, 0, v11, vcc
	v_mul_lo_u32 v13, s41, v9
	v_mul_lo_u32 v15, s40, v11
	v_mad_u64_u32 v[19:20], s[0:1], s40, v9, 0
	v_add3_u32 v13, v20, v15, v13
	v_sub_u32_e32 v15, v7, v13
	v_sub_co_u32_e32 v5, vcc, v5, v19
	v_subb_co_u32_e64 v15, s[0:1], v15, v17, vcc
	v_subrev_co_u32_e64 v17, s[0:1], s40, v5
	v_subbrev_co_u32_e64 v15, s[0:1], 0, v15, s[0:1]
	v_cmp_le_u32_e64 s[0:1], s41, v15
	v_cndmask_b32_e64 v19, 0, -1, s[0:1]
	v_cmp_le_u32_e64 s[0:1], s40, v17
	v_cndmask_b32_e64 v17, 0, -1, s[0:1]
	v_cmp_eq_u32_e64 s[0:1], s41, v15
	v_cndmask_b32_e64 v15, v19, v17, s[0:1]
	v_add_co_u32_e64 v17, s[0:1], 2, v9
	v_subb_co_u32_e32 v7, vcc, v7, v13, vcc
	v_addc_co_u32_e64 v19, s[0:1], 0, v11, s[0:1]
	v_cmp_le_u32_e32 vcc, s41, v7
	v_add_co_u32_e64 v20, s[0:1], 1, v9
	v_cndmask_b32_e64 v13, 0, -1, vcc
	v_cmp_le_u32_e32 vcc, s40, v5
	v_addc_co_u32_e64 v21, s[0:1], 0, v11, s[0:1]
	v_cndmask_b32_e64 v5, 0, -1, vcc
	v_cmp_eq_u32_e32 vcc, s41, v7
	v_cmp_ne_u32_e64 s[0:1], 0, v15
	v_cndmask_b32_e32 v5, v13, v5, vcc
	v_cmp_ne_u32_e32 vcc, 0, v5
	v_cndmask_b32_e64 v7, v20, v17, s[0:1]
	v_cndmask_b32_e64 v15, v21, v19, s[0:1]
	v_cndmask_b32_e32 v7, v9, v7, vcc
	v_cndmask_b32_e32 v5, v11, v15, vcc
	v_xor_b32_e32 v7, v7, v3
	v_xor_b32_e32 v5, v5, v3
	v_sub_co_u32_e32 v20, vcc, v7, v3
	v_subb_co_u32_e32 v21, vcc, v5, v3, vcc
.LBB88_49:                              ;   in Loop: Header=BB88_23 Depth=2
	s_andn2_saveexec_b64 s[0:1], s[36:37]
	s_cbranch_execz .LBB88_51
; %bb.50:                               ;   in Loop: Header=BB88_23 Depth=2
	v_cvt_f32_u32_e32 v3, s59
	s_sub_i32 s31, 0, s59
	v_mov_b32_e32 v21, v2
	v_rcp_iflag_f32_e32 v3, v3
	v_mul_f32_e32 v3, 0x4f7ffffe, v3
	v_cvt_u32_f32_e32 v3, v3
	v_mul_lo_u32 v5, s31, v3
	v_mul_hi_u32 v5, v3, v5
	v_add_u32_e32 v3, v3, v5
	v_mul_hi_u32 v3, v18, v3
	v_mul_lo_u32 v5, v3, s59
	v_add_u32_e32 v7, 1, v3
	v_sub_u32_e32 v5, v18, v5
	v_subrev_u32_e32 v9, s59, v5
	v_cmp_le_u32_e32 vcc, s59, v5
	v_cndmask_b32_e32 v5, v5, v9, vcc
	v_cndmask_b32_e32 v3, v3, v7, vcc
	v_add_u32_e32 v7, 1, v3
	v_cmp_le_u32_e32 vcc, s59, v5
	v_cndmask_b32_e32 v20, v3, v7, vcc
.LBB88_51:                              ;   in Loop: Header=BB88_23 Depth=2
	s_or_b64 exec, exec, s[0:1]
	s_add_u32 s0, s4, s34
	s_mov_b32 s31, s17
	s_addc_u32 s1, s5, s35
	s_lshl_b64 s[34:35], s[30:31], 2
	s_add_u32 s36, s42, s34
	s_addc_u32 s37, s43, s35
	s_load_dword s60, s[36:37], 0x8
	s_load_dword s31, s[0:1], 0x6c
                                        ; implicit-def: $vgpr22_vgpr23
	s_waitcnt lgkmcnt(0)
	s_ashr_i32 s0, s60, 31
	v_or_b32_e32 v3, s0, v21
	v_cmp_ne_u64_e32 vcc, 0, v[2:3]
	s_and_saveexec_b64 s[36:37], vcc
	s_xor_b64 s[36:37], exec, s[36:37]
	s_cbranch_execz .LBB88_53
; %bb.52:                               ;   in Loop: Header=BB88_23 Depth=2
	s_ashr_i32 s38, s0, 31
	s_add_u32 s40, s60, s38
	s_mov_b32 s39, s38
	s_addc_u32 s41, s0, s38
	s_xor_b64 s[40:41], s[40:41], s[38:39]
	v_cvt_f32_u32_e32 v3, s40
	v_cvt_f32_u32_e32 v5, s41
	s_sub_u32 s39, 0, s40
	s_subb_u32 s61, 0, s41
	v_mov_b32_e32 v17, s41
	v_mac_f32_e32 v3, 0x4f800000, v5
	v_rcp_f32_e32 v3, v3
	v_mul_f32_e32 v3, 0x5f7ffffc, v3
	v_mul_f32_e32 v5, 0x2f800000, v3
	v_trunc_f32_e32 v5, v5
	v_mac_f32_e32 v3, 0xcf800000, v5
	v_cvt_u32_f32_e32 v5, v5
	v_cvt_u32_f32_e32 v3, v3
	v_readfirstlane_b32 s62, v5
	v_readfirstlane_b32 s0, v3
	s_mul_i32 s1, s39, s62
	s_mul_hi_u32 s64, s39, s0
	s_mul_i32 s63, s61, s0
	s_add_i32 s1, s64, s1
	s_add_i32 s1, s1, s63
	s_mul_i32 s65, s39, s0
	s_mul_i32 s64, s0, s1
	s_mul_hi_u32 s66, s0, s65
	s_mul_hi_u32 s63, s0, s1
	s_add_u32 s64, s66, s64
	s_addc_u32 s63, 0, s63
	s_mul_hi_u32 s67, s62, s65
	s_mul_i32 s65, s62, s65
	s_add_u32 s64, s64, s65
	s_mul_hi_u32 s66, s62, s1
	s_addc_u32 s63, s63, s67
	s_addc_u32 s64, s66, 0
	s_mul_i32 s1, s62, s1
	s_add_u32 s1, s63, s1
	s_addc_u32 s63, 0, s64
	s_add_u32 s64, s0, s1
	s_cselect_b64 s[0:1], -1, 0
	s_cmp_lg_u64 s[0:1], 0
	s_addc_u32 s62, s62, s63
	s_mul_i32 s0, s39, s62
	s_mul_hi_u32 s1, s39, s64
	s_add_i32 s0, s1, s0
	s_mul_i32 s61, s61, s64
	s_add_i32 s0, s0, s61
	s_mul_i32 s39, s39, s64
	s_mul_hi_u32 s61, s62, s39
	s_mul_i32 s63, s62, s39
	s_mul_i32 s66, s64, s0
	s_mul_hi_u32 s39, s64, s39
	s_mul_hi_u32 s65, s64, s0
	s_add_u32 s39, s39, s66
	s_addc_u32 s65, 0, s65
	s_add_u32 s39, s39, s63
	s_mul_hi_u32 s1, s62, s0
	s_addc_u32 s39, s65, s61
	s_addc_u32 s1, s1, 0
	s_mul_i32 s0, s62, s0
	s_add_u32 s0, s39, s0
	s_addc_u32 s39, 0, s1
	s_add_u32 s61, s64, s0
	s_cselect_b64 s[0:1], -1, 0
	v_ashrrev_i32_e32 v3, 31, v21
	s_cmp_lg_u64 s[0:1], 0
	v_add_co_u32_e32 v5, vcc, v20, v3
	s_addc_u32 s39, s62, s39
	v_xor_b32_e32 v5, v5, v3
	v_addc_co_u32_e32 v7, vcc, v21, v3, vcc
	v_mad_u64_u32 v[21:22], s[0:1], v5, s39, 0
	v_mul_hi_u32 v9, v5, s61
	v_xor_b32_e32 v7, v7, v3
	v_mad_u64_u32 v[26:27], s[0:1], v7, s39, 0
	v_add_co_u32_e32 v9, vcc, v9, v21
	v_addc_co_u32_e32 v11, vcc, 0, v22, vcc
	v_mad_u64_u32 v[21:22], s[0:1], v7, s61, 0
	v_xor_b32_e32 v3, s38, v3
	v_add_co_u32_e32 v9, vcc, v9, v21
	v_addc_co_u32_e32 v9, vcc, v11, v22, vcc
	v_addc_co_u32_e32 v11, vcc, 0, v27, vcc
	v_add_co_u32_e32 v9, vcc, v9, v26
	v_addc_co_u32_e32 v11, vcc, 0, v11, vcc
	v_mul_lo_u32 v13, s41, v9
	v_mul_lo_u32 v15, s40, v11
	v_mad_u64_u32 v[21:22], s[0:1], s40, v9, 0
	v_add3_u32 v13, v22, v15, v13
	v_sub_u32_e32 v15, v7, v13
	v_sub_co_u32_e32 v5, vcc, v5, v21
	v_subb_co_u32_e64 v15, s[0:1], v15, v17, vcc
	v_subrev_co_u32_e64 v17, s[0:1], s40, v5
	v_subbrev_co_u32_e64 v15, s[0:1], 0, v15, s[0:1]
	v_cmp_le_u32_e64 s[0:1], s41, v15
	v_cndmask_b32_e64 v19, 0, -1, s[0:1]
	v_cmp_le_u32_e64 s[0:1], s40, v17
	v_cndmask_b32_e64 v17, 0, -1, s[0:1]
	v_cmp_eq_u32_e64 s[0:1], s41, v15
	v_cndmask_b32_e64 v15, v19, v17, s[0:1]
	v_add_co_u32_e64 v17, s[0:1], 2, v9
	v_subb_co_u32_e32 v7, vcc, v7, v13, vcc
	v_addc_co_u32_e64 v19, s[0:1], 0, v11, s[0:1]
	v_cmp_le_u32_e32 vcc, s41, v7
	v_add_co_u32_e64 v21, s[0:1], 1, v9
	v_cndmask_b32_e64 v13, 0, -1, vcc
	v_cmp_le_u32_e32 vcc, s40, v5
	v_addc_co_u32_e64 v22, s[0:1], 0, v11, s[0:1]
	v_cndmask_b32_e64 v5, 0, -1, vcc
	v_cmp_eq_u32_e32 vcc, s41, v7
	v_cmp_ne_u32_e64 s[0:1], 0, v15
	v_cndmask_b32_e32 v5, v13, v5, vcc
	v_cmp_ne_u32_e32 vcc, 0, v5
	v_cndmask_b32_e64 v7, v21, v17, s[0:1]
	v_cndmask_b32_e64 v15, v22, v19, s[0:1]
	v_cndmask_b32_e32 v7, v9, v7, vcc
	v_cndmask_b32_e32 v5, v11, v15, vcc
	v_xor_b32_e32 v7, v7, v3
	v_xor_b32_e32 v5, v5, v3
	v_sub_co_u32_e32 v22, vcc, v7, v3
	v_subb_co_u32_e32 v23, vcc, v5, v3, vcc
.LBB88_53:                              ;   in Loop: Header=BB88_23 Depth=2
	s_andn2_saveexec_b64 s[0:1], s[36:37]
	s_cbranch_execz .LBB88_55
; %bb.54:                               ;   in Loop: Header=BB88_23 Depth=2
	v_cvt_f32_u32_e32 v3, s60
	s_sub_i32 s36, 0, s60
	v_mov_b32_e32 v23, v2
	v_rcp_iflag_f32_e32 v3, v3
	v_mul_f32_e32 v3, 0x4f7ffffe, v3
	v_cvt_u32_f32_e32 v3, v3
	v_mul_lo_u32 v5, s36, v3
	v_mul_hi_u32 v5, v3, v5
	v_add_u32_e32 v3, v3, v5
	v_mul_hi_u32 v3, v20, v3
	v_mul_lo_u32 v5, v3, s60
	v_add_u32_e32 v7, 1, v3
	v_sub_u32_e32 v5, v20, v5
	v_subrev_u32_e32 v9, s60, v5
	v_cmp_le_u32_e32 vcc, s60, v5
	v_cndmask_b32_e32 v5, v5, v9, vcc
	v_cndmask_b32_e32 v3, v3, v7, vcc
	v_add_u32_e32 v7, 1, v3
	v_cmp_le_u32_e32 vcc, s60, v5
	v_cndmask_b32_e32 v22, v3, v7, vcc
.LBB88_55:                              ;   in Loop: Header=BB88_23 Depth=2
	s_or_b64 exec, exec, s[0:1]
	v_mul_lo_u32 v3, v8, s25
	v_mul_lo_u32 v5, v10, s50
	;; [unrolled: 1-line block ×3, first 2 shown]
	s_add_u32 s0, s4, s34
	v_sub_u32_e32 v3, v6, v3
	v_mul_lo_u32 v6, v14, s54
	v_sub_u32_e32 v5, v8, v5
	v_mul_lo_u32 v3, s28, v3
	v_mul_lo_u32 v5, s51, v5
	v_sub_u32_e32 v7, v10, v7
	v_sub_u32_e32 v6, v12, v6
	v_mul_lo_u32 v7, s53, v7
	v_mul_lo_u32 v6, s56, v6
	;; [unrolled: 1-line block ×3, first 2 shown]
	v_add3_u32 v3, v3, v4, v5
	v_mul_lo_u32 v4, v18, s58
	s_addc_u32 s1, s5, s35
	v_add3_u32 v3, v7, v3, v6
	v_mul_lo_u32 v6, v20, s59
	v_mul_lo_u32 v7, v22, s60
	s_load_dword s0, s[0:1], 0x6c
	v_sub_u32_e32 v5, v14, v8
	v_sub_u32_e32 v4, v16, v4
	v_mul_lo_u32 v5, s57, v5
	v_mul_lo_u32 v4, s16, v4
	v_sub_u32_e32 v6, v18, v6
	v_sub_u32_e32 v7, v20, v7
	v_mul_lo_u32 v6, s31, v6
	s_waitcnt lgkmcnt(0)
	v_mul_lo_u32 v7, s0, v7
	v_add3_u32 v3, v5, v3, v4
	s_add_i32 s30, s30, -8
	s_cmp_eq_u32 s30, -8
	v_add3_u32 v4, v6, v3, v7
	s_cbranch_scc1 .LBB88_57
; %bb.56:                               ;   in Loop: Header=BB88_23 Depth=2
	v_mov_b32_e32 v6, v22
	v_mov_b32_e32 v7, v23
	s_branch .LBB88_23
.LBB88_57:                              ;   in Loop: Header=BB88_3 Depth=1
	s_load_dword s0, s[2:3], 0x4
	s_waitcnt lgkmcnt(0)
	v_cmp_gt_i32_e32 vcc, s0, v25
	s_and_b64 exec, exec, vcc
	s_cbranch_execz .LBB88_2
; %bb.58:                               ;   in Loop: Header=BB88_3 Depth=1
	v_ashrrev_i32_e32 v5, 31, v4
	v_lshlrev_b64 v[5:6], 2, v[4:5]
	v_mov_b32_e32 v3, s13
	v_add_co_u32_e32 v5, vcc, s12, v5
	v_addc_co_u32_e32 v6, vcc, v3, v6, vcc
	v_add_u32_e32 v3, 1, v25
	v_cmp_gt_i32_e32 vcc, s0, v3
	global_store_dword v[5:6], v2, off
	s_and_b64 exec, exec, vcc
	s_cbranch_execz .LBB88_2
; %bb.59:                               ;   in Loop: Header=BB88_3 Depth=1
	v_sub_u32_e32 v5, v3, v24
	v_ashrrev_i32_e32 v6, 31, v5
	v_cmp_gt_i64_e32 vcc, s[8:9], v[5:6]
	s_and_b64 exec, exec, vcc
	s_cbranch_execz .LBB88_2
; %bb.60:                               ;   in Loop: Header=BB88_3 Depth=1
	v_add_u32_e32 v3, s29, v4
	v_ashrrev_i32_e32 v4, 31, v3
	v_lshlrev_b64 v[3:4], 2, v[3:4]
	v_mov_b32_e32 v5, s13
	v_add_co_u32_e32 v3, vcc, s12, v3
	v_addc_co_u32_e32 v4, vcc, v5, v4, vcc
	global_store_dword v[3:4], v2, off
	s_branch .LBB88_2
.LBB88_61:
	s_endpgm
	.section	.rodata,"a",@progbits
	.p2align	6, 0x0
	.amdhsa_kernel _ZN2at6native16triu_tril_kernelIN3c107complexINS2_4HalfEEEiLb1ELi2ELb1EEEvNS_4cuda6detail10TensorInfoIT_T0_EENS8_IKS9_SA_EEllSA_
		.amdhsa_group_segment_fixed_size 0
		.amdhsa_private_segment_fixed_size 0
		.amdhsa_kernarg_size 712
		.amdhsa_user_sgpr_count 6
		.amdhsa_user_sgpr_private_segment_buffer 1
		.amdhsa_user_sgpr_dispatch_ptr 0
		.amdhsa_user_sgpr_queue_ptr 0
		.amdhsa_user_sgpr_kernarg_segment_ptr 1
		.amdhsa_user_sgpr_dispatch_id 0
		.amdhsa_user_sgpr_flat_scratch_init 0
		.amdhsa_user_sgpr_private_segment_size 0
		.amdhsa_uses_dynamic_stack 0
		.amdhsa_system_sgpr_private_segment_wavefront_offset 0
		.amdhsa_system_sgpr_workgroup_id_x 1
		.amdhsa_system_sgpr_workgroup_id_y 0
		.amdhsa_system_sgpr_workgroup_id_z 0
		.amdhsa_system_sgpr_workgroup_info 0
		.amdhsa_system_vgpr_workitem_id 0
		.amdhsa_next_free_vgpr 28
		.amdhsa_next_free_sgpr 68
		.amdhsa_reserve_vcc 1
		.amdhsa_reserve_flat_scratch 0
		.amdhsa_float_round_mode_32 0
		.amdhsa_float_round_mode_16_64 0
		.amdhsa_float_denorm_mode_32 3
		.amdhsa_float_denorm_mode_16_64 3
		.amdhsa_dx10_clamp 1
		.amdhsa_ieee_mode 1
		.amdhsa_fp16_overflow 0
		.amdhsa_exception_fp_ieee_invalid_op 0
		.amdhsa_exception_fp_denorm_src 0
		.amdhsa_exception_fp_ieee_div_zero 0
		.amdhsa_exception_fp_ieee_overflow 0
		.amdhsa_exception_fp_ieee_underflow 0
		.amdhsa_exception_fp_ieee_inexact 0
		.amdhsa_exception_int_div_zero 0
	.end_amdhsa_kernel
	.section	.text._ZN2at6native16triu_tril_kernelIN3c107complexINS2_4HalfEEEiLb1ELi2ELb1EEEvNS_4cuda6detail10TensorInfoIT_T0_EENS8_IKS9_SA_EEllSA_,"axG",@progbits,_ZN2at6native16triu_tril_kernelIN3c107complexINS2_4HalfEEEiLb1ELi2ELb1EEEvNS_4cuda6detail10TensorInfoIT_T0_EENS8_IKS9_SA_EEllSA_,comdat
.Lfunc_end88:
	.size	_ZN2at6native16triu_tril_kernelIN3c107complexINS2_4HalfEEEiLb1ELi2ELb1EEEvNS_4cuda6detail10TensorInfoIT_T0_EENS8_IKS9_SA_EEllSA_, .Lfunc_end88-_ZN2at6native16triu_tril_kernelIN3c107complexINS2_4HalfEEEiLb1ELi2ELb1EEEvNS_4cuda6detail10TensorInfoIT_T0_EENS8_IKS9_SA_EEllSA_
                                        ; -- End function
	.set _ZN2at6native16triu_tril_kernelIN3c107complexINS2_4HalfEEEiLb1ELi2ELb1EEEvNS_4cuda6detail10TensorInfoIT_T0_EENS8_IKS9_SA_EEllSA_.num_vgpr, 28
	.set _ZN2at6native16triu_tril_kernelIN3c107complexINS2_4HalfEEEiLb1ELi2ELb1EEEvNS_4cuda6detail10TensorInfoIT_T0_EENS8_IKS9_SA_EEllSA_.num_agpr, 0
	.set _ZN2at6native16triu_tril_kernelIN3c107complexINS2_4HalfEEEiLb1ELi2ELb1EEEvNS_4cuda6detail10TensorInfoIT_T0_EENS8_IKS9_SA_EEllSA_.numbered_sgpr, 68
	.set _ZN2at6native16triu_tril_kernelIN3c107complexINS2_4HalfEEEiLb1ELi2ELb1EEEvNS_4cuda6detail10TensorInfoIT_T0_EENS8_IKS9_SA_EEllSA_.num_named_barrier, 0
	.set _ZN2at6native16triu_tril_kernelIN3c107complexINS2_4HalfEEEiLb1ELi2ELb1EEEvNS_4cuda6detail10TensorInfoIT_T0_EENS8_IKS9_SA_EEllSA_.private_seg_size, 0
	.set _ZN2at6native16triu_tril_kernelIN3c107complexINS2_4HalfEEEiLb1ELi2ELb1EEEvNS_4cuda6detail10TensorInfoIT_T0_EENS8_IKS9_SA_EEllSA_.uses_vcc, 1
	.set _ZN2at6native16triu_tril_kernelIN3c107complexINS2_4HalfEEEiLb1ELi2ELb1EEEvNS_4cuda6detail10TensorInfoIT_T0_EENS8_IKS9_SA_EEllSA_.uses_flat_scratch, 0
	.set _ZN2at6native16triu_tril_kernelIN3c107complexINS2_4HalfEEEiLb1ELi2ELb1EEEvNS_4cuda6detail10TensorInfoIT_T0_EENS8_IKS9_SA_EEllSA_.has_dyn_sized_stack, 0
	.set _ZN2at6native16triu_tril_kernelIN3c107complexINS2_4HalfEEEiLb1ELi2ELb1EEEvNS_4cuda6detail10TensorInfoIT_T0_EENS8_IKS9_SA_EEllSA_.has_recursion, 0
	.set _ZN2at6native16triu_tril_kernelIN3c107complexINS2_4HalfEEEiLb1ELi2ELb1EEEvNS_4cuda6detail10TensorInfoIT_T0_EENS8_IKS9_SA_EEllSA_.has_indirect_call, 0
	.section	.AMDGPU.csdata,"",@progbits
; Kernel info:
; codeLenInByte = 9316
; TotalNumSgprs: 72
; NumVgprs: 28
; ScratchSize: 0
; MemoryBound: 0
; FloatMode: 240
; IeeeMode: 1
; LDSByteSize: 0 bytes/workgroup (compile time only)
; SGPRBlocks: 8
; VGPRBlocks: 6
; NumSGPRsForWavesPerEU: 72
; NumVGPRsForWavesPerEU: 28
; Occupancy: 9
; WaveLimiterHint : 0
; COMPUTE_PGM_RSRC2:SCRATCH_EN: 0
; COMPUTE_PGM_RSRC2:USER_SGPR: 6
; COMPUTE_PGM_RSRC2:TRAP_HANDLER: 0
; COMPUTE_PGM_RSRC2:TGID_X_EN: 1
; COMPUTE_PGM_RSRC2:TGID_Y_EN: 0
; COMPUTE_PGM_RSRC2:TGID_Z_EN: 0
; COMPUTE_PGM_RSRC2:TIDIG_COMP_CNT: 0
	.section	.text._ZN2at6native16triu_tril_kernelIN3c107complexINS2_4HalfEEEiLb1ELi2ELb0EEEvNS_4cuda6detail10TensorInfoIT_T0_EENS8_IKS9_SA_EEllSA_,"axG",@progbits,_ZN2at6native16triu_tril_kernelIN3c107complexINS2_4HalfEEEiLb1ELi2ELb0EEEvNS_4cuda6detail10TensorInfoIT_T0_EENS8_IKS9_SA_EEllSA_,comdat
	.protected	_ZN2at6native16triu_tril_kernelIN3c107complexINS2_4HalfEEEiLb1ELi2ELb0EEEvNS_4cuda6detail10TensorInfoIT_T0_EENS8_IKS9_SA_EEllSA_ ; -- Begin function _ZN2at6native16triu_tril_kernelIN3c107complexINS2_4HalfEEEiLb1ELi2ELb0EEEvNS_4cuda6detail10TensorInfoIT_T0_EENS8_IKS9_SA_EEllSA_
	.globl	_ZN2at6native16triu_tril_kernelIN3c107complexINS2_4HalfEEEiLb1ELi2ELb0EEEvNS_4cuda6detail10TensorInfoIT_T0_EENS8_IKS9_SA_EEllSA_
	.p2align	8
	.type	_ZN2at6native16triu_tril_kernelIN3c107complexINS2_4HalfEEEiLb1ELi2ELb0EEEvNS_4cuda6detail10TensorInfoIT_T0_EENS8_IKS9_SA_EEllSA_,@function
_ZN2at6native16triu_tril_kernelIN3c107complexINS2_4HalfEEEiLb1ELi2ELb0EEEvNS_4cuda6detail10TensorInfoIT_T0_EENS8_IKS9_SA_EEllSA_: ; @_ZN2at6native16triu_tril_kernelIN3c107complexINS2_4HalfEEEiLb1ELi2ELb0EEEvNS_4cuda6detail10TensorInfoIT_T0_EENS8_IKS9_SA_EEllSA_
; %bb.0:
	s_load_dword s2, s[4:5], 0x1d4
	s_load_dwordx4 s[8:11], s[4:5], 0x1b0
	s_add_u32 s0, s4, 0x1c8
	v_mov_b32_e32 v2, 0
	s_addc_u32 s1, s5, 0
	s_waitcnt lgkmcnt(0)
	s_and_b32 s12, s2, 0xffff
	v_mov_b32_e32 v1, v2
	v_mov_b32_e32 v3, s6
	v_mad_u64_u32 v[0:1], s[2:3], s12, v3, v[0:1]
	v_lshlrev_b64 v[0:1], 1, v[0:1]
	v_cmp_gt_i64_e32 vcc, s[10:11], v[0:1]
	s_and_saveexec_b64 s[2:3], vcc
	s_cbranch_execz .LBB89_48
; %bb.1:
	s_load_dword s33, s[4:5], 0x1c0
	s_load_dwordx2 s[2:3], s[4:5], 0xd8
	s_load_dwordx2 s[18:19], s[4:5], 0x0
	s_load_dword s20, s[4:5], 0x1a8
	s_load_dword s13, s[0:1], 0x0
	s_add_u32 s46, s4, 0xd8
	s_addc_u32 s47, s5, 0
	s_waitcnt lgkmcnt(0)
	s_ashr_i32 s48, s33, 31
	s_ashr_i32 s21, s20, 31
	s_lshl_b64 s[0:1], s[20:21], 2
	s_add_u32 s16, s46, s0
	s_addc_u32 s17, s47, s1
	s_load_dwordx2 s[6:7], s[16:17], 0x0
	s_load_dwordx2 s[14:15], s[16:17], 0x64
	s_mul_i32 s22, s13, s12
	v_cmp_gt_i64_e64 s[12:13], s[20:21], 2
	s_mov_b32 s21, 0
	s_waitcnt lgkmcnt(0)
	s_ashr_i32 s49, s6, 31
	s_add_u32 s0, s4, s0
	s_addc_u32 s1, s5, s1
	s_load_dwordx2 s[16:17], s[0:1], 0x64
	s_add_i32 s50, s20, -3
	s_lshl_b32 s51, s22, 1
	s_and_b32 s52, s20, 3
	s_cmp_lg_u32 s52, 2
	s_cselect_b64 s[22:23], -1, 0
	s_cmp_gt_u32 s50, 2
	s_cselect_b64 s[24:25], -1, 0
	s_ashr_i32 s27, s15, 31
	s_mov_b32 s26, s15
	s_waitcnt lgkmcnt(0)
	s_ashr_i32 s29, s17, 31
	s_mov_b32 s28, s17
	s_mov_b64 s[30:31], 0
	s_ashr_i32 s34, s48, 31
	s_branch .LBB89_3
.LBB89_2:                               ;   in Loop: Header=BB89_3 Depth=1
	s_or_b64 exec, exec, s[0:1]
	v_add_co_u32_e32 v0, vcc, s51, v0
	v_addc_co_u32_e32 v1, vcc, 0, v1, vcc
	v_cmp_le_i64_e32 vcc, s[10:11], v[0:1]
	s_or_b64 s[30:31], vcc, s[30:31]
	s_andn2_b64 exec, exec, s[30:31]
	s_cbranch_execz .LBB89_48
.LBB89_3:                               ; =>This Loop Header: Depth=1
                                        ;     Child Loop BB89_13 Depth 2
                                        ;     Child Loop BB89_21 Depth 2
	v_or_b32_e32 v3, s48, v1
	v_cmp_ne_u64_e32 vcc, 0, v[2:3]
                                        ; implicit-def: $vgpr4_vgpr5
	s_and_saveexec_b64 s[0:1], vcc
	s_xor_b64 s[36:37], exec, s[0:1]
	s_cbranch_execz .LBB89_5
; %bb.4:                                ;   in Loop: Header=BB89_3 Depth=1
	s_add_u32 s0, s33, s34
	s_mov_b32 s35, s34
	s_addc_u32 s1, s48, s34
	s_xor_b64 s[38:39], s[0:1], s[34:35]
	v_cvt_f32_u32_e32 v3, s38
	v_cvt_f32_u32_e32 v4, s39
	s_sub_u32 s15, 0, s38
	s_subb_u32 s17, 0, s39
	v_ashrrev_i32_e32 v7, 31, v1
	v_mac_f32_e32 v3, 0x4f800000, v4
	v_rcp_f32_e32 v3, v3
	v_mul_f32_e32 v3, 0x5f7ffffc, v3
	v_mul_f32_e32 v4, 0x2f800000, v3
	v_trunc_f32_e32 v4, v4
	v_mac_f32_e32 v3, 0xcf800000, v4
	v_cvt_u32_f32_e32 v4, v4
	v_cvt_u32_f32_e32 v3, v3
	v_readfirstlane_b32 s20, v4
	v_readfirstlane_b32 s0, v3
	s_mul_i32 s1, s15, s20
	s_mul_hi_u32 s40, s15, s0
	s_mul_i32 s35, s17, s0
	s_add_i32 s1, s40, s1
	s_add_i32 s1, s1, s35
	s_mul_i32 s41, s15, s0
	s_mul_i32 s40, s0, s1
	s_mul_hi_u32 s42, s0, s41
	s_mul_hi_u32 s35, s0, s1
	s_add_u32 s40, s42, s40
	s_addc_u32 s35, 0, s35
	s_mul_hi_u32 s43, s20, s41
	s_mul_i32 s41, s20, s41
	s_add_u32 s40, s40, s41
	s_mul_hi_u32 s42, s20, s1
	s_addc_u32 s35, s35, s43
	s_addc_u32 s40, s42, 0
	s_mul_i32 s1, s20, s1
	s_add_u32 s1, s35, s1
	s_addc_u32 s35, 0, s40
	s_add_u32 s40, s0, s1
	s_cselect_b64 s[0:1], -1, 0
	s_cmp_lg_u64 s[0:1], 0
	s_addc_u32 s20, s20, s35
	s_mul_i32 s0, s15, s20
	s_mul_hi_u32 s1, s15, s40
	s_add_i32 s0, s1, s0
	s_mul_i32 s17, s17, s40
	s_add_i32 s0, s0, s17
	s_mul_i32 s15, s15, s40
	s_mul_hi_u32 s17, s20, s15
	s_mul_i32 s35, s20, s15
	s_mul_i32 s42, s40, s0
	s_mul_hi_u32 s15, s40, s15
	s_mul_hi_u32 s41, s40, s0
	s_add_u32 s15, s15, s42
	s_addc_u32 s41, 0, s41
	s_add_u32 s15, s15, s35
	s_mul_hi_u32 s1, s20, s0
	s_addc_u32 s15, s41, s17
	s_addc_u32 s1, s1, 0
	s_mul_i32 s0, s20, s0
	s_add_u32 s0, s15, s0
	s_addc_u32 s15, 0, s1
	s_add_u32 s17, s40, s0
	s_cselect_b64 s[0:1], -1, 0
	s_cmp_lg_u64 s[0:1], 0
	v_add_co_u32_e32 v3, vcc, v0, v7
	s_addc_u32 s15, s20, s15
	v_xor_b32_e32 v8, v3, v7
	v_mad_u64_u32 v[3:4], s[0:1], v8, s15, 0
	v_mul_hi_u32 v6, v8, s17
	v_addc_co_u32_e32 v5, vcc, v1, v7, vcc
	v_xor_b32_e32 v9, v5, v7
	v_add_co_u32_e32 v10, vcc, v6, v3
	v_addc_co_u32_e32 v11, vcc, 0, v4, vcc
	v_mad_u64_u32 v[3:4], s[0:1], v9, s17, 0
	v_mad_u64_u32 v[5:6], s[0:1], v9, s15, 0
	v_add_co_u32_e32 v3, vcc, v10, v3
	v_addc_co_u32_e32 v3, vcc, v11, v4, vcc
	v_addc_co_u32_e32 v4, vcc, 0, v6, vcc
	v_add_co_u32_e32 v5, vcc, v3, v5
	v_addc_co_u32_e32 v6, vcc, 0, v4, vcc
	v_mul_lo_u32 v10, s39, v5
	v_mul_lo_u32 v11, s38, v6
	v_mad_u64_u32 v[3:4], s[0:1], s38, v5, 0
	v_add3_u32 v4, v4, v11, v10
	v_sub_u32_e32 v10, v9, v4
	v_mov_b32_e32 v11, s39
	v_sub_co_u32_e32 v3, vcc, v8, v3
	v_subb_co_u32_e64 v8, s[0:1], v10, v11, vcc
	v_subrev_co_u32_e64 v10, s[0:1], s38, v3
	v_subbrev_co_u32_e64 v8, s[0:1], 0, v8, s[0:1]
	v_cmp_le_u32_e64 s[0:1], s39, v8
	v_cndmask_b32_e64 v11, 0, -1, s[0:1]
	v_cmp_le_u32_e64 s[0:1], s38, v10
	v_cndmask_b32_e64 v10, 0, -1, s[0:1]
	v_cmp_eq_u32_e64 s[0:1], s39, v8
	v_cndmask_b32_e64 v8, v11, v10, s[0:1]
	v_add_co_u32_e64 v10, s[0:1], 2, v5
	v_subb_co_u32_e32 v4, vcc, v9, v4, vcc
	v_addc_co_u32_e64 v11, s[0:1], 0, v6, s[0:1]
	v_cmp_le_u32_e32 vcc, s39, v4
	v_add_co_u32_e64 v12, s[0:1], 1, v5
	v_cndmask_b32_e64 v9, 0, -1, vcc
	v_cmp_le_u32_e32 vcc, s38, v3
	v_addc_co_u32_e64 v13, s[0:1], 0, v6, s[0:1]
	v_cndmask_b32_e64 v3, 0, -1, vcc
	v_cmp_eq_u32_e32 vcc, s39, v4
	v_cmp_ne_u32_e64 s[0:1], 0, v8
	v_cndmask_b32_e32 v3, v9, v3, vcc
	v_cmp_ne_u32_e32 vcc, 0, v3
	v_cndmask_b32_e64 v4, v12, v10, s[0:1]
	v_cndmask_b32_e64 v8, v13, v11, s[0:1]
	v_cndmask_b32_e32 v4, v5, v4, vcc
	v_xor_b32_e32 v5, s34, v7
	v_cndmask_b32_e32 v3, v6, v8, vcc
	v_xor_b32_e32 v4, v4, v5
	v_xor_b32_e32 v3, v3, v5
	v_sub_co_u32_e32 v4, vcc, v4, v5
	v_subb_co_u32_e32 v5, vcc, v3, v5, vcc
.LBB89_5:                               ;   in Loop: Header=BB89_3 Depth=1
	s_andn2_saveexec_b64 s[0:1], s[36:37]
	s_cbranch_execz .LBB89_7
; %bb.6:                                ;   in Loop: Header=BB89_3 Depth=1
	v_cvt_f32_u32_e32 v3, s33
	s_sub_i32 s15, 0, s33
	v_rcp_iflag_f32_e32 v3, v3
	v_mul_f32_e32 v3, 0x4f7ffffe, v3
	v_cvt_u32_f32_e32 v3, v3
	v_mul_lo_u32 v4, s15, v3
	v_mul_hi_u32 v4, v3, v4
	v_add_u32_e32 v3, v3, v4
	v_mul_hi_u32 v3, v0, v3
	v_mul_lo_u32 v4, v3, s33
	v_add_u32_e32 v5, 1, v3
	v_sub_u32_e32 v4, v0, v4
	v_subrev_u32_e32 v6, s33, v4
	v_cmp_le_u32_e32 vcc, s33, v4
	v_cndmask_b32_e32 v4, v4, v6, vcc
	v_cndmask_b32_e32 v3, v3, v5, vcc
	v_add_u32_e32 v5, 1, v3
	v_cmp_le_u32_e32 vcc, s33, v4
	v_cndmask_b32_e32 v4, v3, v5, vcc
	v_mov_b32_e32 v5, v2
.LBB89_7:                               ;   in Loop: Header=BB89_3 Depth=1
	s_or_b64 exec, exec, s[0:1]
	v_or_b32_e32 v3, s49, v5
	v_cmp_ne_u64_e32 vcc, 0, v[2:3]
                                        ; implicit-def: $vgpr8_vgpr9
	s_and_saveexec_b64 s[0:1], vcc
	s_xor_b64 s[36:37], exec, s[0:1]
	s_cbranch_execz .LBB89_9
; %bb.8:                                ;   in Loop: Header=BB89_3 Depth=1
	s_ashr_i32 s38, s49, 31
	s_add_u32 s0, s6, s38
	s_mov_b32 s39, s38
	s_addc_u32 s1, s49, s38
	s_xor_b64 s[40:41], s[0:1], s[38:39]
	v_cvt_f32_u32_e32 v3, s40
	v_cvt_f32_u32_e32 v6, s41
	s_sub_u32 s15, 0, s40
	s_subb_u32 s17, 0, s41
	v_mac_f32_e32 v3, 0x4f800000, v6
	v_rcp_f32_e32 v3, v3
	v_mul_f32_e32 v3, 0x5f7ffffc, v3
	v_mul_f32_e32 v6, 0x2f800000, v3
	v_trunc_f32_e32 v6, v6
	v_mac_f32_e32 v3, 0xcf800000, v6
	v_cvt_u32_f32_e32 v6, v6
	v_cvt_u32_f32_e32 v3, v3
	v_readfirstlane_b32 s20, v6
	v_readfirstlane_b32 s0, v3
	s_mul_i32 s1, s15, s20
	s_mul_hi_u32 s39, s15, s0
	s_mul_i32 s35, s17, s0
	s_add_i32 s1, s39, s1
	s_add_i32 s1, s1, s35
	s_mul_i32 s42, s15, s0
	s_mul_i32 s39, s0, s1
	s_mul_hi_u32 s43, s0, s42
	s_mul_hi_u32 s35, s0, s1
	s_add_u32 s39, s43, s39
	s_addc_u32 s35, 0, s35
	s_mul_hi_u32 s44, s20, s42
	s_mul_i32 s42, s20, s42
	s_add_u32 s39, s39, s42
	s_mul_hi_u32 s43, s20, s1
	s_addc_u32 s35, s35, s44
	s_addc_u32 s39, s43, 0
	s_mul_i32 s1, s20, s1
	s_add_u32 s1, s35, s1
	s_addc_u32 s35, 0, s39
	s_add_u32 s39, s0, s1
	s_cselect_b64 s[0:1], -1, 0
	s_cmp_lg_u64 s[0:1], 0
	s_addc_u32 s20, s20, s35
	s_mul_i32 s0, s15, s20
	s_mul_hi_u32 s1, s15, s39
	s_add_i32 s0, s1, s0
	s_mul_i32 s17, s17, s39
	s_add_i32 s0, s0, s17
	s_mul_i32 s15, s15, s39
	s_mul_hi_u32 s17, s20, s15
	s_mul_i32 s35, s20, s15
	s_mul_i32 s43, s39, s0
	s_mul_hi_u32 s15, s39, s15
	s_mul_hi_u32 s42, s39, s0
	s_add_u32 s15, s15, s43
	s_addc_u32 s42, 0, s42
	s_add_u32 s15, s15, s35
	s_mul_hi_u32 s1, s20, s0
	s_addc_u32 s15, s42, s17
	s_addc_u32 s1, s1, 0
	s_mul_i32 s0, s20, s0
	s_add_u32 s0, s15, s0
	s_addc_u32 s15, 0, s1
	s_add_u32 s17, s39, s0
	s_cselect_b64 s[0:1], -1, 0
	v_ashrrev_i32_e32 v3, 31, v5
	s_cmp_lg_u64 s[0:1], 0
	v_add_co_u32_e32 v6, vcc, v4, v3
	s_addc_u32 s15, s20, s15
	v_xor_b32_e32 v9, v6, v3
	v_addc_co_u32_e32 v7, vcc, v5, v3, vcc
	v_mad_u64_u32 v[5:6], s[0:1], v9, s15, 0
	v_mul_hi_u32 v8, v9, s17
	v_xor_b32_e32 v10, v7, v3
	v_xor_b32_e32 v3, s38, v3
	v_add_co_u32_e32 v11, vcc, v8, v5
	v_addc_co_u32_e32 v12, vcc, 0, v6, vcc
	v_mad_u64_u32 v[5:6], s[0:1], v10, s17, 0
	v_mad_u64_u32 v[7:8], s[0:1], v10, s15, 0
	v_add_co_u32_e32 v5, vcc, v11, v5
	v_addc_co_u32_e32 v5, vcc, v12, v6, vcc
	v_addc_co_u32_e32 v6, vcc, 0, v8, vcc
	v_add_co_u32_e32 v7, vcc, v5, v7
	v_addc_co_u32_e32 v8, vcc, 0, v6, vcc
	v_mul_lo_u32 v11, s41, v7
	v_mul_lo_u32 v12, s40, v8
	v_mad_u64_u32 v[5:6], s[0:1], s40, v7, 0
	v_add3_u32 v6, v6, v12, v11
	v_sub_u32_e32 v11, v10, v6
	v_mov_b32_e32 v12, s41
	v_sub_co_u32_e32 v5, vcc, v9, v5
	v_subb_co_u32_e64 v9, s[0:1], v11, v12, vcc
	v_subrev_co_u32_e64 v11, s[0:1], s40, v5
	v_subbrev_co_u32_e64 v9, s[0:1], 0, v9, s[0:1]
	v_cmp_le_u32_e64 s[0:1], s41, v9
	v_cndmask_b32_e64 v12, 0, -1, s[0:1]
	v_cmp_le_u32_e64 s[0:1], s40, v11
	v_cndmask_b32_e64 v11, 0, -1, s[0:1]
	v_cmp_eq_u32_e64 s[0:1], s41, v9
	v_cndmask_b32_e64 v9, v12, v11, s[0:1]
	v_add_co_u32_e64 v11, s[0:1], 2, v7
	v_subb_co_u32_e32 v6, vcc, v10, v6, vcc
	v_addc_co_u32_e64 v12, s[0:1], 0, v8, s[0:1]
	v_cmp_le_u32_e32 vcc, s41, v6
	v_add_co_u32_e64 v13, s[0:1], 1, v7
	v_cndmask_b32_e64 v10, 0, -1, vcc
	v_cmp_le_u32_e32 vcc, s40, v5
	v_addc_co_u32_e64 v14, s[0:1], 0, v8, s[0:1]
	v_cndmask_b32_e64 v5, 0, -1, vcc
	v_cmp_eq_u32_e32 vcc, s41, v6
	v_cmp_ne_u32_e64 s[0:1], 0, v9
	v_cndmask_b32_e32 v5, v10, v5, vcc
	v_cmp_ne_u32_e32 vcc, 0, v5
	v_cndmask_b32_e64 v6, v13, v11, s[0:1]
	v_cndmask_b32_e64 v9, v14, v12, s[0:1]
	v_cndmask_b32_e32 v6, v7, v6, vcc
	v_cndmask_b32_e32 v5, v8, v9, vcc
	v_xor_b32_e32 v6, v6, v3
	v_xor_b32_e32 v5, v5, v3
	v_sub_co_u32_e32 v8, vcc, v6, v3
	v_subb_co_u32_e32 v9, vcc, v5, v3, vcc
.LBB89_9:                               ;   in Loop: Header=BB89_3 Depth=1
	s_andn2_saveexec_b64 s[0:1], s[36:37]
	s_cbranch_execz .LBB89_11
; %bb.10:                               ;   in Loop: Header=BB89_3 Depth=1
	v_cvt_f32_u32_e32 v3, s6
	s_sub_i32 s15, 0, s6
	v_mov_b32_e32 v9, v2
	v_rcp_iflag_f32_e32 v3, v3
	v_mul_f32_e32 v3, 0x4f7ffffe, v3
	v_cvt_u32_f32_e32 v3, v3
	v_mul_lo_u32 v5, s15, v3
	v_mul_hi_u32 v5, v3, v5
	v_add_u32_e32 v3, v3, v5
	v_mul_hi_u32 v3, v4, v3
	v_mul_lo_u32 v5, v3, s6
	v_add_u32_e32 v6, 1, v3
	v_sub_u32_e32 v5, v4, v5
	v_subrev_u32_e32 v7, s6, v5
	v_cmp_le_u32_e32 vcc, s6, v5
	v_cndmask_b32_e32 v5, v5, v7, vcc
	v_cndmask_b32_e32 v3, v3, v6, vcc
	v_add_u32_e32 v6, 1, v3
	v_cmp_le_u32_e32 vcc, s6, v5
	v_cndmask_b32_e32 v8, v3, v6, vcc
.LBB89_11:                              ;   in Loop: Header=BB89_3 Depth=1
	s_or_b64 exec, exec, s[0:1]
	v_mad_u64_u32 v[5:6], s[0:1], v4, s33, 0
	v_mad_u64_u32 v[6:7], s[0:1], v8, s6, 0
	v_sub_co_u32_e32 v18, vcc, v0, v5
	v_mul_lo_u32 v3, s26, v18
	v_sub_co_u32_e32 v19, vcc, v4, v6
	v_mul_lo_u32 v4, s28, v18
	s_andn2_b64 vcc, exec, s[12:13]
	v_mad_u64_u32 v[6:7], s[0:1], s14, v19, v[3:4]
	v_mad_u64_u32 v[4:5], s[0:1], s16, v19, v[4:5]
	s_cbranch_vccnz .LBB89_39
; %bb.12:                               ;   in Loop: Header=BB89_3 Depth=1
	s_mov_b32 s15, 1
	s_andn2_b64 vcc, exec, s[22:23]
	s_mov_b32 s20, s50
	s_mov_b32 s0, s50
	s_cbranch_vccnz .LBB89_20
.LBB89_13:                              ;   Parent Loop BB89_3 Depth=1
                                        ; =>  This Inner Loop Header: Depth=2
	s_lshl_b64 s[36:37], s[20:21], 2
	s_add_u32 s38, s46, s36
	s_addc_u32 s39, s47, s37
	s_load_dword s17, s[38:39], 0x8
                                        ; implicit-def: $vgpr10_vgpr11
	s_waitcnt lgkmcnt(0)
	s_ashr_i32 s0, s17, 31
	v_or_b32_e32 v3, s0, v9
	v_cmp_ne_u64_e32 vcc, 0, v[2:3]
	s_and_saveexec_b64 s[40:41], vcc
	s_xor_b64 s[40:41], exec, s[40:41]
	s_cbranch_execz .LBB89_15
; %bb.14:                               ;   in Loop: Header=BB89_13 Depth=2
	s_ashr_i32 s42, s0, 31
	s_add_u32 s44, s17, s42
	s_mov_b32 s43, s42
	s_addc_u32 s45, s0, s42
	s_xor_b64 s[44:45], s[44:45], s[42:43]
	v_cvt_f32_u32_e32 v3, s44
	v_cvt_f32_u32_e32 v5, s45
	s_sub_u32 s35, 0, s44
	s_subb_u32 s43, 0, s45
	v_mac_f32_e32 v3, 0x4f800000, v5
	v_rcp_f32_e32 v3, v3
	v_mul_f32_e32 v3, 0x5f7ffffc, v3
	v_mul_f32_e32 v5, 0x2f800000, v3
	v_trunc_f32_e32 v5, v5
	v_mac_f32_e32 v3, 0xcf800000, v5
	v_cvt_u32_f32_e32 v5, v5
	v_cvt_u32_f32_e32 v3, v3
	v_readfirstlane_b32 s53, v5
	v_readfirstlane_b32 s0, v3
	s_mul_i32 s1, s35, s53
	s_mul_hi_u32 s55, s35, s0
	s_mul_i32 s54, s43, s0
	s_add_i32 s1, s55, s1
	s_add_i32 s1, s1, s54
	s_mul_i32 s56, s35, s0
	s_mul_i32 s55, s0, s1
	s_mul_hi_u32 s57, s0, s56
	s_mul_hi_u32 s54, s0, s1
	s_add_u32 s55, s57, s55
	s_addc_u32 s54, 0, s54
	s_mul_hi_u32 s58, s53, s56
	s_mul_i32 s56, s53, s56
	s_add_u32 s55, s55, s56
	s_mul_hi_u32 s57, s53, s1
	s_addc_u32 s54, s54, s58
	s_addc_u32 s55, s57, 0
	s_mul_i32 s1, s53, s1
	s_add_u32 s1, s54, s1
	s_addc_u32 s54, 0, s55
	s_add_u32 s55, s0, s1
	s_cselect_b64 s[0:1], -1, 0
	s_cmp_lg_u64 s[0:1], 0
	s_addc_u32 s53, s53, s54
	s_mul_i32 s0, s35, s53
	s_mul_hi_u32 s1, s35, s55
	s_add_i32 s0, s1, s0
	s_mul_i32 s43, s43, s55
	s_add_i32 s0, s0, s43
	s_mul_i32 s35, s35, s55
	s_mul_hi_u32 s43, s53, s35
	s_mul_i32 s54, s53, s35
	s_mul_i32 s57, s55, s0
	s_mul_hi_u32 s35, s55, s35
	s_mul_hi_u32 s56, s55, s0
	s_add_u32 s35, s35, s57
	s_addc_u32 s56, 0, s56
	s_add_u32 s35, s35, s54
	s_mul_hi_u32 s1, s53, s0
	s_addc_u32 s35, s56, s43
	s_addc_u32 s1, s1, 0
	s_mul_i32 s0, s53, s0
	s_add_u32 s0, s35, s0
	s_addc_u32 s35, 0, s1
	s_add_u32 s43, s55, s0
	s_cselect_b64 s[0:1], -1, 0
	v_ashrrev_i32_e32 v3, 31, v9
	s_cmp_lg_u64 s[0:1], 0
	v_add_co_u32_e32 v5, vcc, v8, v3
	s_addc_u32 s35, s53, s35
	v_xor_b32_e32 v5, v5, v3
	v_addc_co_u32_e32 v7, vcc, v9, v3, vcc
	v_mad_u64_u32 v[9:10], s[0:1], v5, s35, 0
	v_mul_hi_u32 v11, v5, s43
	v_xor_b32_e32 v7, v7, v3
	v_xor_b32_e32 v3, s42, v3
	v_add_co_u32_e32 v13, vcc, v11, v9
	v_addc_co_u32_e32 v14, vcc, 0, v10, vcc
	v_mad_u64_u32 v[9:10], s[0:1], v7, s43, 0
	v_mad_u64_u32 v[11:12], s[0:1], v7, s35, 0
	v_add_co_u32_e32 v9, vcc, v13, v9
	v_addc_co_u32_e32 v9, vcc, v14, v10, vcc
	v_addc_co_u32_e32 v10, vcc, 0, v12, vcc
	v_add_co_u32_e32 v11, vcc, v9, v11
	v_addc_co_u32_e32 v12, vcc, 0, v10, vcc
	v_mul_lo_u32 v13, s45, v11
	v_mul_lo_u32 v14, s44, v12
	v_mad_u64_u32 v[9:10], s[0:1], s44, v11, 0
	v_add3_u32 v10, v10, v14, v13
	v_sub_u32_e32 v13, v7, v10
	v_mov_b32_e32 v14, s45
	v_sub_co_u32_e32 v5, vcc, v5, v9
	v_subb_co_u32_e64 v9, s[0:1], v13, v14, vcc
	v_subrev_co_u32_e64 v13, s[0:1], s44, v5
	v_subbrev_co_u32_e64 v9, s[0:1], 0, v9, s[0:1]
	v_cmp_le_u32_e64 s[0:1], s45, v9
	v_cndmask_b32_e64 v14, 0, -1, s[0:1]
	v_cmp_le_u32_e64 s[0:1], s44, v13
	v_cndmask_b32_e64 v13, 0, -1, s[0:1]
	v_cmp_eq_u32_e64 s[0:1], s45, v9
	v_cndmask_b32_e64 v9, v14, v13, s[0:1]
	v_add_co_u32_e64 v13, s[0:1], 2, v11
	v_subb_co_u32_e32 v7, vcc, v7, v10, vcc
	v_addc_co_u32_e64 v14, s[0:1], 0, v12, s[0:1]
	v_cmp_le_u32_e32 vcc, s45, v7
	v_add_co_u32_e64 v15, s[0:1], 1, v11
	v_cndmask_b32_e64 v10, 0, -1, vcc
	v_cmp_le_u32_e32 vcc, s44, v5
	v_addc_co_u32_e64 v16, s[0:1], 0, v12, s[0:1]
	v_cndmask_b32_e64 v5, 0, -1, vcc
	v_cmp_eq_u32_e32 vcc, s45, v7
	v_cmp_ne_u32_e64 s[0:1], 0, v9
	v_cndmask_b32_e32 v5, v10, v5, vcc
	v_cmp_ne_u32_e32 vcc, 0, v5
	v_cndmask_b32_e64 v7, v15, v13, s[0:1]
	v_cndmask_b32_e64 v9, v16, v14, s[0:1]
	v_cndmask_b32_e32 v7, v11, v7, vcc
	v_cndmask_b32_e32 v5, v12, v9, vcc
	v_xor_b32_e32 v7, v7, v3
	v_xor_b32_e32 v5, v5, v3
	v_sub_co_u32_e32 v10, vcc, v7, v3
	v_subb_co_u32_e32 v11, vcc, v5, v3, vcc
.LBB89_15:                              ;   in Loop: Header=BB89_13 Depth=2
	s_andn2_saveexec_b64 s[0:1], s[40:41]
	s_cbranch_execz .LBB89_17
; %bb.16:                               ;   in Loop: Header=BB89_13 Depth=2
	v_cvt_f32_u32_e32 v3, s17
	s_sub_i32 s35, 0, s17
	v_mov_b32_e32 v11, v2
	v_rcp_iflag_f32_e32 v3, v3
	v_mul_f32_e32 v3, 0x4f7ffffe, v3
	v_cvt_u32_f32_e32 v3, v3
	v_mul_lo_u32 v5, s35, v3
	v_mul_hi_u32 v5, v3, v5
	v_add_u32_e32 v3, v3, v5
	v_mul_hi_u32 v3, v8, v3
	v_mul_lo_u32 v5, v3, s17
	v_add_u32_e32 v7, 1, v3
	v_sub_u32_e32 v5, v8, v5
	v_subrev_u32_e32 v9, s17, v5
	v_cmp_le_u32_e32 vcc, s17, v5
	v_cndmask_b32_e32 v5, v5, v9, vcc
	v_cndmask_b32_e32 v3, v3, v7, vcc
	v_add_u32_e32 v7, 1, v3
	v_cmp_le_u32_e32 vcc, s17, v5
	v_cndmask_b32_e32 v10, v3, v7, vcc
.LBB89_17:                              ;   in Loop: Header=BB89_13 Depth=2
	s_or_b64 exec, exec, s[0:1]
	s_add_u32 s0, s4, s36
	s_addc_u32 s1, s5, s37
	v_mul_lo_u32 v3, v10, s17
	s_load_dword s17, s[38:39], 0x6c
	s_load_dword s35, s[0:1], 0x6c
	s_add_i32 s20, s20, -1
	v_sub_u32_e32 v3, v8, v3
	s_waitcnt lgkmcnt(0)
	v_mad_u64_u32 v[6:7], s[0:1], s17, v3, v[6:7]
	v_mad_u64_u32 v[4:5], s[0:1], s35, v3, v[4:5]
	s_xor_b32 s0, s52, s15
	s_add_i32 s15, s15, 1
	s_cmp_lg_u32 s0, 2
	s_cbranch_scc0 .LBB89_19
; %bb.18:                               ;   in Loop: Header=BB89_13 Depth=2
	v_mov_b32_e32 v8, v10
	v_mov_b32_e32 v9, v11
	s_branch .LBB89_13
.LBB89_19:                              ;   in Loop: Header=BB89_3 Depth=1
	v_mov_b32_e32 v8, v10
	s_mov_b32 s0, s20
	v_mov_b32_e32 v9, v11
.LBB89_20:                              ;   in Loop: Header=BB89_3 Depth=1
	s_and_b64 vcc, exec, s[24:25]
	s_mov_b32 s20, s0
	s_cbranch_vccz .LBB89_39
.LBB89_21:                              ;   Parent Loop BB89_3 Depth=1
                                        ; =>  This Inner Loop Header: Depth=2
	s_lshl_b64 s[36:37], s[20:21], 2
	s_add_u32 s38, s46, s36
	s_addc_u32 s39, s47, s37
	s_load_dword s15, s[38:39], 0x8
                                        ; implicit-def: $vgpr10_vgpr11
	s_waitcnt lgkmcnt(0)
	s_ashr_i32 s0, s15, 31
	v_or_b32_e32 v3, s0, v9
	v_cmp_ne_u64_e32 vcc, 0, v[2:3]
	s_and_saveexec_b64 s[40:41], vcc
	s_xor_b64 s[40:41], exec, s[40:41]
	s_cbranch_execz .LBB89_23
; %bb.22:                               ;   in Loop: Header=BB89_21 Depth=2
	s_ashr_i32 s42, s0, 31
	s_add_u32 s44, s15, s42
	s_mov_b32 s43, s42
	s_addc_u32 s45, s0, s42
	s_xor_b64 s[44:45], s[44:45], s[42:43]
	v_cvt_f32_u32_e32 v3, s44
	v_cvt_f32_u32_e32 v5, s45
	s_sub_u32 s17, 0, s44
	s_subb_u32 s35, 0, s45
	v_mac_f32_e32 v3, 0x4f800000, v5
	v_rcp_f32_e32 v3, v3
	v_mul_f32_e32 v3, 0x5f7ffffc, v3
	v_mul_f32_e32 v5, 0x2f800000, v3
	v_trunc_f32_e32 v5, v5
	v_mac_f32_e32 v3, 0xcf800000, v5
	v_cvt_u32_f32_e32 v5, v5
	v_cvt_u32_f32_e32 v3, v3
	v_readfirstlane_b32 s43, v5
	v_readfirstlane_b32 s0, v3
	s_mul_i32 s1, s17, s43
	s_mul_hi_u32 s54, s17, s0
	s_mul_i32 s53, s35, s0
	s_add_i32 s1, s54, s1
	s_add_i32 s1, s1, s53
	s_mul_i32 s55, s17, s0
	s_mul_i32 s54, s0, s1
	s_mul_hi_u32 s56, s0, s55
	s_mul_hi_u32 s53, s0, s1
	s_add_u32 s54, s56, s54
	s_addc_u32 s53, 0, s53
	s_mul_hi_u32 s57, s43, s55
	s_mul_i32 s55, s43, s55
	s_add_u32 s54, s54, s55
	s_mul_hi_u32 s56, s43, s1
	s_addc_u32 s53, s53, s57
	s_addc_u32 s54, s56, 0
	s_mul_i32 s1, s43, s1
	s_add_u32 s1, s53, s1
	s_addc_u32 s53, 0, s54
	s_add_u32 s54, s0, s1
	s_cselect_b64 s[0:1], -1, 0
	s_cmp_lg_u64 s[0:1], 0
	s_addc_u32 s43, s43, s53
	s_mul_i32 s0, s17, s43
	s_mul_hi_u32 s1, s17, s54
	s_add_i32 s0, s1, s0
	s_mul_i32 s35, s35, s54
	s_add_i32 s0, s0, s35
	s_mul_i32 s17, s17, s54
	s_mul_hi_u32 s35, s43, s17
	s_mul_i32 s53, s43, s17
	s_mul_i32 s56, s54, s0
	s_mul_hi_u32 s17, s54, s17
	s_mul_hi_u32 s55, s54, s0
	s_add_u32 s17, s17, s56
	s_addc_u32 s55, 0, s55
	s_add_u32 s17, s17, s53
	s_mul_hi_u32 s1, s43, s0
	s_addc_u32 s17, s55, s35
	s_addc_u32 s1, s1, 0
	s_mul_i32 s0, s43, s0
	s_add_u32 s0, s17, s0
	s_addc_u32 s17, 0, s1
	s_add_u32 s35, s54, s0
	s_cselect_b64 s[0:1], -1, 0
	v_ashrrev_i32_e32 v3, 31, v9
	s_cmp_lg_u64 s[0:1], 0
	v_add_co_u32_e32 v5, vcc, v8, v3
	s_addc_u32 s17, s43, s17
	v_xor_b32_e32 v5, v5, v3
	v_addc_co_u32_e32 v7, vcc, v9, v3, vcc
	v_mad_u64_u32 v[9:10], s[0:1], v5, s17, 0
	v_mul_hi_u32 v11, v5, s35
	v_xor_b32_e32 v7, v7, v3
	v_xor_b32_e32 v3, s42, v3
	v_add_co_u32_e32 v13, vcc, v11, v9
	v_addc_co_u32_e32 v14, vcc, 0, v10, vcc
	v_mad_u64_u32 v[9:10], s[0:1], v7, s35, 0
	v_mad_u64_u32 v[11:12], s[0:1], v7, s17, 0
	v_add_co_u32_e32 v9, vcc, v13, v9
	v_addc_co_u32_e32 v9, vcc, v14, v10, vcc
	v_addc_co_u32_e32 v10, vcc, 0, v12, vcc
	v_add_co_u32_e32 v11, vcc, v9, v11
	v_addc_co_u32_e32 v12, vcc, 0, v10, vcc
	v_mul_lo_u32 v13, s45, v11
	v_mul_lo_u32 v14, s44, v12
	v_mad_u64_u32 v[9:10], s[0:1], s44, v11, 0
	v_add3_u32 v10, v10, v14, v13
	v_sub_u32_e32 v13, v7, v10
	v_mov_b32_e32 v14, s45
	v_sub_co_u32_e32 v5, vcc, v5, v9
	v_subb_co_u32_e64 v9, s[0:1], v13, v14, vcc
	v_subrev_co_u32_e64 v13, s[0:1], s44, v5
	v_subbrev_co_u32_e64 v9, s[0:1], 0, v9, s[0:1]
	v_cmp_le_u32_e64 s[0:1], s45, v9
	v_cndmask_b32_e64 v14, 0, -1, s[0:1]
	v_cmp_le_u32_e64 s[0:1], s44, v13
	v_cndmask_b32_e64 v13, 0, -1, s[0:1]
	v_cmp_eq_u32_e64 s[0:1], s45, v9
	v_cndmask_b32_e64 v9, v14, v13, s[0:1]
	v_add_co_u32_e64 v13, s[0:1], 2, v11
	v_subb_co_u32_e32 v7, vcc, v7, v10, vcc
	v_addc_co_u32_e64 v14, s[0:1], 0, v12, s[0:1]
	v_cmp_le_u32_e32 vcc, s45, v7
	v_add_co_u32_e64 v15, s[0:1], 1, v11
	v_cndmask_b32_e64 v10, 0, -1, vcc
	v_cmp_le_u32_e32 vcc, s44, v5
	v_addc_co_u32_e64 v16, s[0:1], 0, v12, s[0:1]
	v_cndmask_b32_e64 v5, 0, -1, vcc
	v_cmp_eq_u32_e32 vcc, s45, v7
	v_cmp_ne_u32_e64 s[0:1], 0, v9
	v_cndmask_b32_e32 v5, v10, v5, vcc
	v_cmp_ne_u32_e32 vcc, 0, v5
	v_cndmask_b32_e64 v7, v15, v13, s[0:1]
	v_cndmask_b32_e64 v9, v16, v14, s[0:1]
	v_cndmask_b32_e32 v7, v11, v7, vcc
	v_cndmask_b32_e32 v5, v12, v9, vcc
	v_xor_b32_e32 v7, v7, v3
	v_xor_b32_e32 v5, v5, v3
	v_sub_co_u32_e32 v10, vcc, v7, v3
	v_subb_co_u32_e32 v11, vcc, v5, v3, vcc
.LBB89_23:                              ;   in Loop: Header=BB89_21 Depth=2
	s_andn2_saveexec_b64 s[0:1], s[40:41]
	s_cbranch_execz .LBB89_25
; %bb.24:                               ;   in Loop: Header=BB89_21 Depth=2
	v_cvt_f32_u32_e32 v3, s15
	s_sub_i32 s17, 0, s15
	v_mov_b32_e32 v11, v2
	v_rcp_iflag_f32_e32 v3, v3
	v_mul_f32_e32 v3, 0x4f7ffffe, v3
	v_cvt_u32_f32_e32 v3, v3
	v_mul_lo_u32 v5, s17, v3
	v_mul_hi_u32 v5, v3, v5
	v_add_u32_e32 v3, v3, v5
	v_mul_hi_u32 v3, v8, v3
	v_mul_lo_u32 v5, v3, s15
	v_add_u32_e32 v7, 1, v3
	v_sub_u32_e32 v5, v8, v5
	v_subrev_u32_e32 v9, s15, v5
	v_cmp_le_u32_e32 vcc, s15, v5
	v_cndmask_b32_e32 v5, v5, v9, vcc
	v_cndmask_b32_e32 v3, v3, v7, vcc
	v_add_u32_e32 v7, 1, v3
	v_cmp_le_u32_e32 vcc, s15, v5
	v_cndmask_b32_e32 v10, v3, v7, vcc
.LBB89_25:                              ;   in Loop: Header=BB89_21 Depth=2
	s_or_b64 exec, exec, s[0:1]
	s_add_u32 s0, s4, s36
	s_addc_u32 s1, s5, s37
	s_add_i32 s36, s20, -1
	s_mov_b32 s37, s21
	s_lshl_b64 s[40:41], s[36:37], 2
	s_add_u32 s36, s46, s40
	s_addc_u32 s37, s47, s41
	s_load_dword s53, s[36:37], 0x8
	s_load_dword s35, s[38:39], 0x6c
	;; [unrolled: 1-line block ×3, first 2 shown]
                                        ; implicit-def: $vgpr12_vgpr13
	s_waitcnt lgkmcnt(0)
	s_ashr_i32 s0, s53, 31
	v_or_b32_e32 v3, s0, v11
	v_cmp_ne_u64_e32 vcc, 0, v[2:3]
	s_and_saveexec_b64 s[38:39], vcc
	s_xor_b64 s[38:39], exec, s[38:39]
	s_cbranch_execz .LBB89_27
; %bb.26:                               ;   in Loop: Header=BB89_21 Depth=2
	s_ashr_i32 s42, s0, 31
	s_add_u32 s44, s53, s42
	s_mov_b32 s43, s42
	s_addc_u32 s45, s0, s42
	s_xor_b64 s[44:45], s[44:45], s[42:43]
	v_cvt_f32_u32_e32 v3, s44
	v_cvt_f32_u32_e32 v5, s45
	s_sub_u32 s43, 0, s44
	s_subb_u32 s54, 0, s45
	v_mac_f32_e32 v3, 0x4f800000, v5
	v_rcp_f32_e32 v3, v3
	v_mul_f32_e32 v3, 0x5f7ffffc, v3
	v_mul_f32_e32 v5, 0x2f800000, v3
	v_trunc_f32_e32 v5, v5
	v_mac_f32_e32 v3, 0xcf800000, v5
	v_cvt_u32_f32_e32 v5, v5
	v_cvt_u32_f32_e32 v3, v3
	v_readfirstlane_b32 s55, v5
	v_readfirstlane_b32 s0, v3
	s_mul_i32 s1, s43, s55
	s_mul_hi_u32 s57, s43, s0
	s_mul_i32 s56, s54, s0
	s_add_i32 s1, s57, s1
	s_add_i32 s1, s1, s56
	s_mul_i32 s58, s43, s0
	s_mul_i32 s57, s0, s1
	s_mul_hi_u32 s59, s0, s58
	s_mul_hi_u32 s56, s0, s1
	s_add_u32 s57, s59, s57
	s_addc_u32 s56, 0, s56
	s_mul_hi_u32 s60, s55, s58
	s_mul_i32 s58, s55, s58
	s_add_u32 s57, s57, s58
	s_mul_hi_u32 s59, s55, s1
	s_addc_u32 s56, s56, s60
	s_addc_u32 s57, s59, 0
	s_mul_i32 s1, s55, s1
	s_add_u32 s1, s56, s1
	s_addc_u32 s56, 0, s57
	s_add_u32 s57, s0, s1
	s_cselect_b64 s[0:1], -1, 0
	s_cmp_lg_u64 s[0:1], 0
	s_addc_u32 s55, s55, s56
	s_mul_i32 s0, s43, s55
	s_mul_hi_u32 s1, s43, s57
	s_add_i32 s0, s1, s0
	s_mul_i32 s54, s54, s57
	s_add_i32 s0, s0, s54
	s_mul_i32 s43, s43, s57
	s_mul_hi_u32 s54, s55, s43
	s_mul_i32 s56, s55, s43
	s_mul_i32 s59, s57, s0
	s_mul_hi_u32 s43, s57, s43
	s_mul_hi_u32 s58, s57, s0
	s_add_u32 s43, s43, s59
	s_addc_u32 s58, 0, s58
	s_add_u32 s43, s43, s56
	s_mul_hi_u32 s1, s55, s0
	s_addc_u32 s43, s58, s54
	s_addc_u32 s1, s1, 0
	s_mul_i32 s0, s55, s0
	s_add_u32 s0, s43, s0
	s_addc_u32 s43, 0, s1
	s_add_u32 s54, s57, s0
	s_cselect_b64 s[0:1], -1, 0
	v_ashrrev_i32_e32 v3, 31, v11
	s_cmp_lg_u64 s[0:1], 0
	v_add_co_u32_e32 v5, vcc, v10, v3
	s_addc_u32 s43, s55, s43
	v_xor_b32_e32 v5, v5, v3
	v_addc_co_u32_e32 v7, vcc, v11, v3, vcc
	v_mad_u64_u32 v[11:12], s[0:1], v5, s43, 0
	v_mul_hi_u32 v9, v5, s54
	v_xor_b32_e32 v7, v7, v3
	v_mad_u64_u32 v[13:14], s[0:1], v7, s43, 0
	v_add_co_u32_e32 v9, vcc, v9, v11
	v_addc_co_u32_e32 v15, vcc, 0, v12, vcc
	v_mad_u64_u32 v[11:12], s[0:1], v7, s54, 0
	v_xor_b32_e32 v3, s42, v3
	v_add_co_u32_e32 v9, vcc, v9, v11
	v_addc_co_u32_e32 v9, vcc, v15, v12, vcc
	v_addc_co_u32_e32 v11, vcc, 0, v14, vcc
	v_add_co_u32_e32 v9, vcc, v9, v13
	v_addc_co_u32_e32 v13, vcc, 0, v11, vcc
	v_mul_lo_u32 v14, s45, v9
	v_mul_lo_u32 v15, s44, v13
	v_mad_u64_u32 v[11:12], s[0:1], s44, v9, 0
	v_add3_u32 v12, v12, v15, v14
	v_sub_u32_e32 v14, v7, v12
	v_mov_b32_e32 v15, s45
	v_sub_co_u32_e32 v5, vcc, v5, v11
	v_subb_co_u32_e64 v11, s[0:1], v14, v15, vcc
	v_subrev_co_u32_e64 v14, s[0:1], s44, v5
	v_subbrev_co_u32_e64 v11, s[0:1], 0, v11, s[0:1]
	v_cmp_le_u32_e64 s[0:1], s45, v11
	v_cndmask_b32_e64 v15, 0, -1, s[0:1]
	v_cmp_le_u32_e64 s[0:1], s44, v14
	v_cndmask_b32_e64 v14, 0, -1, s[0:1]
	v_cmp_eq_u32_e64 s[0:1], s45, v11
	v_cndmask_b32_e64 v11, v15, v14, s[0:1]
	v_add_co_u32_e64 v14, s[0:1], 2, v9
	v_subb_co_u32_e32 v7, vcc, v7, v12, vcc
	v_addc_co_u32_e64 v15, s[0:1], 0, v13, s[0:1]
	v_cmp_le_u32_e32 vcc, s45, v7
	v_add_co_u32_e64 v16, s[0:1], 1, v9
	v_cndmask_b32_e64 v12, 0, -1, vcc
	v_cmp_le_u32_e32 vcc, s44, v5
	v_addc_co_u32_e64 v17, s[0:1], 0, v13, s[0:1]
	v_cndmask_b32_e64 v5, 0, -1, vcc
	v_cmp_eq_u32_e32 vcc, s45, v7
	v_cmp_ne_u32_e64 s[0:1], 0, v11
	v_cndmask_b32_e32 v5, v12, v5, vcc
	v_cmp_ne_u32_e32 vcc, 0, v5
	v_cndmask_b32_e64 v7, v16, v14, s[0:1]
	v_cndmask_b32_e64 v11, v17, v15, s[0:1]
	v_cndmask_b32_e32 v7, v9, v7, vcc
	v_cndmask_b32_e32 v5, v13, v11, vcc
	v_xor_b32_e32 v7, v7, v3
	v_xor_b32_e32 v5, v5, v3
	v_sub_co_u32_e32 v12, vcc, v7, v3
	v_subb_co_u32_e32 v13, vcc, v5, v3, vcc
.LBB89_27:                              ;   in Loop: Header=BB89_21 Depth=2
	s_andn2_saveexec_b64 s[0:1], s[38:39]
	s_cbranch_execz .LBB89_29
; %bb.28:                               ;   in Loop: Header=BB89_21 Depth=2
	v_cvt_f32_u32_e32 v3, s53
	s_sub_i32 s38, 0, s53
	v_mov_b32_e32 v13, v2
	v_rcp_iflag_f32_e32 v3, v3
	v_mul_f32_e32 v3, 0x4f7ffffe, v3
	v_cvt_u32_f32_e32 v3, v3
	v_mul_lo_u32 v5, s38, v3
	v_mul_hi_u32 v5, v3, v5
	v_add_u32_e32 v3, v3, v5
	v_mul_hi_u32 v3, v10, v3
	v_mul_lo_u32 v5, v3, s53
	v_add_u32_e32 v7, 1, v3
	v_sub_u32_e32 v5, v10, v5
	v_subrev_u32_e32 v9, s53, v5
	v_cmp_le_u32_e32 vcc, s53, v5
	v_cndmask_b32_e32 v5, v5, v9, vcc
	v_cndmask_b32_e32 v3, v3, v7, vcc
	v_add_u32_e32 v7, 1, v3
	v_cmp_le_u32_e32 vcc, s53, v5
	v_cndmask_b32_e32 v12, v3, v7, vcc
.LBB89_29:                              ;   in Loop: Header=BB89_21 Depth=2
	s_or_b64 exec, exec, s[0:1]
	s_add_u32 s0, s4, s40
	s_addc_u32 s1, s5, s41
	s_add_i32 s38, s20, -2
	s_mov_b32 s39, s21
	s_lshl_b64 s[38:39], s[38:39], 2
	s_add_u32 s40, s46, s38
	s_addc_u32 s41, s47, s39
	s_load_dword s55, s[40:41], 0x8
	s_load_dword s56, s[36:37], 0x6c
	;; [unrolled: 1-line block ×3, first 2 shown]
                                        ; implicit-def: $vgpr14_vgpr15
	s_waitcnt lgkmcnt(0)
	s_ashr_i32 s0, s55, 31
	v_or_b32_e32 v3, s0, v13
	v_cmp_ne_u64_e32 vcc, 0, v[2:3]
	s_and_saveexec_b64 s[36:37], vcc
	s_xor_b64 s[36:37], exec, s[36:37]
	s_cbranch_execz .LBB89_31
; %bb.30:                               ;   in Loop: Header=BB89_21 Depth=2
	s_ashr_i32 s42, s0, 31
	s_add_u32 s44, s55, s42
	s_mov_b32 s43, s42
	s_addc_u32 s45, s0, s42
	s_xor_b64 s[44:45], s[44:45], s[42:43]
	v_cvt_f32_u32_e32 v3, s44
	v_cvt_f32_u32_e32 v5, s45
	s_sub_u32 s43, 0, s44
	s_subb_u32 s57, 0, s45
	v_mac_f32_e32 v3, 0x4f800000, v5
	v_rcp_f32_e32 v3, v3
	v_mul_f32_e32 v3, 0x5f7ffffc, v3
	v_mul_f32_e32 v5, 0x2f800000, v3
	v_trunc_f32_e32 v5, v5
	v_mac_f32_e32 v3, 0xcf800000, v5
	v_cvt_u32_f32_e32 v5, v5
	v_cvt_u32_f32_e32 v3, v3
	v_readfirstlane_b32 s58, v5
	v_readfirstlane_b32 s0, v3
	s_mul_i32 s1, s43, s58
	s_mul_hi_u32 s60, s43, s0
	s_mul_i32 s59, s57, s0
	s_add_i32 s1, s60, s1
	s_add_i32 s1, s1, s59
	s_mul_i32 s61, s43, s0
	s_mul_i32 s60, s0, s1
	s_mul_hi_u32 s62, s0, s61
	s_mul_hi_u32 s59, s0, s1
	s_add_u32 s60, s62, s60
	s_addc_u32 s59, 0, s59
	s_mul_hi_u32 s63, s58, s61
	s_mul_i32 s61, s58, s61
	s_add_u32 s60, s60, s61
	s_mul_hi_u32 s62, s58, s1
	s_addc_u32 s59, s59, s63
	s_addc_u32 s60, s62, 0
	s_mul_i32 s1, s58, s1
	s_add_u32 s1, s59, s1
	s_addc_u32 s59, 0, s60
	s_add_u32 s60, s0, s1
	s_cselect_b64 s[0:1], -1, 0
	s_cmp_lg_u64 s[0:1], 0
	s_addc_u32 s58, s58, s59
	s_mul_i32 s0, s43, s58
	s_mul_hi_u32 s1, s43, s60
	s_add_i32 s0, s1, s0
	s_mul_i32 s57, s57, s60
	s_add_i32 s0, s0, s57
	s_mul_i32 s43, s43, s60
	s_mul_hi_u32 s57, s58, s43
	s_mul_i32 s59, s58, s43
	s_mul_i32 s62, s60, s0
	s_mul_hi_u32 s43, s60, s43
	s_mul_hi_u32 s61, s60, s0
	s_add_u32 s43, s43, s62
	s_addc_u32 s61, 0, s61
	s_add_u32 s43, s43, s59
	s_mul_hi_u32 s1, s58, s0
	s_addc_u32 s43, s61, s57
	s_addc_u32 s1, s1, 0
	s_mul_i32 s0, s58, s0
	s_add_u32 s0, s43, s0
	s_addc_u32 s43, 0, s1
	s_add_u32 s57, s60, s0
	s_cselect_b64 s[0:1], -1, 0
	v_ashrrev_i32_e32 v3, 31, v13
	s_cmp_lg_u64 s[0:1], 0
	v_add_co_u32_e32 v5, vcc, v12, v3
	s_addc_u32 s43, s58, s43
	v_xor_b32_e32 v5, v5, v3
	v_addc_co_u32_e32 v7, vcc, v13, v3, vcc
	v_mad_u64_u32 v[13:14], s[0:1], v5, s43, 0
	v_mul_hi_u32 v9, v5, s57
	v_xor_b32_e32 v7, v7, v3
	v_mad_u64_u32 v[15:16], s[0:1], v7, s43, 0
	v_add_co_u32_e32 v9, vcc, v9, v13
	v_addc_co_u32_e32 v11, vcc, 0, v14, vcc
	v_mad_u64_u32 v[13:14], s[0:1], v7, s57, 0
	v_xor_b32_e32 v3, s42, v3
	v_add_co_u32_e32 v9, vcc, v9, v13
	v_addc_co_u32_e32 v9, vcc, v11, v14, vcc
	v_addc_co_u32_e32 v11, vcc, 0, v16, vcc
	v_add_co_u32_e32 v9, vcc, v9, v15
	v_addc_co_u32_e32 v11, vcc, 0, v11, vcc
	v_mul_lo_u32 v15, s45, v9
	v_mul_lo_u32 v16, s44, v11
	v_mad_u64_u32 v[13:14], s[0:1], s44, v9, 0
	v_add3_u32 v14, v14, v16, v15
	v_sub_u32_e32 v15, v7, v14
	v_mov_b32_e32 v16, s45
	v_sub_co_u32_e32 v5, vcc, v5, v13
	v_subb_co_u32_e64 v13, s[0:1], v15, v16, vcc
	v_subrev_co_u32_e64 v15, s[0:1], s44, v5
	v_subbrev_co_u32_e64 v13, s[0:1], 0, v13, s[0:1]
	v_cmp_le_u32_e64 s[0:1], s45, v13
	v_cndmask_b32_e64 v16, 0, -1, s[0:1]
	v_cmp_le_u32_e64 s[0:1], s44, v15
	v_cndmask_b32_e64 v15, 0, -1, s[0:1]
	v_cmp_eq_u32_e64 s[0:1], s45, v13
	v_cndmask_b32_e64 v13, v16, v15, s[0:1]
	v_add_co_u32_e64 v15, s[0:1], 2, v9
	v_subb_co_u32_e32 v7, vcc, v7, v14, vcc
	v_addc_co_u32_e64 v16, s[0:1], 0, v11, s[0:1]
	v_cmp_le_u32_e32 vcc, s45, v7
	v_add_co_u32_e64 v17, s[0:1], 1, v9
	v_cndmask_b32_e64 v14, 0, -1, vcc
	v_cmp_le_u32_e32 vcc, s44, v5
	v_addc_co_u32_e64 v20, s[0:1], 0, v11, s[0:1]
	v_cndmask_b32_e64 v5, 0, -1, vcc
	v_cmp_eq_u32_e32 vcc, s45, v7
	v_cmp_ne_u32_e64 s[0:1], 0, v13
	v_cndmask_b32_e32 v5, v14, v5, vcc
	v_cmp_ne_u32_e32 vcc, 0, v5
	v_cndmask_b32_e64 v7, v17, v15, s[0:1]
	v_cndmask_b32_e64 v13, v20, v16, s[0:1]
	v_cndmask_b32_e32 v7, v9, v7, vcc
	v_cndmask_b32_e32 v5, v11, v13, vcc
	v_xor_b32_e32 v7, v7, v3
	v_xor_b32_e32 v5, v5, v3
	v_sub_co_u32_e32 v14, vcc, v7, v3
	v_subb_co_u32_e32 v15, vcc, v5, v3, vcc
.LBB89_31:                              ;   in Loop: Header=BB89_21 Depth=2
	s_andn2_saveexec_b64 s[0:1], s[36:37]
	s_cbranch_execz .LBB89_33
; %bb.32:                               ;   in Loop: Header=BB89_21 Depth=2
	v_cvt_f32_u32_e32 v3, s55
	s_sub_i32 s36, 0, s55
	v_mov_b32_e32 v15, v2
	v_rcp_iflag_f32_e32 v3, v3
	v_mul_f32_e32 v3, 0x4f7ffffe, v3
	v_cvt_u32_f32_e32 v3, v3
	v_mul_lo_u32 v5, s36, v3
	v_mul_hi_u32 v5, v3, v5
	v_add_u32_e32 v3, v3, v5
	v_mul_hi_u32 v3, v12, v3
	v_mul_lo_u32 v5, v3, s55
	v_add_u32_e32 v7, 1, v3
	v_sub_u32_e32 v5, v12, v5
	v_subrev_u32_e32 v9, s55, v5
	v_cmp_le_u32_e32 vcc, s55, v5
	v_cndmask_b32_e32 v5, v5, v9, vcc
	v_cndmask_b32_e32 v3, v3, v7, vcc
	v_add_u32_e32 v7, 1, v3
	v_cmp_le_u32_e32 vcc, s55, v5
	v_cndmask_b32_e32 v14, v3, v7, vcc
.LBB89_33:                              ;   in Loop: Header=BB89_21 Depth=2
	s_or_b64 exec, exec, s[0:1]
	s_add_u32 s0, s4, s38
	s_addc_u32 s1, s5, s39
	s_add_i32 s36, s20, -3
	s_mov_b32 s37, s21
	s_lshl_b64 s[36:37], s[36:37], 2
	s_add_u32 s38, s46, s36
	s_addc_u32 s39, s47, s37
	s_load_dword s58, s[38:39], 0x8
	s_load_dword s59, s[40:41], 0x6c
	;; [unrolled: 1-line block ×3, first 2 shown]
                                        ; implicit-def: $vgpr16_vgpr17
	s_waitcnt lgkmcnt(0)
	s_ashr_i32 s0, s58, 31
	v_or_b32_e32 v3, s0, v15
	v_cmp_ne_u64_e32 vcc, 0, v[2:3]
	s_and_saveexec_b64 s[40:41], vcc
	s_xor_b64 s[40:41], exec, s[40:41]
	s_cbranch_execz .LBB89_35
; %bb.34:                               ;   in Loop: Header=BB89_21 Depth=2
	s_ashr_i32 s42, s0, 31
	s_add_u32 s44, s58, s42
	s_mov_b32 s43, s42
	s_addc_u32 s45, s0, s42
	s_xor_b64 s[44:45], s[44:45], s[42:43]
	v_cvt_f32_u32_e32 v3, s44
	v_cvt_f32_u32_e32 v5, s45
	s_sub_u32 s43, 0, s44
	s_subb_u32 s60, 0, s45
	v_mac_f32_e32 v3, 0x4f800000, v5
	v_rcp_f32_e32 v3, v3
	v_mul_f32_e32 v3, 0x5f7ffffc, v3
	v_mul_f32_e32 v5, 0x2f800000, v3
	v_trunc_f32_e32 v5, v5
	v_mac_f32_e32 v3, 0xcf800000, v5
	v_cvt_u32_f32_e32 v5, v5
	v_cvt_u32_f32_e32 v3, v3
	v_readfirstlane_b32 s61, v5
	v_readfirstlane_b32 s0, v3
	s_mul_i32 s1, s43, s61
	s_mul_hi_u32 s63, s43, s0
	s_mul_i32 s62, s60, s0
	s_add_i32 s1, s63, s1
	s_add_i32 s1, s1, s62
	s_mul_i32 s64, s43, s0
	s_mul_i32 s63, s0, s1
	s_mul_hi_u32 s65, s0, s64
	s_mul_hi_u32 s62, s0, s1
	s_add_u32 s63, s65, s63
	s_addc_u32 s62, 0, s62
	s_mul_hi_u32 s66, s61, s64
	s_mul_i32 s64, s61, s64
	s_add_u32 s63, s63, s64
	s_mul_hi_u32 s65, s61, s1
	s_addc_u32 s62, s62, s66
	s_addc_u32 s63, s65, 0
	s_mul_i32 s1, s61, s1
	s_add_u32 s1, s62, s1
	s_addc_u32 s62, 0, s63
	s_add_u32 s63, s0, s1
	s_cselect_b64 s[0:1], -1, 0
	s_cmp_lg_u64 s[0:1], 0
	s_addc_u32 s61, s61, s62
	s_mul_i32 s0, s43, s61
	s_mul_hi_u32 s1, s43, s63
	s_add_i32 s0, s1, s0
	s_mul_i32 s60, s60, s63
	s_add_i32 s0, s0, s60
	s_mul_i32 s43, s43, s63
	s_mul_hi_u32 s60, s61, s43
	s_mul_i32 s62, s61, s43
	s_mul_i32 s65, s63, s0
	s_mul_hi_u32 s43, s63, s43
	s_mul_hi_u32 s64, s63, s0
	s_add_u32 s43, s43, s65
	s_addc_u32 s64, 0, s64
	s_add_u32 s43, s43, s62
	s_mul_hi_u32 s1, s61, s0
	s_addc_u32 s43, s64, s60
	s_addc_u32 s1, s1, 0
	s_mul_i32 s0, s61, s0
	s_add_u32 s0, s43, s0
	s_addc_u32 s43, 0, s1
	s_add_u32 s60, s63, s0
	s_cselect_b64 s[0:1], -1, 0
	v_ashrrev_i32_e32 v3, 31, v15
	s_cmp_lg_u64 s[0:1], 0
	v_add_co_u32_e32 v5, vcc, v14, v3
	s_addc_u32 s43, s61, s43
	v_xor_b32_e32 v5, v5, v3
	v_addc_co_u32_e32 v7, vcc, v15, v3, vcc
	v_mad_u64_u32 v[15:16], s[0:1], v5, s43, 0
	v_mul_hi_u32 v9, v5, s60
	v_xor_b32_e32 v7, v7, v3
	v_mad_u64_u32 v[20:21], s[0:1], v7, s43, 0
	v_add_co_u32_e32 v9, vcc, v9, v15
	v_addc_co_u32_e32 v11, vcc, 0, v16, vcc
	v_mad_u64_u32 v[15:16], s[0:1], v7, s60, 0
	v_xor_b32_e32 v3, s42, v3
	v_add_co_u32_e32 v9, vcc, v9, v15
	v_addc_co_u32_e32 v9, vcc, v11, v16, vcc
	v_addc_co_u32_e32 v11, vcc, 0, v21, vcc
	v_add_co_u32_e32 v9, vcc, v9, v20
	v_addc_co_u32_e32 v11, vcc, 0, v11, vcc
	v_mul_lo_u32 v13, s45, v9
	v_mul_lo_u32 v17, s44, v11
	v_mad_u64_u32 v[15:16], s[0:1], s44, v9, 0
	v_add3_u32 v13, v16, v17, v13
	v_sub_u32_e32 v16, v7, v13
	v_mov_b32_e32 v17, s45
	v_sub_co_u32_e32 v5, vcc, v5, v15
	v_subb_co_u32_e64 v15, s[0:1], v16, v17, vcc
	v_subrev_co_u32_e64 v16, s[0:1], s44, v5
	v_subbrev_co_u32_e64 v15, s[0:1], 0, v15, s[0:1]
	v_cmp_le_u32_e64 s[0:1], s45, v15
	v_cndmask_b32_e64 v17, 0, -1, s[0:1]
	v_cmp_le_u32_e64 s[0:1], s44, v16
	v_cndmask_b32_e64 v16, 0, -1, s[0:1]
	v_cmp_eq_u32_e64 s[0:1], s45, v15
	v_cndmask_b32_e64 v15, v17, v16, s[0:1]
	v_add_co_u32_e64 v16, s[0:1], 2, v9
	v_subb_co_u32_e32 v7, vcc, v7, v13, vcc
	v_addc_co_u32_e64 v17, s[0:1], 0, v11, s[0:1]
	v_cmp_le_u32_e32 vcc, s45, v7
	v_add_co_u32_e64 v20, s[0:1], 1, v9
	v_cndmask_b32_e64 v13, 0, -1, vcc
	v_cmp_le_u32_e32 vcc, s44, v5
	v_addc_co_u32_e64 v21, s[0:1], 0, v11, s[0:1]
	v_cndmask_b32_e64 v5, 0, -1, vcc
	v_cmp_eq_u32_e32 vcc, s45, v7
	v_cmp_ne_u32_e64 s[0:1], 0, v15
	v_cndmask_b32_e32 v5, v13, v5, vcc
	v_cmp_ne_u32_e32 vcc, 0, v5
	v_cndmask_b32_e64 v7, v20, v16, s[0:1]
	v_cndmask_b32_e64 v15, v21, v17, s[0:1]
	v_cndmask_b32_e32 v7, v9, v7, vcc
	v_cndmask_b32_e32 v5, v11, v15, vcc
	v_xor_b32_e32 v7, v7, v3
	v_xor_b32_e32 v5, v5, v3
	v_sub_co_u32_e32 v16, vcc, v7, v3
	v_subb_co_u32_e32 v17, vcc, v5, v3, vcc
.LBB89_35:                              ;   in Loop: Header=BB89_21 Depth=2
	s_andn2_saveexec_b64 s[0:1], s[40:41]
	s_cbranch_execz .LBB89_37
; %bb.36:                               ;   in Loop: Header=BB89_21 Depth=2
	v_cvt_f32_u32_e32 v3, s58
	s_sub_i32 s40, 0, s58
	v_mov_b32_e32 v17, v2
	v_rcp_iflag_f32_e32 v3, v3
	v_mul_f32_e32 v3, 0x4f7ffffe, v3
	v_cvt_u32_f32_e32 v3, v3
	v_mul_lo_u32 v5, s40, v3
	v_mul_hi_u32 v5, v3, v5
	v_add_u32_e32 v3, v3, v5
	v_mul_hi_u32 v3, v14, v3
	v_mul_lo_u32 v5, v3, s58
	v_add_u32_e32 v7, 1, v3
	v_sub_u32_e32 v5, v14, v5
	v_subrev_u32_e32 v9, s58, v5
	v_cmp_le_u32_e32 vcc, s58, v5
	v_cndmask_b32_e32 v5, v5, v9, vcc
	v_cndmask_b32_e32 v3, v3, v7, vcc
	v_add_u32_e32 v7, 1, v3
	v_cmp_le_u32_e32 vcc, s58, v5
	v_cndmask_b32_e32 v16, v3, v7, vcc
.LBB89_37:                              ;   in Loop: Header=BB89_21 Depth=2
	s_or_b64 exec, exec, s[0:1]
	v_mul_lo_u32 v3, v10, s15
	v_mul_lo_u32 v5, v12, s53
	;; [unrolled: 1-line block ×3, first 2 shown]
	s_add_u32 s0, s4, s36
	v_sub_u32_e32 v3, v8, v3
	v_sub_u32_e32 v5, v10, v5
	v_mul_lo_u32 v7, s35, v3
	v_mul_lo_u32 v8, s56, v5
	s_addc_u32 s1, s5, s37
	s_load_dword s15, s[38:39], 0x6c
	v_mul_lo_u32 v3, s17, v3
	v_add3_u32 v6, v7, v6, v8
	v_sub_u32_e32 v7, v12, v9
	v_mul_lo_u32 v9, v16, s58
	s_load_dword s0, s[0:1], 0x6c
	v_mul_lo_u32 v5, s54, v5
	v_mul_lo_u32 v8, s59, v7
	v_sub_u32_e32 v9, v14, v9
	s_waitcnt lgkmcnt(0)
	v_mul_lo_u32 v10, s15, v9
	v_add3_u32 v3, v3, v4, v5
	v_mul_lo_u32 v4, s57, v7
	v_mul_lo_u32 v5, s0, v9
	s_add_i32 s20, s20, -4
	v_add3_u32 v6, v8, v6, v10
	s_cmp_eq_u32 s20, -1
	v_add3_u32 v4, v4, v3, v5
	s_cbranch_scc1 .LBB89_39
; %bb.38:                               ;   in Loop: Header=BB89_21 Depth=2
	v_mov_b32_e32 v8, v16
	v_mov_b32_e32 v9, v17
	s_branch .LBB89_21
.LBB89_39:                              ;   in Loop: Header=BB89_3 Depth=1
	v_sub_u32_e32 v5, v18, v19
	v_add_u32_e32 v7, 2, v5
	v_ashrrev_i32_e32 v8, 31, v7
	v_cmp_le_i64_e32 vcc, s[8:9], v[7:8]
	v_mov_b32_e32 v7, 0
	v_mov_b32_e32 v8, 0
	;; [unrolled: 1-line block ×4, first 2 shown]
	s_and_saveexec_b64 s[0:1], vcc
	s_cbranch_execz .LBB89_45
; %bb.40:                               ;   in Loop: Header=BB89_3 Depth=1
	v_cmp_gt_i32_e32 vcc, s7, v18
	v_mov_b32_e32 v7, 0
	v_mov_b32_e32 v3, 0
	;; [unrolled: 1-line block ×4, first 2 shown]
	s_and_saveexec_b64 s[36:37], vcc
	s_cbranch_execz .LBB89_44
; %bb.41:                               ;   in Loop: Header=BB89_3 Depth=1
	v_ashrrev_i32_e32 v7, 31, v6
	v_lshlrev_b64 v[6:7], 2, v[6:7]
	v_mov_b32_e32 v3, s3
	v_add_co_u32_e32 v6, vcc, s2, v6
	v_addc_co_u32_e32 v7, vcc, v3, v7, vcc
	global_load_dword v3, v[6:7], off
	v_add_u32_e32 v8, 1, v18
	v_cmp_gt_i32_e32 vcc, s7, v8
	v_mov_b32_e32 v9, 0
	v_mov_b32_e32 v8, 0
	s_and_saveexec_b64 s[38:39], vcc
	s_xor_b64 s[38:39], exec, s[38:39]
	s_cbranch_execz .LBB89_43
; %bb.42:                               ;   in Loop: Header=BB89_3 Depth=1
	s_lshl_b64 s[40:41], s[26:27], 2
	v_mov_b32_e32 v8, s41
	v_add_co_u32_e32 v6, vcc, s40, v6
	v_addc_co_u32_e32 v7, vcc, v7, v8, vcc
	global_load_dword v6, v[6:7], off
	s_waitcnt vmcnt(0)
	v_and_b32_e32 v8, 0xffff0000, v6
	v_and_b32_e32 v9, 0xffff, v6
.LBB89_43:                              ;   in Loop: Header=BB89_3 Depth=1
	s_or_b64 exec, exec, s[38:39]
	s_waitcnt vmcnt(0)
	v_lshrrev_b32_e32 v7, 16, v3
.LBB89_44:                              ;   in Loop: Header=BB89_3 Depth=1
	s_or_b64 exec, exec, s[36:37]
	v_ashrrev_i32_e32 v6, 31, v5
	v_cmp_gt_i64_e32 vcc, s[8:9], v[5:6]
	v_add_u32_e32 v5, 1, v5
	v_lshlrev_b32_e32 v7, 16, v7
	v_and_b32_e32 v3, 0xffff, v3
	v_ashrrev_i32_e32 v6, 31, v5
	v_cndmask_b32_e64 v10, v3, 0, vcc
	v_cndmask_b32_e64 v11, v7, 0, vcc
	v_cmp_gt_i64_e32 vcc, s[8:9], v[5:6]
	v_cndmask_b32_e64 v7, v9, 0, vcc
	v_cndmask_b32_e64 v8, v8, 0, vcc
.LBB89_45:                              ;   in Loop: Header=BB89_3 Depth=1
	s_or_b64 exec, exec, s[0:1]
	v_cmp_gt_i32_e32 vcc, s7, v18
	s_and_saveexec_b64 s[0:1], vcc
	s_cbranch_execz .LBB89_2
; %bb.46:                               ;   in Loop: Header=BB89_3 Depth=1
	v_ashrrev_i32_e32 v5, 31, v4
	v_lshlrev_b64 v[3:4], 2, v[4:5]
	v_mov_b32_e32 v5, s19
	v_add_co_u32_e32 v3, vcc, s18, v3
	v_addc_co_u32_e32 v4, vcc, v5, v4, vcc
	v_or_b32_e32 v5, v11, v10
	global_store_dword v[3:4], v5, off
	v_add_u32_e32 v5, 1, v18
	v_cmp_gt_i32_e32 vcc, s7, v5
	s_and_saveexec_b64 s[36:37], vcc
	s_xor_b64 s[36:37], exec, s[36:37]
	s_cbranch_execz .LBB89_2
; %bb.47:                               ;   in Loop: Header=BB89_3 Depth=1
	s_lshl_b64 s[36:37], s[28:29], 2
	v_mov_b32_e32 v5, s37
	v_add_co_u32_e32 v3, vcc, s36, v3
	v_addc_co_u32_e32 v4, vcc, v4, v5, vcc
	v_or_b32_e32 v5, v8, v7
	global_store_dword v[3:4], v5, off
	s_branch .LBB89_2
.LBB89_48:
	s_endpgm
	.section	.rodata,"a",@progbits
	.p2align	6, 0x0
	.amdhsa_kernel _ZN2at6native16triu_tril_kernelIN3c107complexINS2_4HalfEEEiLb1ELi2ELb0EEEvNS_4cuda6detail10TensorInfoIT_T0_EENS8_IKS9_SA_EEllSA_
		.amdhsa_group_segment_fixed_size 0
		.amdhsa_private_segment_fixed_size 0
		.amdhsa_kernarg_size 712
		.amdhsa_user_sgpr_count 6
		.amdhsa_user_sgpr_private_segment_buffer 1
		.amdhsa_user_sgpr_dispatch_ptr 0
		.amdhsa_user_sgpr_queue_ptr 0
		.amdhsa_user_sgpr_kernarg_segment_ptr 1
		.amdhsa_user_sgpr_dispatch_id 0
		.amdhsa_user_sgpr_flat_scratch_init 0
		.amdhsa_user_sgpr_private_segment_size 0
		.amdhsa_uses_dynamic_stack 0
		.amdhsa_system_sgpr_private_segment_wavefront_offset 0
		.amdhsa_system_sgpr_workgroup_id_x 1
		.amdhsa_system_sgpr_workgroup_id_y 0
		.amdhsa_system_sgpr_workgroup_id_z 0
		.amdhsa_system_sgpr_workgroup_info 0
		.amdhsa_system_vgpr_workitem_id 0
		.amdhsa_next_free_vgpr 22
		.amdhsa_next_free_sgpr 67
		.amdhsa_reserve_vcc 1
		.amdhsa_reserve_flat_scratch 0
		.amdhsa_float_round_mode_32 0
		.amdhsa_float_round_mode_16_64 0
		.amdhsa_float_denorm_mode_32 3
		.amdhsa_float_denorm_mode_16_64 3
		.amdhsa_dx10_clamp 1
		.amdhsa_ieee_mode 1
		.amdhsa_fp16_overflow 0
		.amdhsa_exception_fp_ieee_invalid_op 0
		.amdhsa_exception_fp_denorm_src 0
		.amdhsa_exception_fp_ieee_div_zero 0
		.amdhsa_exception_fp_ieee_overflow 0
		.amdhsa_exception_fp_ieee_underflow 0
		.amdhsa_exception_fp_ieee_inexact 0
		.amdhsa_exception_int_div_zero 0
	.end_amdhsa_kernel
	.section	.text._ZN2at6native16triu_tril_kernelIN3c107complexINS2_4HalfEEEiLb1ELi2ELb0EEEvNS_4cuda6detail10TensorInfoIT_T0_EENS8_IKS9_SA_EEllSA_,"axG",@progbits,_ZN2at6native16triu_tril_kernelIN3c107complexINS2_4HalfEEEiLb1ELi2ELb0EEEvNS_4cuda6detail10TensorInfoIT_T0_EENS8_IKS9_SA_EEllSA_,comdat
.Lfunc_end89:
	.size	_ZN2at6native16triu_tril_kernelIN3c107complexINS2_4HalfEEEiLb1ELi2ELb0EEEvNS_4cuda6detail10TensorInfoIT_T0_EENS8_IKS9_SA_EEllSA_, .Lfunc_end89-_ZN2at6native16triu_tril_kernelIN3c107complexINS2_4HalfEEEiLb1ELi2ELb0EEEvNS_4cuda6detail10TensorInfoIT_T0_EENS8_IKS9_SA_EEllSA_
                                        ; -- End function
	.set _ZN2at6native16triu_tril_kernelIN3c107complexINS2_4HalfEEEiLb1ELi2ELb0EEEvNS_4cuda6detail10TensorInfoIT_T0_EENS8_IKS9_SA_EEllSA_.num_vgpr, 22
	.set _ZN2at6native16triu_tril_kernelIN3c107complexINS2_4HalfEEEiLb1ELi2ELb0EEEvNS_4cuda6detail10TensorInfoIT_T0_EENS8_IKS9_SA_EEllSA_.num_agpr, 0
	.set _ZN2at6native16triu_tril_kernelIN3c107complexINS2_4HalfEEEiLb1ELi2ELb0EEEvNS_4cuda6detail10TensorInfoIT_T0_EENS8_IKS9_SA_EEllSA_.numbered_sgpr, 67
	.set _ZN2at6native16triu_tril_kernelIN3c107complexINS2_4HalfEEEiLb1ELi2ELb0EEEvNS_4cuda6detail10TensorInfoIT_T0_EENS8_IKS9_SA_EEllSA_.num_named_barrier, 0
	.set _ZN2at6native16triu_tril_kernelIN3c107complexINS2_4HalfEEEiLb1ELi2ELb0EEEvNS_4cuda6detail10TensorInfoIT_T0_EENS8_IKS9_SA_EEllSA_.private_seg_size, 0
	.set _ZN2at6native16triu_tril_kernelIN3c107complexINS2_4HalfEEEiLb1ELi2ELb0EEEvNS_4cuda6detail10TensorInfoIT_T0_EENS8_IKS9_SA_EEllSA_.uses_vcc, 1
	.set _ZN2at6native16triu_tril_kernelIN3c107complexINS2_4HalfEEEiLb1ELi2ELb0EEEvNS_4cuda6detail10TensorInfoIT_T0_EENS8_IKS9_SA_EEllSA_.uses_flat_scratch, 0
	.set _ZN2at6native16triu_tril_kernelIN3c107complexINS2_4HalfEEEiLb1ELi2ELb0EEEvNS_4cuda6detail10TensorInfoIT_T0_EENS8_IKS9_SA_EEllSA_.has_dyn_sized_stack, 0
	.set _ZN2at6native16triu_tril_kernelIN3c107complexINS2_4HalfEEEiLb1ELi2ELb0EEEvNS_4cuda6detail10TensorInfoIT_T0_EENS8_IKS9_SA_EEllSA_.has_recursion, 0
	.set _ZN2at6native16triu_tril_kernelIN3c107complexINS2_4HalfEEEiLb1ELi2ELb0EEEvNS_4cuda6detail10TensorInfoIT_T0_EENS8_IKS9_SA_EEllSA_.has_indirect_call, 0
	.section	.AMDGPU.csdata,"",@progbits
; Kernel info:
; codeLenInByte = 6436
; TotalNumSgprs: 71
; NumVgprs: 22
; ScratchSize: 0
; MemoryBound: 0
; FloatMode: 240
; IeeeMode: 1
; LDSByteSize: 0 bytes/workgroup (compile time only)
; SGPRBlocks: 8
; VGPRBlocks: 5
; NumSGPRsForWavesPerEU: 71
; NumVGPRsForWavesPerEU: 22
; Occupancy: 10
; WaveLimiterHint : 1
; COMPUTE_PGM_RSRC2:SCRATCH_EN: 0
; COMPUTE_PGM_RSRC2:USER_SGPR: 6
; COMPUTE_PGM_RSRC2:TRAP_HANDLER: 0
; COMPUTE_PGM_RSRC2:TGID_X_EN: 1
; COMPUTE_PGM_RSRC2:TGID_Y_EN: 0
; COMPUTE_PGM_RSRC2:TGID_Z_EN: 0
; COMPUTE_PGM_RSRC2:TIDIG_COMP_CNT: 0
	.section	.text._ZN2at6native16triu_tril_kernelIN3c107complexINS2_4HalfEEElLb1ELi2ELb1EEEvNS_4cuda6detail10TensorInfoIT_T0_EENS8_IKS9_SA_EEllSA_,"axG",@progbits,_ZN2at6native16triu_tril_kernelIN3c107complexINS2_4HalfEEElLb1ELi2ELb1EEEvNS_4cuda6detail10TensorInfoIT_T0_EENS8_IKS9_SA_EEllSA_,comdat
	.protected	_ZN2at6native16triu_tril_kernelIN3c107complexINS2_4HalfEEElLb1ELi2ELb1EEEvNS_4cuda6detail10TensorInfoIT_T0_EENS8_IKS9_SA_EEllSA_ ; -- Begin function _ZN2at6native16triu_tril_kernelIN3c107complexINS2_4HalfEEElLb1ELi2ELb1EEEvNS_4cuda6detail10TensorInfoIT_T0_EENS8_IKS9_SA_EEllSA_
	.globl	_ZN2at6native16triu_tril_kernelIN3c107complexINS2_4HalfEEElLb1ELi2ELb1EEEvNS_4cuda6detail10TensorInfoIT_T0_EENS8_IKS9_SA_EEllSA_
	.p2align	8
	.type	_ZN2at6native16triu_tril_kernelIN3c107complexINS2_4HalfEEElLb1ELi2ELb1EEEvNS_4cuda6detail10TensorInfoIT_T0_EENS8_IKS9_SA_EEllSA_,@function
_ZN2at6native16triu_tril_kernelIN3c107complexINS2_4HalfEEElLb1ELi2ELb1EEEvNS_4cuda6detail10TensorInfoIT_T0_EENS8_IKS9_SA_EEllSA_: ; @_ZN2at6native16triu_tril_kernelIN3c107complexINS2_4HalfEEElLb1ELi2ELb1EEEvNS_4cuda6detail10TensorInfoIT_T0_EENS8_IKS9_SA_EEllSA_
; %bb.0:
	s_load_dword s2, s[4:5], 0x364
	s_load_dwordx4 s[8:11], s[4:5], 0x340
	s_add_u32 s0, s4, 0x358
	v_mov_b32_e32 v2, 0
	s_addc_u32 s1, s5, 0
	s_waitcnt lgkmcnt(0)
	s_and_b32 s2, s2, 0xffff
	v_mov_b32_e32 v1, v2
	v_mov_b32_e32 v3, s6
	v_mad_u64_u32 v[0:1], s[6:7], s2, v3, v[0:1]
	v_lshlrev_b64 v[0:1], 1, v[0:1]
	v_cmp_gt_i64_e32 vcc, s[10:11], v[0:1]
	s_and_saveexec_b64 s[6:7], vcc
	s_cbranch_execz .LBB90_41
; %bb.1:
	s_load_dword s1, s[0:1], 0x0
	s_add_u32 s34, s4, 0x1a0
	s_load_dword s0, s[4:5], 0x338
	s_addc_u32 s35, s5, 0
	s_load_dwordx2 s[6:7], s[4:5], 0x350
	s_load_dwordx2 s[12:13], s[4:5], 0x0
	s_waitcnt lgkmcnt(0)
	s_mul_i32 s24, s1, s2
	s_mov_b32 s25, 0
	s_add_i32 s2, s0, -2
	s_ashr_i32 s3, s2, 31
	s_ashr_i32 s1, s0, 31
	s_lshl_b64 s[16:17], s[2:3], 3
	s_add_u32 s16, s34, s16
	s_addc_u32 s17, s35, s17
	s_lshl_b64 s[22:23], s[0:1], 3
	s_add_u32 s18, s4, s22
	s_addc_u32 s19, s5, s23
	s_add_i32 s20, s0, -3
	s_ashr_i32 s21, s20, 31
	s_add_u32 s22, s34, s22
	v_cmp_gt_i64_e64 s[14:15], s[0:1], 2
	s_addc_u32 s23, s35, s23
	s_lshl_b32 s33, s24, 1
	s_and_b32 s24, s2, 3
	s_and_b32 s0, s20, 3
	s_cmp_lg_u32 s0, 3
	s_cselect_b64 s[26:27], -1, 0
	s_cmp_gt_u32 s20, 2
	s_cselect_b64 s[28:29], -1, 0
	s_lshl_b64 s[0:1], s[20:21], 3
	s_add_u32 s2, s4, s0
	s_addc_u32 s3, s5, s1
	s_add_u32 s30, s2, 0xd0
	s_addc_u32 s31, s3, 0
	;; [unrolled: 2-line block ×3, first 2 shown]
	s_add_u32 s34, s0, 8
	s_load_dwordx2 s[16:17], s[16:17], 0x8
	s_addc_u32 s35, s1, 0
	s_add_u32 s64, s4, 0xb8
	s_addc_u32 s65, s5, 0
	s_add_u32 s66, s4, 0x190
	s_addc_u32 s67, s5, 0
	s_mov_b64 s[4:5], 0
	s_branch .LBB90_3
.LBB90_2:                               ;   in Loop: Header=BB90_3 Depth=1
	s_or_b64 exec, exec, s[36:37]
	v_add_co_u32_e32 v0, vcc, s33, v0
	v_addc_co_u32_e32 v1, vcc, 0, v1, vcc
	v_cmp_le_i64_e32 vcc, s[10:11], v[0:1]
	s_or_b64 s[4:5], vcc, s[4:5]
	s_andn2_b64 exec, exec, s[4:5]
	s_cbranch_execz .LBB90_41
.LBB90_3:                               ; =>This Loop Header: Depth=1
                                        ;     Child Loop BB90_17 Depth 2
                                        ;     Child Loop BB90_22 Depth 2
	v_or_b32_e32 v3, s7, v1
	v_cmp_ne_u64_e32 vcc, 0, v[2:3]
                                        ; implicit-def: $vgpr6_vgpr7
	s_and_saveexec_b64 s[0:1], vcc
	s_xor_b64 s[2:3], exec, s[0:1]
	s_cbranch_execz .LBB90_5
; %bb.4:                                ;   in Loop: Header=BB90_3 Depth=1
	s_ashr_i32 s36, s7, 31
	s_add_u32 s0, s6, s36
	s_mov_b32 s37, s36
	s_addc_u32 s1, s7, s36
	s_xor_b64 s[38:39], s[0:1], s[36:37]
	v_cvt_f32_u32_e32 v3, s38
	v_cvt_f32_u32_e32 v4, s39
	s_sub_u32 s37, 0, s38
	s_subb_u32 s40, 0, s39
	v_ashrrev_i32_e32 v7, 31, v1
	v_mac_f32_e32 v3, 0x4f800000, v4
	v_rcp_f32_e32 v3, v3
	v_mul_f32_e32 v3, 0x5f7ffffc, v3
	v_mul_f32_e32 v4, 0x2f800000, v3
	v_trunc_f32_e32 v4, v4
	v_mac_f32_e32 v3, 0xcf800000, v4
	v_cvt_u32_f32_e32 v4, v4
	v_cvt_u32_f32_e32 v3, v3
	v_readfirstlane_b32 s41, v4
	v_readfirstlane_b32 s0, v3
	s_mul_i32 s1, s37, s41
	s_mul_hi_u32 s43, s37, s0
	s_mul_i32 s42, s40, s0
	s_add_i32 s1, s43, s1
	s_add_i32 s1, s1, s42
	s_mul_i32 s44, s37, s0
	s_mul_i32 s43, s0, s1
	s_mul_hi_u32 s45, s0, s44
	s_mul_hi_u32 s42, s0, s1
	s_add_u32 s43, s45, s43
	s_addc_u32 s42, 0, s42
	s_mul_hi_u32 s46, s41, s44
	s_mul_i32 s44, s41, s44
	s_add_u32 s43, s43, s44
	s_mul_hi_u32 s45, s41, s1
	s_addc_u32 s42, s42, s46
	s_addc_u32 s43, s45, 0
	s_mul_i32 s1, s41, s1
	s_add_u32 s1, s42, s1
	s_addc_u32 s42, 0, s43
	s_add_u32 s43, s0, s1
	s_cselect_b64 s[0:1], -1, 0
	s_cmp_lg_u64 s[0:1], 0
	s_addc_u32 s41, s41, s42
	s_mul_i32 s0, s37, s41
	s_mul_hi_u32 s1, s37, s43
	s_add_i32 s0, s1, s0
	s_mul_i32 s40, s40, s43
	s_add_i32 s0, s0, s40
	s_mul_i32 s37, s37, s43
	s_mul_hi_u32 s40, s41, s37
	s_mul_i32 s42, s41, s37
	s_mul_i32 s45, s43, s0
	s_mul_hi_u32 s37, s43, s37
	s_mul_hi_u32 s44, s43, s0
	s_add_u32 s37, s37, s45
	s_addc_u32 s44, 0, s44
	s_add_u32 s37, s37, s42
	s_mul_hi_u32 s1, s41, s0
	s_addc_u32 s37, s44, s40
	s_addc_u32 s1, s1, 0
	s_mul_i32 s0, s41, s0
	s_add_u32 s0, s37, s0
	s_addc_u32 s37, 0, s1
	s_add_u32 s40, s43, s0
	s_cselect_b64 s[0:1], -1, 0
	s_cmp_lg_u64 s[0:1], 0
	v_add_co_u32_e32 v3, vcc, v0, v7
	s_addc_u32 s37, s41, s37
	v_xor_b32_e32 v8, v3, v7
	v_mad_u64_u32 v[3:4], s[0:1], v8, s37, 0
	v_mul_hi_u32 v6, v8, s40
	v_addc_co_u32_e32 v5, vcc, v1, v7, vcc
	v_xor_b32_e32 v9, v5, v7
	v_add_co_u32_e32 v10, vcc, v6, v3
	v_addc_co_u32_e32 v11, vcc, 0, v4, vcc
	v_mad_u64_u32 v[3:4], s[0:1], v9, s40, 0
	v_mad_u64_u32 v[5:6], s[0:1], v9, s37, 0
	v_add_co_u32_e32 v3, vcc, v10, v3
	v_addc_co_u32_e32 v3, vcc, v11, v4, vcc
	v_addc_co_u32_e32 v4, vcc, 0, v6, vcc
	v_add_co_u32_e32 v5, vcc, v3, v5
	v_addc_co_u32_e32 v6, vcc, 0, v4, vcc
	v_mul_lo_u32 v10, s39, v5
	v_mul_lo_u32 v11, s38, v6
	v_mad_u64_u32 v[3:4], s[0:1], s38, v5, 0
	v_add3_u32 v4, v4, v11, v10
	v_sub_u32_e32 v10, v9, v4
	v_mov_b32_e32 v11, s39
	v_sub_co_u32_e32 v3, vcc, v8, v3
	v_subb_co_u32_e64 v8, s[0:1], v10, v11, vcc
	v_subrev_co_u32_e64 v10, s[0:1], s38, v3
	v_subbrev_co_u32_e64 v8, s[0:1], 0, v8, s[0:1]
	v_cmp_le_u32_e64 s[0:1], s39, v8
	v_cndmask_b32_e64 v11, 0, -1, s[0:1]
	v_cmp_le_u32_e64 s[0:1], s38, v10
	v_cndmask_b32_e64 v10, 0, -1, s[0:1]
	v_cmp_eq_u32_e64 s[0:1], s39, v8
	v_cndmask_b32_e64 v8, v11, v10, s[0:1]
	v_add_co_u32_e64 v10, s[0:1], 2, v5
	v_subb_co_u32_e32 v4, vcc, v9, v4, vcc
	v_addc_co_u32_e64 v11, s[0:1], 0, v6, s[0:1]
	v_cmp_le_u32_e32 vcc, s39, v4
	v_add_co_u32_e64 v12, s[0:1], 1, v5
	v_cndmask_b32_e64 v9, 0, -1, vcc
	v_cmp_le_u32_e32 vcc, s38, v3
	v_addc_co_u32_e64 v13, s[0:1], 0, v6, s[0:1]
	v_cndmask_b32_e64 v3, 0, -1, vcc
	v_cmp_eq_u32_e32 vcc, s39, v4
	v_cmp_ne_u32_e64 s[0:1], 0, v8
	v_cndmask_b32_e32 v3, v9, v3, vcc
	v_cmp_ne_u32_e32 vcc, 0, v3
	v_cndmask_b32_e64 v4, v12, v10, s[0:1]
	v_cndmask_b32_e64 v8, v13, v11, s[0:1]
	v_cndmask_b32_e32 v4, v5, v4, vcc
	v_xor_b32_e32 v5, s36, v7
	v_cndmask_b32_e32 v3, v6, v8, vcc
	v_xor_b32_e32 v4, v4, v5
	v_xor_b32_e32 v3, v3, v5
	v_sub_co_u32_e32 v6, vcc, v4, v5
	v_subb_co_u32_e32 v7, vcc, v3, v5, vcc
.LBB90_5:                               ;   in Loop: Header=BB90_3 Depth=1
	s_andn2_saveexec_b64 s[0:1], s[2:3]
	s_cbranch_execz .LBB90_7
; %bb.6:                                ;   in Loop: Header=BB90_3 Depth=1
	v_cvt_f32_u32_e32 v3, s6
	s_sub_i32 s2, 0, s6
	v_mov_b32_e32 v7, v2
	v_rcp_iflag_f32_e32 v3, v3
	v_mul_f32_e32 v3, 0x4f7ffffe, v3
	v_cvt_u32_f32_e32 v3, v3
	v_mul_lo_u32 v4, s2, v3
	v_mul_hi_u32 v4, v3, v4
	v_add_u32_e32 v3, v3, v4
	v_mul_hi_u32 v3, v0, v3
	v_mul_lo_u32 v4, v3, s6
	v_add_u32_e32 v5, 1, v3
	v_sub_u32_e32 v4, v0, v4
	v_subrev_u32_e32 v6, s6, v4
	v_cmp_le_u32_e32 vcc, s6, v4
	v_cndmask_b32_e32 v4, v4, v6, vcc
	v_cndmask_b32_e32 v3, v3, v5, vcc
	v_add_u32_e32 v5, 1, v3
	v_cmp_le_u32_e32 vcc, s6, v4
	v_cndmask_b32_e32 v6, v3, v5, vcc
.LBB90_7:                               ;   in Loop: Header=BB90_3 Depth=1
	s_or_b64 exec, exec, s[0:1]
	s_waitcnt lgkmcnt(0)
	v_or_b32_e32 v3, s17, v7
	v_cmp_ne_u64_e32 vcc, 0, v[2:3]
                                        ; implicit-def: $vgpr8_vgpr9
	s_and_saveexec_b64 s[0:1], vcc
	s_xor_b64 s[2:3], exec, s[0:1]
	s_cbranch_execz .LBB90_9
; %bb.8:                                ;   in Loop: Header=BB90_3 Depth=1
	s_ashr_i32 s36, s17, 31
	s_add_u32 s0, s16, s36
	s_mov_b32 s37, s36
	s_addc_u32 s1, s17, s36
	s_xor_b64 s[38:39], s[0:1], s[36:37]
	v_cvt_f32_u32_e32 v3, s38
	v_cvt_f32_u32_e32 v4, s39
	s_sub_u32 s37, 0, s38
	s_subb_u32 s40, 0, s39
	v_ashrrev_i32_e32 v5, 31, v7
	v_mac_f32_e32 v3, 0x4f800000, v4
	v_rcp_f32_e32 v3, v3
	v_mul_f32_e32 v3, 0x5f7ffffc, v3
	v_mul_f32_e32 v4, 0x2f800000, v3
	v_trunc_f32_e32 v4, v4
	v_mac_f32_e32 v3, 0xcf800000, v4
	v_cvt_u32_f32_e32 v4, v4
	v_cvt_u32_f32_e32 v3, v3
	v_readfirstlane_b32 s41, v4
	v_readfirstlane_b32 s0, v3
	s_mul_i32 s1, s37, s41
	s_mul_hi_u32 s43, s37, s0
	s_mul_i32 s42, s40, s0
	s_add_i32 s1, s43, s1
	s_add_i32 s1, s1, s42
	s_mul_i32 s44, s37, s0
	s_mul_i32 s43, s0, s1
	s_mul_hi_u32 s45, s0, s44
	s_mul_hi_u32 s42, s0, s1
	s_add_u32 s43, s45, s43
	s_addc_u32 s42, 0, s42
	s_mul_hi_u32 s46, s41, s44
	s_mul_i32 s44, s41, s44
	s_add_u32 s43, s43, s44
	s_mul_hi_u32 s45, s41, s1
	s_addc_u32 s42, s42, s46
	s_addc_u32 s43, s45, 0
	s_mul_i32 s1, s41, s1
	s_add_u32 s1, s42, s1
	s_addc_u32 s42, 0, s43
	s_add_u32 s43, s0, s1
	s_cselect_b64 s[0:1], -1, 0
	s_cmp_lg_u64 s[0:1], 0
	s_addc_u32 s41, s41, s42
	s_mul_i32 s0, s37, s41
	s_mul_hi_u32 s1, s37, s43
	s_add_i32 s0, s1, s0
	s_mul_i32 s40, s40, s43
	s_add_i32 s0, s0, s40
	s_mul_i32 s37, s37, s43
	s_mul_hi_u32 s40, s41, s37
	s_mul_i32 s42, s41, s37
	s_mul_i32 s45, s43, s0
	s_mul_hi_u32 s37, s43, s37
	s_mul_hi_u32 s44, s43, s0
	s_add_u32 s37, s37, s45
	s_addc_u32 s44, 0, s44
	s_add_u32 s37, s37, s42
	s_mul_hi_u32 s1, s41, s0
	s_addc_u32 s37, s44, s40
	s_addc_u32 s1, s1, 0
	s_mul_i32 s0, s41, s0
	s_add_u32 s0, s37, s0
	s_addc_u32 s37, 0, s1
	s_add_u32 s40, s43, s0
	s_cselect_b64 s[0:1], -1, 0
	s_cmp_lg_u64 s[0:1], 0
	v_add_co_u32_e32 v3, vcc, v6, v5
	s_addc_u32 s37, s41, s37
	v_xor_b32_e32 v10, v3, v5
	v_mad_u64_u32 v[3:4], s[0:1], v10, s37, 0
	v_mul_hi_u32 v9, v10, s40
	v_addc_co_u32_e32 v8, vcc, v7, v5, vcc
	v_xor_b32_e32 v11, v8, v5
	v_add_co_u32_e32 v12, vcc, v9, v3
	v_addc_co_u32_e32 v13, vcc, 0, v4, vcc
	v_mad_u64_u32 v[3:4], s[0:1], v11, s40, 0
	v_mad_u64_u32 v[8:9], s[0:1], v11, s37, 0
	v_add_co_u32_e32 v3, vcc, v12, v3
	v_addc_co_u32_e32 v3, vcc, v13, v4, vcc
	v_addc_co_u32_e32 v4, vcc, 0, v9, vcc
	v_add_co_u32_e32 v8, vcc, v3, v8
	v_addc_co_u32_e32 v9, vcc, 0, v4, vcc
	v_mul_lo_u32 v12, s39, v8
	v_mul_lo_u32 v13, s38, v9
	v_mad_u64_u32 v[3:4], s[0:1], s38, v8, 0
	v_xor_b32_e32 v5, s36, v5
	v_add3_u32 v4, v4, v13, v12
	v_sub_u32_e32 v12, v11, v4
	v_mov_b32_e32 v13, s39
	v_sub_co_u32_e32 v3, vcc, v10, v3
	v_subb_co_u32_e64 v10, s[0:1], v12, v13, vcc
	v_subrev_co_u32_e64 v12, s[0:1], s38, v3
	v_subbrev_co_u32_e64 v10, s[0:1], 0, v10, s[0:1]
	v_cmp_le_u32_e64 s[0:1], s39, v10
	v_cndmask_b32_e64 v13, 0, -1, s[0:1]
	v_cmp_le_u32_e64 s[0:1], s38, v12
	v_cndmask_b32_e64 v12, 0, -1, s[0:1]
	v_cmp_eq_u32_e64 s[0:1], s39, v10
	v_cndmask_b32_e64 v10, v13, v12, s[0:1]
	v_add_co_u32_e64 v12, s[0:1], 2, v8
	v_subb_co_u32_e32 v4, vcc, v11, v4, vcc
	v_addc_co_u32_e64 v13, s[0:1], 0, v9, s[0:1]
	v_cmp_le_u32_e32 vcc, s39, v4
	v_add_co_u32_e64 v14, s[0:1], 1, v8
	v_cndmask_b32_e64 v11, 0, -1, vcc
	v_cmp_le_u32_e32 vcc, s38, v3
	v_addc_co_u32_e64 v15, s[0:1], 0, v9, s[0:1]
	v_cndmask_b32_e64 v3, 0, -1, vcc
	v_cmp_eq_u32_e32 vcc, s39, v4
	v_cmp_ne_u32_e64 s[0:1], 0, v10
	v_cndmask_b32_e32 v3, v11, v3, vcc
	v_cmp_ne_u32_e32 vcc, 0, v3
	v_cndmask_b32_e64 v4, v14, v12, s[0:1]
	v_cndmask_b32_e64 v10, v15, v13, s[0:1]
	v_cndmask_b32_e32 v4, v8, v4, vcc
	v_cndmask_b32_e32 v3, v9, v10, vcc
	v_xor_b32_e32 v4, v4, v5
	v_xor_b32_e32 v3, v3, v5
	v_sub_co_u32_e32 v8, vcc, v4, v5
	v_subb_co_u32_e32 v9, vcc, v3, v5, vcc
.LBB90_9:                               ;   in Loop: Header=BB90_3 Depth=1
	s_andn2_saveexec_b64 s[0:1], s[2:3]
	s_cbranch_execz .LBB90_11
; %bb.10:                               ;   in Loop: Header=BB90_3 Depth=1
	v_cvt_f32_u32_e32 v3, s16
	s_sub_i32 s2, 0, s16
	v_mov_b32_e32 v9, v2
	v_rcp_iflag_f32_e32 v3, v3
	v_mul_f32_e32 v3, 0x4f7ffffe, v3
	v_cvt_u32_f32_e32 v3, v3
	v_mul_lo_u32 v4, s2, v3
	v_mul_hi_u32 v4, v3, v4
	v_add_u32_e32 v3, v3, v4
	v_mul_hi_u32 v3, v6, v3
	v_mul_lo_u32 v4, v3, s16
	v_add_u32_e32 v5, 1, v3
	v_sub_u32_e32 v4, v6, v4
	v_subrev_u32_e32 v8, s16, v4
	v_cmp_le_u32_e32 vcc, s16, v4
	v_cndmask_b32_e32 v4, v4, v8, vcc
	v_cndmask_b32_e32 v3, v3, v5, vcc
	v_add_u32_e32 v5, 1, v3
	v_cmp_le_u32_e32 vcc, s16, v4
	v_cndmask_b32_e32 v8, v3, v5, vcc
.LBB90_11:                              ;   in Loop: Header=BB90_3 Depth=1
	s_or_b64 exec, exec, s[0:1]
	v_mul_lo_u32 v5, v7, s6
	v_mul_lo_u32 v10, v6, s7
	v_mad_u64_u32 v[3:4], s[0:1], v6, s6, 0
	v_mul_lo_u32 v12, v9, s16
	v_mul_lo_u32 v13, v8, s17
	v_add3_u32 v5, v4, v10, v5
	v_mad_u64_u32 v[10:11], s[0:1], v8, s16, 0
	v_sub_co_u32_e32 v4, vcc, v0, v3
	v_subb_co_u32_e32 v5, vcc, v1, v5, vcc
	v_add3_u32 v3, v11, v13, v12
	v_sub_co_u32_e32 v18, vcc, v6, v10
	v_subb_co_u32_e32 v19, vcc, v7, v3, vcc
	v_sub_co_u32_e32 v6, vcc, v4, v18
	v_subb_co_u32_e32 v7, vcc, v5, v19, vcc
	v_cmp_gt_i64_e32 vcc, s[8:9], v[6:7]
	s_and_saveexec_b64 s[36:37], vcc
	s_cbranch_execz .LBB90_2
; %bb.12:                               ;   in Loop: Header=BB90_3 Depth=1
	s_load_dwordx4 s[0:3], s[18:19], 0xc0
	s_andn2_b64 vcc, exec, s[14:15]
	s_waitcnt lgkmcnt(0)
	v_mul_lo_u32 v3, s3, v4
	v_mul_lo_u32 v10, s2, v5
	v_mad_u64_u32 v[6:7], s[38:39], s2, v4, 0
	v_mul_lo_u32 v11, s0, v19
	v_add3_u32 v7, v7, v10, v3
	v_mad_u64_u32 v[6:7], s[38:39], s0, v18, v[6:7]
	v_mul_lo_u32 v3, s1, v18
	v_add3_u32 v7, v3, v7, v11
	s_cbranch_vccnz .LBB90_38
; %bb.13:                               ;   in Loop: Header=BB90_3 Depth=1
	s_andn2_b64 vcc, exec, s[26:27]
	s_mov_b64 s[38:39], s[24:25]
	s_mov_b64 s[40:41], s[34:35]
	;; [unrolled: 1-line block ×4, first 2 shown]
	s_cbranch_vccz .LBB90_17
.LBB90_14:                              ;   in Loop: Header=BB90_3 Depth=1
	s_andn2_b64 vcc, exec, s[28:29]
	s_cbranch_vccnz .LBB90_38
; %bb.15:                               ;   in Loop: Header=BB90_3 Depth=1
	s_lshl_b64 s[0:1], s[42:43], 3
	s_add_u32 s38, s64, s0
	s_addc_u32 s39, s65, s1
	s_add_u32 s40, s66, s0
	s_addc_u32 s41, s67, s1
	;; [unrolled: 2-line block ×3, first 2 shown]
	s_branch .LBB90_22
.LBB90_16:                              ;   in Loop: Header=BB90_17 Depth=2
	s_or_b64 exec, exec, s[0:1]
	v_mul_lo_u32 v3, v11, s46
	v_mul_lo_u32 v14, v10, s47
	v_mad_u64_u32 v[12:13], s[0:1], v10, s46, 0
	s_load_dwordx2 s[0:1], s[44:45], 0x0
	s_add_u32 s42, s42, -1
	v_add3_u32 v3, v13, v14, v3
	v_sub_co_u32_e32 v8, vcc, v8, v12
	s_addc_u32 s43, s43, -1
	v_subb_co_u32_e32 v3, vcc, v9, v3, vcc
	s_add_u32 s44, s44, -8
	s_waitcnt lgkmcnt(0)
	v_mul_lo_u32 v3, s0, v3
	v_mul_lo_u32 v9, s1, v8
	v_mad_u64_u32 v[6:7], s[0:1], s0, v8, v[6:7]
	s_addc_u32 s45, s45, -1
	s_add_u32 s40, s40, -8
	s_addc_u32 s41, s41, -1
	s_add_u32 s38, s38, -1
	s_addc_u32 s39, s39, -1
	v_add3_u32 v7, v9, v7, v3
	v_mov_b32_e32 v8, v10
	s_cmp_lg_u64 s[38:39], 0
	v_mov_b32_e32 v9, v11
	s_cbranch_scc0 .LBB90_14
.LBB90_17:                              ;   Parent Loop BB90_3 Depth=1
                                        ; =>  This Inner Loop Header: Depth=2
	s_load_dwordx2 s[46:47], s[40:41], 0x0
                                        ; implicit-def: $vgpr10_vgpr11
	s_waitcnt lgkmcnt(0)
	v_or_b32_e32 v3, s47, v9
	v_cmp_ne_u64_e32 vcc, 0, v[2:3]
	s_and_saveexec_b64 s[0:1], vcc
	s_xor_b64 s[48:49], exec, s[0:1]
	s_cbranch_execz .LBB90_19
; %bb.18:                               ;   in Loop: Header=BB90_17 Depth=2
	s_ashr_i32 s50, s47, 31
	s_add_u32 s0, s46, s50
	s_mov_b32 s51, s50
	s_addc_u32 s1, s47, s50
	s_xor_b64 s[52:53], s[0:1], s[50:51]
	v_cvt_f32_u32_e32 v3, s52
	v_cvt_f32_u32_e32 v10, s53
	s_sub_u32 s51, 0, s52
	s_subb_u32 s54, 0, s53
	v_mac_f32_e32 v3, 0x4f800000, v10
	v_rcp_f32_e32 v3, v3
	v_mul_f32_e32 v3, 0x5f7ffffc, v3
	v_mul_f32_e32 v10, 0x2f800000, v3
	v_trunc_f32_e32 v10, v10
	v_mac_f32_e32 v3, 0xcf800000, v10
	v_cvt_u32_f32_e32 v10, v10
	v_cvt_u32_f32_e32 v3, v3
	v_readfirstlane_b32 s55, v10
	v_readfirstlane_b32 s0, v3
	s_mul_i32 s1, s51, s55
	s_mul_hi_u32 s57, s51, s0
	s_mul_i32 s56, s54, s0
	s_add_i32 s1, s57, s1
	s_add_i32 s1, s1, s56
	s_mul_i32 s58, s51, s0
	s_mul_i32 s57, s0, s1
	s_mul_hi_u32 s59, s0, s58
	s_mul_hi_u32 s56, s0, s1
	s_add_u32 s57, s59, s57
	s_addc_u32 s56, 0, s56
	s_mul_hi_u32 s60, s55, s58
	s_mul_i32 s58, s55, s58
	s_add_u32 s57, s57, s58
	s_mul_hi_u32 s59, s55, s1
	s_addc_u32 s56, s56, s60
	s_addc_u32 s57, s59, 0
	s_mul_i32 s1, s55, s1
	s_add_u32 s1, s56, s1
	s_addc_u32 s56, 0, s57
	s_add_u32 s57, s0, s1
	s_cselect_b64 s[0:1], -1, 0
	s_cmp_lg_u64 s[0:1], 0
	s_addc_u32 s55, s55, s56
	s_mul_i32 s0, s51, s55
	s_mul_hi_u32 s1, s51, s57
	s_add_i32 s0, s1, s0
	s_mul_i32 s54, s54, s57
	s_add_i32 s0, s0, s54
	s_mul_i32 s51, s51, s57
	s_mul_hi_u32 s54, s55, s51
	s_mul_i32 s56, s55, s51
	s_mul_i32 s59, s57, s0
	s_mul_hi_u32 s51, s57, s51
	s_mul_hi_u32 s58, s57, s0
	s_add_u32 s51, s51, s59
	s_addc_u32 s58, 0, s58
	s_add_u32 s51, s51, s56
	s_mul_hi_u32 s1, s55, s0
	s_addc_u32 s51, s58, s54
	s_addc_u32 s1, s1, 0
	s_mul_i32 s0, s55, s0
	s_add_u32 s0, s51, s0
	s_addc_u32 s51, 0, s1
	s_add_u32 s54, s57, s0
	s_cselect_b64 s[0:1], -1, 0
	v_ashrrev_i32_e32 v3, 31, v9
	s_cmp_lg_u64 s[0:1], 0
	v_add_co_u32_e32 v10, vcc, v8, v3
	s_addc_u32 s51, s55, s51
	v_xor_b32_e32 v14, v10, v3
	v_mad_u64_u32 v[10:11], s[0:1], v14, s51, 0
	v_mul_hi_u32 v13, v14, s54
	v_addc_co_u32_e32 v12, vcc, v9, v3, vcc
	v_xor_b32_e32 v15, v12, v3
	v_add_co_u32_e32 v16, vcc, v13, v10
	v_addc_co_u32_e32 v17, vcc, 0, v11, vcc
	v_mad_u64_u32 v[10:11], s[0:1], v15, s54, 0
	v_mad_u64_u32 v[12:13], s[0:1], v15, s51, 0
	v_add_co_u32_e32 v10, vcc, v16, v10
	v_addc_co_u32_e32 v10, vcc, v17, v11, vcc
	v_addc_co_u32_e32 v11, vcc, 0, v13, vcc
	v_add_co_u32_e32 v12, vcc, v10, v12
	v_addc_co_u32_e32 v13, vcc, 0, v11, vcc
	v_mul_lo_u32 v16, s53, v12
	v_mul_lo_u32 v17, s52, v13
	v_mad_u64_u32 v[10:11], s[0:1], s52, v12, 0
	v_xor_b32_e32 v3, s50, v3
	v_add3_u32 v11, v11, v17, v16
	v_sub_u32_e32 v16, v15, v11
	v_mov_b32_e32 v17, s53
	v_sub_co_u32_e32 v10, vcc, v14, v10
	v_subb_co_u32_e64 v14, s[0:1], v16, v17, vcc
	v_subrev_co_u32_e64 v16, s[0:1], s52, v10
	v_subbrev_co_u32_e64 v14, s[0:1], 0, v14, s[0:1]
	v_cmp_le_u32_e64 s[0:1], s53, v14
	v_cndmask_b32_e64 v17, 0, -1, s[0:1]
	v_cmp_le_u32_e64 s[0:1], s52, v16
	v_cndmask_b32_e64 v16, 0, -1, s[0:1]
	v_cmp_eq_u32_e64 s[0:1], s53, v14
	v_cndmask_b32_e64 v14, v17, v16, s[0:1]
	v_add_co_u32_e64 v16, s[0:1], 2, v12
	v_subb_co_u32_e32 v11, vcc, v15, v11, vcc
	v_addc_co_u32_e64 v17, s[0:1], 0, v13, s[0:1]
	v_cmp_le_u32_e32 vcc, s53, v11
	v_add_co_u32_e64 v20, s[0:1], 1, v12
	v_cndmask_b32_e64 v15, 0, -1, vcc
	v_cmp_le_u32_e32 vcc, s52, v10
	v_addc_co_u32_e64 v21, s[0:1], 0, v13, s[0:1]
	v_cndmask_b32_e64 v10, 0, -1, vcc
	v_cmp_eq_u32_e32 vcc, s53, v11
	v_cmp_ne_u32_e64 s[0:1], 0, v14
	v_cndmask_b32_e32 v10, v15, v10, vcc
	v_cndmask_b32_e64 v14, v21, v17, s[0:1]
	v_cmp_ne_u32_e32 vcc, 0, v10
	v_cndmask_b32_e64 v11, v20, v16, s[0:1]
	v_cndmask_b32_e32 v10, v13, v14, vcc
	v_cndmask_b32_e32 v11, v12, v11, vcc
	v_xor_b32_e32 v12, v10, v3
	v_xor_b32_e32 v10, v11, v3
	v_sub_co_u32_e32 v10, vcc, v10, v3
	v_subb_co_u32_e32 v11, vcc, v12, v3, vcc
.LBB90_19:                              ;   in Loop: Header=BB90_17 Depth=2
	s_andn2_saveexec_b64 s[0:1], s[48:49]
	s_cbranch_execz .LBB90_16
; %bb.20:                               ;   in Loop: Header=BB90_17 Depth=2
	v_cvt_f32_u32_e32 v3, s46
	s_sub_i32 s48, 0, s46
	v_rcp_iflag_f32_e32 v3, v3
	v_mul_f32_e32 v3, 0x4f7ffffe, v3
	v_cvt_u32_f32_e32 v3, v3
	v_mul_lo_u32 v10, s48, v3
	v_mul_hi_u32 v10, v3, v10
	v_add_u32_e32 v3, v3, v10
	v_mul_hi_u32 v3, v8, v3
	v_mul_lo_u32 v10, v3, s46
	v_add_u32_e32 v11, 1, v3
	v_sub_u32_e32 v10, v8, v10
	v_subrev_u32_e32 v12, s46, v10
	v_cmp_le_u32_e32 vcc, s46, v10
	v_cndmask_b32_e32 v10, v10, v12, vcc
	v_cndmask_b32_e32 v3, v3, v11, vcc
	v_add_u32_e32 v11, 1, v3
	v_cmp_le_u32_e32 vcc, s46, v10
	v_cndmask_b32_e32 v10, v3, v11, vcc
	v_mov_b32_e32 v11, v2
	s_branch .LBB90_16
.LBB90_21:                              ;   in Loop: Header=BB90_22 Depth=2
	s_or_b64 exec, exec, s[0:1]
	v_mul_lo_u32 v3, v11, s44
	v_mul_lo_u32 v22, v10, s45
	v_mad_u64_u32 v[20:21], s[0:1], v10, s44, 0
	v_add3_u32 v3, v21, v22, v3
	v_sub_co_u32_e32 v8, vcc, v8, v20
	v_subb_co_u32_e32 v3, vcc, v9, v3, vcc
	v_mul_lo_u32 v3, s48, v3
	v_mul_lo_u32 v20, s49, v8
	v_mad_u64_u32 v[6:7], s[0:1], s48, v8, v[6:7]
	v_mul_lo_u32 v21, v13, s46
	v_mul_lo_u32 v22, v12, s47
	v_mad_u64_u32 v[8:9], s[0:1], v12, s46, 0
	v_add3_u32 v7, v20, v7, v3
	v_mul_lo_u32 v20, v14, s51
	v_add3_u32 v3, v9, v22, v21
	v_sub_co_u32_e32 v8, vcc, v10, v8
	v_subb_co_u32_e32 v3, vcc, v11, v3, vcc
	v_mad_u64_u32 v[6:7], s[0:1], s52, v8, v[6:7]
	v_mul_lo_u32 v3, s52, v3
	v_mul_lo_u32 v10, s53, v8
	;; [unrolled: 1-line block ×3, first 2 shown]
	v_mad_u64_u32 v[8:9], s[0:1], v14, s50, 0
	v_add3_u32 v7, v10, v7, v3
	v_add3_u32 v3, v9, v20, v11
	v_sub_co_u32_e32 v8, vcc, v12, v8
	v_subb_co_u32_e32 v3, vcc, v13, v3, vcc
	v_mad_u64_u32 v[6:7], s[0:1], s56, v8, v[6:7]
	v_mul_lo_u32 v3, s56, v3
	v_mul_lo_u32 v10, s57, v8
	;; [unrolled: 1-line block ×4, first 2 shown]
	v_mad_u64_u32 v[8:9], s[0:1], v16, s54, 0
	s_load_dwordx2 s[0:1], s[38:39], 0x0
	v_add3_u32 v7, v10, v7, v3
	v_add3_u32 v3, v9, v12, v11
	v_sub_co_u32_e32 v8, vcc, v14, v8
	v_subb_co_u32_e32 v3, vcc, v15, v3, vcc
	s_add_u32 s38, s38, 0xffffffe0
	s_waitcnt lgkmcnt(0)
	v_mad_u64_u32 v[6:7], s[44:45], s0, v8, v[6:7]
	v_mul_lo_u32 v3, s0, v3
	v_mul_lo_u32 v8, s1, v8
	s_addc_u32 s39, s39, -1
	s_add_u32 s40, s40, 0xffffffe0
	s_addc_u32 s41, s41, -1
	s_add_u32 s42, s42, -4
	v_add3_u32 v7, v8, v7, v3
	s_addc_u32 s43, s43, -1
	v_mov_b32_e32 v8, v16
	s_cmp_eq_u64 s[42:43], 0
	v_mov_b32_e32 v9, v17
	s_cbranch_scc1 .LBB90_38
.LBB90_22:                              ;   Parent Loop BB90_3 Depth=1
                                        ; =>  This Inner Loop Header: Depth=2
	s_load_dwordx2 s[44:45], s[40:41], 0x18
                                        ; implicit-def: $vgpr10_vgpr11
	s_waitcnt lgkmcnt(0)
	v_or_b32_e32 v3, s45, v9
	v_cmp_ne_u64_e32 vcc, 0, v[2:3]
	s_and_saveexec_b64 s[0:1], vcc
	s_xor_b64 s[46:47], exec, s[0:1]
	s_cbranch_execz .LBB90_24
; %bb.23:                               ;   in Loop: Header=BB90_22 Depth=2
	s_ashr_i32 s48, s45, 31
	s_add_u32 s0, s44, s48
	s_mov_b32 s49, s48
	s_addc_u32 s1, s45, s48
	s_xor_b64 s[50:51], s[0:1], s[48:49]
	v_cvt_f32_u32_e32 v3, s50
	v_cvt_f32_u32_e32 v10, s51
	s_sub_u32 s49, 0, s50
	s_subb_u32 s52, 0, s51
	v_mac_f32_e32 v3, 0x4f800000, v10
	v_rcp_f32_e32 v3, v3
	v_mul_f32_e32 v3, 0x5f7ffffc, v3
	v_mul_f32_e32 v10, 0x2f800000, v3
	v_trunc_f32_e32 v10, v10
	v_mac_f32_e32 v3, 0xcf800000, v10
	v_cvt_u32_f32_e32 v10, v10
	v_cvt_u32_f32_e32 v3, v3
	v_readfirstlane_b32 s53, v10
	v_readfirstlane_b32 s0, v3
	s_mul_i32 s1, s49, s53
	s_mul_hi_u32 s55, s49, s0
	s_mul_i32 s54, s52, s0
	s_add_i32 s1, s55, s1
	s_add_i32 s1, s1, s54
	s_mul_i32 s56, s49, s0
	s_mul_i32 s55, s0, s1
	s_mul_hi_u32 s57, s0, s56
	s_mul_hi_u32 s54, s0, s1
	s_add_u32 s55, s57, s55
	s_addc_u32 s54, 0, s54
	s_mul_hi_u32 s58, s53, s56
	s_mul_i32 s56, s53, s56
	s_add_u32 s55, s55, s56
	s_mul_hi_u32 s57, s53, s1
	s_addc_u32 s54, s54, s58
	s_addc_u32 s55, s57, 0
	s_mul_i32 s1, s53, s1
	s_add_u32 s1, s54, s1
	s_addc_u32 s54, 0, s55
	s_add_u32 s55, s0, s1
	s_cselect_b64 s[0:1], -1, 0
	s_cmp_lg_u64 s[0:1], 0
	s_addc_u32 s53, s53, s54
	s_mul_i32 s0, s49, s53
	s_mul_hi_u32 s1, s49, s55
	s_add_i32 s0, s1, s0
	s_mul_i32 s52, s52, s55
	s_add_i32 s0, s0, s52
	s_mul_i32 s49, s49, s55
	s_mul_hi_u32 s52, s53, s49
	s_mul_i32 s54, s53, s49
	s_mul_i32 s57, s55, s0
	s_mul_hi_u32 s49, s55, s49
	s_mul_hi_u32 s56, s55, s0
	s_add_u32 s49, s49, s57
	s_addc_u32 s56, 0, s56
	s_add_u32 s49, s49, s54
	s_mul_hi_u32 s1, s53, s0
	s_addc_u32 s49, s56, s52
	s_addc_u32 s1, s1, 0
	s_mul_i32 s0, s53, s0
	s_add_u32 s0, s49, s0
	s_addc_u32 s49, 0, s1
	s_add_u32 s52, s55, s0
	s_cselect_b64 s[0:1], -1, 0
	v_ashrrev_i32_e32 v3, 31, v9
	s_cmp_lg_u64 s[0:1], 0
	v_add_co_u32_e32 v10, vcc, v8, v3
	s_addc_u32 s49, s53, s49
	v_xor_b32_e32 v14, v10, v3
	v_mad_u64_u32 v[10:11], s[0:1], v14, s49, 0
	v_mul_hi_u32 v13, v14, s52
	v_addc_co_u32_e32 v12, vcc, v9, v3, vcc
	v_xor_b32_e32 v15, v12, v3
	v_add_co_u32_e32 v16, vcc, v13, v10
	v_addc_co_u32_e32 v17, vcc, 0, v11, vcc
	v_mad_u64_u32 v[10:11], s[0:1], v15, s52, 0
	v_mad_u64_u32 v[12:13], s[0:1], v15, s49, 0
	v_add_co_u32_e32 v10, vcc, v16, v10
	v_addc_co_u32_e32 v10, vcc, v17, v11, vcc
	v_addc_co_u32_e32 v11, vcc, 0, v13, vcc
	v_add_co_u32_e32 v12, vcc, v10, v12
	v_addc_co_u32_e32 v13, vcc, 0, v11, vcc
	v_mul_lo_u32 v16, s51, v12
	v_mul_lo_u32 v17, s50, v13
	v_mad_u64_u32 v[10:11], s[0:1], s50, v12, 0
	v_xor_b32_e32 v3, s48, v3
	v_add3_u32 v11, v11, v17, v16
	v_sub_u32_e32 v16, v15, v11
	v_mov_b32_e32 v17, s51
	v_sub_co_u32_e32 v10, vcc, v14, v10
	v_subb_co_u32_e64 v14, s[0:1], v16, v17, vcc
	v_subrev_co_u32_e64 v16, s[0:1], s50, v10
	v_subbrev_co_u32_e64 v14, s[0:1], 0, v14, s[0:1]
	v_cmp_le_u32_e64 s[0:1], s51, v14
	v_cndmask_b32_e64 v17, 0, -1, s[0:1]
	v_cmp_le_u32_e64 s[0:1], s50, v16
	v_cndmask_b32_e64 v16, 0, -1, s[0:1]
	v_cmp_eq_u32_e64 s[0:1], s51, v14
	v_cndmask_b32_e64 v14, v17, v16, s[0:1]
	v_add_co_u32_e64 v16, s[0:1], 2, v12
	v_subb_co_u32_e32 v11, vcc, v15, v11, vcc
	v_addc_co_u32_e64 v17, s[0:1], 0, v13, s[0:1]
	v_cmp_le_u32_e32 vcc, s51, v11
	v_add_co_u32_e64 v20, s[0:1], 1, v12
	v_cndmask_b32_e64 v15, 0, -1, vcc
	v_cmp_le_u32_e32 vcc, s50, v10
	v_addc_co_u32_e64 v21, s[0:1], 0, v13, s[0:1]
	v_cndmask_b32_e64 v10, 0, -1, vcc
	v_cmp_eq_u32_e32 vcc, s51, v11
	v_cmp_ne_u32_e64 s[0:1], 0, v14
	v_cndmask_b32_e32 v10, v15, v10, vcc
	v_cndmask_b32_e64 v14, v21, v17, s[0:1]
	v_cmp_ne_u32_e32 vcc, 0, v10
	v_cndmask_b32_e64 v11, v20, v16, s[0:1]
	v_cndmask_b32_e32 v10, v13, v14, vcc
	v_cndmask_b32_e32 v11, v12, v11, vcc
	v_xor_b32_e32 v12, v10, v3
	v_xor_b32_e32 v10, v11, v3
	v_sub_co_u32_e32 v10, vcc, v10, v3
	v_subb_co_u32_e32 v11, vcc, v12, v3, vcc
.LBB90_24:                              ;   in Loop: Header=BB90_22 Depth=2
	s_andn2_saveexec_b64 s[0:1], s[46:47]
	s_cbranch_execz .LBB90_26
; %bb.25:                               ;   in Loop: Header=BB90_22 Depth=2
	v_cvt_f32_u32_e32 v3, s44
	s_sub_i32 s46, 0, s44
	v_rcp_iflag_f32_e32 v3, v3
	v_mul_f32_e32 v3, 0x4f7ffffe, v3
	v_cvt_u32_f32_e32 v3, v3
	v_mul_lo_u32 v10, s46, v3
	v_mul_hi_u32 v10, v3, v10
	v_add_u32_e32 v3, v3, v10
	v_mul_hi_u32 v3, v8, v3
	v_mul_lo_u32 v10, v3, s44
	v_add_u32_e32 v11, 1, v3
	v_sub_u32_e32 v10, v8, v10
	v_subrev_u32_e32 v12, s44, v10
	v_cmp_le_u32_e32 vcc, s44, v10
	v_cndmask_b32_e32 v10, v10, v12, vcc
	v_cndmask_b32_e32 v3, v3, v11, vcc
	v_add_u32_e32 v11, 1, v3
	v_cmp_le_u32_e32 vcc, s44, v10
	v_cndmask_b32_e32 v10, v3, v11, vcc
	v_mov_b32_e32 v11, v2
.LBB90_26:                              ;   in Loop: Header=BB90_22 Depth=2
	s_or_b64 exec, exec, s[0:1]
	s_load_dwordx2 s[46:47], s[40:41], 0x10
	s_load_dwordx2 s[48:49], s[38:39], 0x18
                                        ; implicit-def: $vgpr12_vgpr13
	s_waitcnt lgkmcnt(0)
	v_or_b32_e32 v3, s47, v11
	v_cmp_ne_u64_e32 vcc, 0, v[2:3]
	s_and_saveexec_b64 s[0:1], vcc
	s_xor_b64 s[50:51], exec, s[0:1]
	s_cbranch_execz .LBB90_28
; %bb.27:                               ;   in Loop: Header=BB90_22 Depth=2
	s_ashr_i32 s52, s47, 31
	s_add_u32 s0, s46, s52
	s_mov_b32 s53, s52
	s_addc_u32 s1, s47, s52
	s_xor_b64 s[54:55], s[0:1], s[52:53]
	v_cvt_f32_u32_e32 v3, s54
	v_cvt_f32_u32_e32 v12, s55
	s_sub_u32 s53, 0, s54
	s_subb_u32 s56, 0, s55
	v_mac_f32_e32 v3, 0x4f800000, v12
	v_rcp_f32_e32 v3, v3
	v_mul_f32_e32 v3, 0x5f7ffffc, v3
	v_mul_f32_e32 v12, 0x2f800000, v3
	v_trunc_f32_e32 v12, v12
	v_mac_f32_e32 v3, 0xcf800000, v12
	v_cvt_u32_f32_e32 v12, v12
	v_cvt_u32_f32_e32 v3, v3
	v_readfirstlane_b32 s57, v12
	v_readfirstlane_b32 s0, v3
	s_mul_i32 s1, s53, s57
	s_mul_hi_u32 s59, s53, s0
	s_mul_i32 s58, s56, s0
	s_add_i32 s1, s59, s1
	s_add_i32 s1, s1, s58
	s_mul_i32 s60, s53, s0
	s_mul_i32 s59, s0, s1
	s_mul_hi_u32 s61, s0, s60
	s_mul_hi_u32 s58, s0, s1
	s_add_u32 s59, s61, s59
	s_addc_u32 s58, 0, s58
	s_mul_hi_u32 s62, s57, s60
	s_mul_i32 s60, s57, s60
	s_add_u32 s59, s59, s60
	s_mul_hi_u32 s61, s57, s1
	s_addc_u32 s58, s58, s62
	s_addc_u32 s59, s61, 0
	s_mul_i32 s1, s57, s1
	s_add_u32 s1, s58, s1
	s_addc_u32 s58, 0, s59
	s_add_u32 s59, s0, s1
	s_cselect_b64 s[0:1], -1, 0
	s_cmp_lg_u64 s[0:1], 0
	s_addc_u32 s57, s57, s58
	s_mul_i32 s0, s53, s57
	s_mul_hi_u32 s1, s53, s59
	s_add_i32 s0, s1, s0
	s_mul_i32 s56, s56, s59
	s_add_i32 s0, s0, s56
	s_mul_i32 s53, s53, s59
	s_mul_hi_u32 s56, s57, s53
	s_mul_i32 s58, s57, s53
	s_mul_i32 s61, s59, s0
	s_mul_hi_u32 s53, s59, s53
	s_mul_hi_u32 s60, s59, s0
	s_add_u32 s53, s53, s61
	s_addc_u32 s60, 0, s60
	s_add_u32 s53, s53, s58
	s_mul_hi_u32 s1, s57, s0
	s_addc_u32 s53, s60, s56
	s_addc_u32 s1, s1, 0
	s_mul_i32 s0, s57, s0
	s_add_u32 s0, s53, s0
	s_addc_u32 s53, 0, s1
	s_add_u32 s56, s59, s0
	s_cselect_b64 s[0:1], -1, 0
	v_ashrrev_i32_e32 v3, 31, v11
	s_cmp_lg_u64 s[0:1], 0
	v_add_co_u32_e32 v12, vcc, v10, v3
	s_addc_u32 s53, s57, s53
	v_xor_b32_e32 v16, v12, v3
	v_mad_u64_u32 v[12:13], s[0:1], v16, s53, 0
	v_mul_hi_u32 v15, v16, s56
	v_addc_co_u32_e32 v14, vcc, v11, v3, vcc
	v_xor_b32_e32 v17, v14, v3
	v_add_co_u32_e32 v20, vcc, v15, v12
	v_addc_co_u32_e32 v21, vcc, 0, v13, vcc
	v_mad_u64_u32 v[12:13], s[0:1], v17, s56, 0
	v_mad_u64_u32 v[14:15], s[0:1], v17, s53, 0
	v_add_co_u32_e32 v12, vcc, v20, v12
	v_addc_co_u32_e32 v12, vcc, v21, v13, vcc
	v_addc_co_u32_e32 v13, vcc, 0, v15, vcc
	v_add_co_u32_e32 v14, vcc, v12, v14
	v_addc_co_u32_e32 v15, vcc, 0, v13, vcc
	v_mul_lo_u32 v20, s55, v14
	v_mul_lo_u32 v21, s54, v15
	v_mad_u64_u32 v[12:13], s[0:1], s54, v14, 0
	v_xor_b32_e32 v3, s52, v3
	v_add3_u32 v13, v13, v21, v20
	v_sub_u32_e32 v20, v17, v13
	v_mov_b32_e32 v21, s55
	v_sub_co_u32_e32 v12, vcc, v16, v12
	v_subb_co_u32_e64 v16, s[0:1], v20, v21, vcc
	v_subrev_co_u32_e64 v20, s[0:1], s54, v12
	v_subbrev_co_u32_e64 v16, s[0:1], 0, v16, s[0:1]
	v_cmp_le_u32_e64 s[0:1], s55, v16
	v_cndmask_b32_e64 v21, 0, -1, s[0:1]
	v_cmp_le_u32_e64 s[0:1], s54, v20
	v_cndmask_b32_e64 v20, 0, -1, s[0:1]
	v_cmp_eq_u32_e64 s[0:1], s55, v16
	v_cndmask_b32_e64 v16, v21, v20, s[0:1]
	v_add_co_u32_e64 v20, s[0:1], 2, v14
	v_subb_co_u32_e32 v13, vcc, v17, v13, vcc
	v_addc_co_u32_e64 v21, s[0:1], 0, v15, s[0:1]
	v_cmp_le_u32_e32 vcc, s55, v13
	v_add_co_u32_e64 v22, s[0:1], 1, v14
	v_cndmask_b32_e64 v17, 0, -1, vcc
	v_cmp_le_u32_e32 vcc, s54, v12
	v_addc_co_u32_e64 v23, s[0:1], 0, v15, s[0:1]
	v_cndmask_b32_e64 v12, 0, -1, vcc
	v_cmp_eq_u32_e32 vcc, s55, v13
	v_cmp_ne_u32_e64 s[0:1], 0, v16
	v_cndmask_b32_e32 v12, v17, v12, vcc
	v_cndmask_b32_e64 v16, v23, v21, s[0:1]
	v_cmp_ne_u32_e32 vcc, 0, v12
	v_cndmask_b32_e64 v13, v22, v20, s[0:1]
	v_cndmask_b32_e32 v12, v15, v16, vcc
	v_cndmask_b32_e32 v13, v14, v13, vcc
	v_xor_b32_e32 v14, v12, v3
	v_xor_b32_e32 v12, v13, v3
	v_sub_co_u32_e32 v12, vcc, v12, v3
	v_subb_co_u32_e32 v13, vcc, v14, v3, vcc
.LBB90_28:                              ;   in Loop: Header=BB90_22 Depth=2
	s_andn2_saveexec_b64 s[0:1], s[50:51]
	s_cbranch_execz .LBB90_30
; %bb.29:                               ;   in Loop: Header=BB90_22 Depth=2
	v_cvt_f32_u32_e32 v3, s46
	s_sub_i32 s50, 0, s46
	v_rcp_iflag_f32_e32 v3, v3
	v_mul_f32_e32 v3, 0x4f7ffffe, v3
	v_cvt_u32_f32_e32 v3, v3
	v_mul_lo_u32 v12, s50, v3
	v_mul_hi_u32 v12, v3, v12
	v_add_u32_e32 v3, v3, v12
	v_mul_hi_u32 v3, v10, v3
	v_mul_lo_u32 v12, v3, s46
	v_add_u32_e32 v13, 1, v3
	v_sub_u32_e32 v12, v10, v12
	v_subrev_u32_e32 v14, s46, v12
	v_cmp_le_u32_e32 vcc, s46, v12
	v_cndmask_b32_e32 v12, v12, v14, vcc
	v_cndmask_b32_e32 v3, v3, v13, vcc
	v_add_u32_e32 v13, 1, v3
	v_cmp_le_u32_e32 vcc, s46, v12
	v_cndmask_b32_e32 v12, v3, v13, vcc
	v_mov_b32_e32 v13, v2
.LBB90_30:                              ;   in Loop: Header=BB90_22 Depth=2
	s_or_b64 exec, exec, s[0:1]
	s_load_dwordx2 s[50:51], s[40:41], 0x8
	s_load_dwordx2 s[52:53], s[38:39], 0x10
                                        ; implicit-def: $vgpr14_vgpr15
	s_waitcnt lgkmcnt(0)
	v_or_b32_e32 v3, s51, v13
	v_cmp_ne_u64_e32 vcc, 0, v[2:3]
	s_and_saveexec_b64 s[0:1], vcc
	s_xor_b64 s[54:55], exec, s[0:1]
	s_cbranch_execz .LBB90_32
; %bb.31:                               ;   in Loop: Header=BB90_22 Depth=2
	s_ashr_i32 s56, s51, 31
	s_add_u32 s0, s50, s56
	s_mov_b32 s57, s56
	s_addc_u32 s1, s51, s56
	s_xor_b64 s[58:59], s[0:1], s[56:57]
	v_cvt_f32_u32_e32 v3, s58
	v_cvt_f32_u32_e32 v14, s59
	s_sub_u32 s57, 0, s58
	s_subb_u32 s60, 0, s59
	v_mac_f32_e32 v3, 0x4f800000, v14
	v_rcp_f32_e32 v3, v3
	v_mul_f32_e32 v3, 0x5f7ffffc, v3
	v_mul_f32_e32 v14, 0x2f800000, v3
	v_trunc_f32_e32 v14, v14
	v_mac_f32_e32 v3, 0xcf800000, v14
	v_cvt_u32_f32_e32 v14, v14
	v_cvt_u32_f32_e32 v3, v3
	v_readfirstlane_b32 s61, v14
	v_readfirstlane_b32 s0, v3
	s_mul_i32 s1, s57, s61
	s_mul_hi_u32 s63, s57, s0
	s_mul_i32 s62, s60, s0
	s_add_i32 s1, s63, s1
	s_add_i32 s1, s1, s62
	s_mul_i32 s68, s57, s0
	s_mul_i32 s63, s0, s1
	s_mul_hi_u32 s69, s0, s68
	s_mul_hi_u32 s62, s0, s1
	s_add_u32 s63, s69, s63
	s_addc_u32 s62, 0, s62
	s_mul_hi_u32 s70, s61, s68
	s_mul_i32 s68, s61, s68
	s_add_u32 s63, s63, s68
	s_mul_hi_u32 s69, s61, s1
	s_addc_u32 s62, s62, s70
	s_addc_u32 s63, s69, 0
	s_mul_i32 s1, s61, s1
	s_add_u32 s1, s62, s1
	s_addc_u32 s62, 0, s63
	s_add_u32 s63, s0, s1
	s_cselect_b64 s[0:1], -1, 0
	s_cmp_lg_u64 s[0:1], 0
	s_addc_u32 s61, s61, s62
	s_mul_i32 s0, s57, s61
	s_mul_hi_u32 s1, s57, s63
	s_add_i32 s0, s1, s0
	s_mul_i32 s60, s60, s63
	s_add_i32 s0, s0, s60
	s_mul_i32 s57, s57, s63
	s_mul_hi_u32 s60, s61, s57
	s_mul_i32 s62, s61, s57
	s_mul_i32 s69, s63, s0
	s_mul_hi_u32 s57, s63, s57
	s_mul_hi_u32 s68, s63, s0
	s_add_u32 s57, s57, s69
	s_addc_u32 s68, 0, s68
	s_add_u32 s57, s57, s62
	s_mul_hi_u32 s1, s61, s0
	s_addc_u32 s57, s68, s60
	s_addc_u32 s1, s1, 0
	s_mul_i32 s0, s61, s0
	s_add_u32 s0, s57, s0
	s_addc_u32 s57, 0, s1
	s_add_u32 s60, s63, s0
	s_cselect_b64 s[0:1], -1, 0
	v_ashrrev_i32_e32 v3, 31, v13
	s_cmp_lg_u64 s[0:1], 0
	v_add_co_u32_e32 v14, vcc, v12, v3
	s_addc_u32 s57, s61, s57
	v_xor_b32_e32 v20, v14, v3
	v_mad_u64_u32 v[14:15], s[0:1], v20, s57, 0
	v_mul_hi_u32 v17, v20, s60
	v_addc_co_u32_e32 v16, vcc, v13, v3, vcc
	v_xor_b32_e32 v21, v16, v3
	v_add_co_u32_e32 v22, vcc, v17, v14
	v_addc_co_u32_e32 v23, vcc, 0, v15, vcc
	v_mad_u64_u32 v[14:15], s[0:1], v21, s60, 0
	v_mad_u64_u32 v[16:17], s[0:1], v21, s57, 0
	v_add_co_u32_e32 v14, vcc, v22, v14
	v_addc_co_u32_e32 v14, vcc, v23, v15, vcc
	v_addc_co_u32_e32 v15, vcc, 0, v17, vcc
	v_add_co_u32_e32 v16, vcc, v14, v16
	v_addc_co_u32_e32 v17, vcc, 0, v15, vcc
	v_mul_lo_u32 v22, s59, v16
	v_mul_lo_u32 v23, s58, v17
	v_mad_u64_u32 v[14:15], s[0:1], s58, v16, 0
	v_xor_b32_e32 v3, s56, v3
	v_add3_u32 v15, v15, v23, v22
	v_sub_u32_e32 v22, v21, v15
	v_mov_b32_e32 v23, s59
	v_sub_co_u32_e32 v14, vcc, v20, v14
	v_subb_co_u32_e64 v20, s[0:1], v22, v23, vcc
	v_subrev_co_u32_e64 v22, s[0:1], s58, v14
	v_subbrev_co_u32_e64 v20, s[0:1], 0, v20, s[0:1]
	v_cmp_le_u32_e64 s[0:1], s59, v20
	v_cndmask_b32_e64 v23, 0, -1, s[0:1]
	v_cmp_le_u32_e64 s[0:1], s58, v22
	v_cndmask_b32_e64 v22, 0, -1, s[0:1]
	v_cmp_eq_u32_e64 s[0:1], s59, v20
	v_cndmask_b32_e64 v20, v23, v22, s[0:1]
	v_add_co_u32_e64 v22, s[0:1], 2, v16
	v_subb_co_u32_e32 v15, vcc, v21, v15, vcc
	v_addc_co_u32_e64 v23, s[0:1], 0, v17, s[0:1]
	v_cmp_le_u32_e32 vcc, s59, v15
	v_add_co_u32_e64 v24, s[0:1], 1, v16
	v_cndmask_b32_e64 v21, 0, -1, vcc
	v_cmp_le_u32_e32 vcc, s58, v14
	v_addc_co_u32_e64 v25, s[0:1], 0, v17, s[0:1]
	v_cndmask_b32_e64 v14, 0, -1, vcc
	v_cmp_eq_u32_e32 vcc, s59, v15
	v_cmp_ne_u32_e64 s[0:1], 0, v20
	v_cndmask_b32_e32 v14, v21, v14, vcc
	v_cndmask_b32_e64 v20, v25, v23, s[0:1]
	v_cmp_ne_u32_e32 vcc, 0, v14
	v_cndmask_b32_e64 v15, v24, v22, s[0:1]
	v_cndmask_b32_e32 v14, v17, v20, vcc
	v_cndmask_b32_e32 v15, v16, v15, vcc
	v_xor_b32_e32 v16, v14, v3
	v_xor_b32_e32 v14, v15, v3
	v_sub_co_u32_e32 v14, vcc, v14, v3
	v_subb_co_u32_e32 v15, vcc, v16, v3, vcc
.LBB90_32:                              ;   in Loop: Header=BB90_22 Depth=2
	s_andn2_saveexec_b64 s[0:1], s[54:55]
	s_cbranch_execz .LBB90_34
; %bb.33:                               ;   in Loop: Header=BB90_22 Depth=2
	v_cvt_f32_u32_e32 v3, s50
	s_sub_i32 s54, 0, s50
	v_rcp_iflag_f32_e32 v3, v3
	v_mul_f32_e32 v3, 0x4f7ffffe, v3
	v_cvt_u32_f32_e32 v3, v3
	v_mul_lo_u32 v14, s54, v3
	v_mul_hi_u32 v14, v3, v14
	v_add_u32_e32 v3, v3, v14
	v_mul_hi_u32 v3, v12, v3
	v_mul_lo_u32 v14, v3, s50
	v_add_u32_e32 v15, 1, v3
	v_sub_u32_e32 v14, v12, v14
	v_subrev_u32_e32 v16, s50, v14
	v_cmp_le_u32_e32 vcc, s50, v14
	v_cndmask_b32_e32 v14, v14, v16, vcc
	v_cndmask_b32_e32 v3, v3, v15, vcc
	v_add_u32_e32 v15, 1, v3
	v_cmp_le_u32_e32 vcc, s50, v14
	v_cndmask_b32_e32 v14, v3, v15, vcc
	v_mov_b32_e32 v15, v2
.LBB90_34:                              ;   in Loop: Header=BB90_22 Depth=2
	s_or_b64 exec, exec, s[0:1]
	s_load_dwordx2 s[54:55], s[40:41], 0x0
	s_load_dwordx2 s[56:57], s[38:39], 0x8
                                        ; implicit-def: $vgpr16_vgpr17
	s_waitcnt lgkmcnt(0)
	v_or_b32_e32 v3, s55, v15
	v_cmp_ne_u64_e32 vcc, 0, v[2:3]
	s_and_saveexec_b64 s[0:1], vcc
	s_xor_b64 s[58:59], exec, s[0:1]
	s_cbranch_execz .LBB90_36
; %bb.35:                               ;   in Loop: Header=BB90_22 Depth=2
	s_ashr_i32 s60, s55, 31
	s_add_u32 s0, s54, s60
	s_mov_b32 s61, s60
	s_addc_u32 s1, s55, s60
	s_xor_b64 s[62:63], s[0:1], s[60:61]
	v_cvt_f32_u32_e32 v3, s62
	v_cvt_f32_u32_e32 v16, s63
	s_sub_u32 s61, 0, s62
	s_subb_u32 s68, 0, s63
	v_mac_f32_e32 v3, 0x4f800000, v16
	v_rcp_f32_e32 v3, v3
	v_mul_f32_e32 v3, 0x5f7ffffc, v3
	v_mul_f32_e32 v16, 0x2f800000, v3
	v_trunc_f32_e32 v16, v16
	v_mac_f32_e32 v3, 0xcf800000, v16
	v_cvt_u32_f32_e32 v16, v16
	v_cvt_u32_f32_e32 v3, v3
	v_readfirstlane_b32 s69, v16
	v_readfirstlane_b32 s0, v3
	s_mul_i32 s1, s61, s69
	s_mul_hi_u32 s71, s61, s0
	s_mul_i32 s70, s68, s0
	s_add_i32 s1, s71, s1
	s_add_i32 s1, s1, s70
	s_mul_i32 s72, s61, s0
	s_mul_i32 s71, s0, s1
	s_mul_hi_u32 s73, s0, s72
	s_mul_hi_u32 s70, s0, s1
	s_add_u32 s71, s73, s71
	s_addc_u32 s70, 0, s70
	s_mul_hi_u32 s74, s69, s72
	s_mul_i32 s72, s69, s72
	s_add_u32 s71, s71, s72
	s_mul_hi_u32 s73, s69, s1
	s_addc_u32 s70, s70, s74
	s_addc_u32 s71, s73, 0
	s_mul_i32 s1, s69, s1
	s_add_u32 s1, s70, s1
	s_addc_u32 s70, 0, s71
	s_add_u32 s71, s0, s1
	s_cselect_b64 s[0:1], -1, 0
	s_cmp_lg_u64 s[0:1], 0
	s_addc_u32 s69, s69, s70
	s_mul_i32 s0, s61, s69
	s_mul_hi_u32 s1, s61, s71
	s_add_i32 s0, s1, s0
	s_mul_i32 s68, s68, s71
	s_add_i32 s0, s0, s68
	s_mul_i32 s61, s61, s71
	s_mul_hi_u32 s68, s69, s61
	s_mul_i32 s70, s69, s61
	s_mul_i32 s73, s71, s0
	s_mul_hi_u32 s61, s71, s61
	s_mul_hi_u32 s72, s71, s0
	s_add_u32 s61, s61, s73
	s_addc_u32 s72, 0, s72
	s_add_u32 s61, s61, s70
	s_mul_hi_u32 s1, s69, s0
	s_addc_u32 s61, s72, s68
	s_addc_u32 s1, s1, 0
	s_mul_i32 s0, s69, s0
	s_add_u32 s0, s61, s0
	s_addc_u32 s61, 0, s1
	s_add_u32 s68, s71, s0
	s_cselect_b64 s[0:1], -1, 0
	v_ashrrev_i32_e32 v3, 31, v15
	s_cmp_lg_u64 s[0:1], 0
	v_add_co_u32_e32 v16, vcc, v14, v3
	s_addc_u32 s61, s69, s61
	v_xor_b32_e32 v22, v16, v3
	v_mad_u64_u32 v[16:17], s[0:1], v22, s61, 0
	v_mul_hi_u32 v21, v22, s68
	v_addc_co_u32_e32 v20, vcc, v15, v3, vcc
	v_xor_b32_e32 v23, v20, v3
	v_add_co_u32_e32 v24, vcc, v21, v16
	v_addc_co_u32_e32 v25, vcc, 0, v17, vcc
	v_mad_u64_u32 v[16:17], s[0:1], v23, s68, 0
	v_mad_u64_u32 v[20:21], s[0:1], v23, s61, 0
	v_add_co_u32_e32 v16, vcc, v24, v16
	v_addc_co_u32_e32 v16, vcc, v25, v17, vcc
	v_addc_co_u32_e32 v17, vcc, 0, v21, vcc
	v_add_co_u32_e32 v20, vcc, v16, v20
	v_addc_co_u32_e32 v21, vcc, 0, v17, vcc
	v_mul_lo_u32 v24, s63, v20
	v_mul_lo_u32 v25, s62, v21
	v_mad_u64_u32 v[16:17], s[0:1], s62, v20, 0
	v_xor_b32_e32 v3, s60, v3
	v_add3_u32 v17, v17, v25, v24
	v_sub_u32_e32 v24, v23, v17
	v_mov_b32_e32 v25, s63
	v_sub_co_u32_e32 v16, vcc, v22, v16
	v_subb_co_u32_e64 v22, s[0:1], v24, v25, vcc
	v_subrev_co_u32_e64 v24, s[0:1], s62, v16
	v_subbrev_co_u32_e64 v22, s[0:1], 0, v22, s[0:1]
	v_cmp_le_u32_e64 s[0:1], s63, v22
	v_cndmask_b32_e64 v25, 0, -1, s[0:1]
	v_cmp_le_u32_e64 s[0:1], s62, v24
	v_cndmask_b32_e64 v24, 0, -1, s[0:1]
	v_cmp_eq_u32_e64 s[0:1], s63, v22
	v_cndmask_b32_e64 v22, v25, v24, s[0:1]
	v_add_co_u32_e64 v24, s[0:1], 2, v20
	v_subb_co_u32_e32 v17, vcc, v23, v17, vcc
	v_addc_co_u32_e64 v25, s[0:1], 0, v21, s[0:1]
	v_cmp_le_u32_e32 vcc, s63, v17
	v_add_co_u32_e64 v26, s[0:1], 1, v20
	v_cndmask_b32_e64 v23, 0, -1, vcc
	v_cmp_le_u32_e32 vcc, s62, v16
	v_addc_co_u32_e64 v27, s[0:1], 0, v21, s[0:1]
	v_cndmask_b32_e64 v16, 0, -1, vcc
	v_cmp_eq_u32_e32 vcc, s63, v17
	v_cmp_ne_u32_e64 s[0:1], 0, v22
	v_cndmask_b32_e32 v16, v23, v16, vcc
	v_cndmask_b32_e64 v22, v27, v25, s[0:1]
	v_cmp_ne_u32_e32 vcc, 0, v16
	v_cndmask_b32_e64 v17, v26, v24, s[0:1]
	v_cndmask_b32_e32 v16, v21, v22, vcc
	v_cndmask_b32_e32 v17, v20, v17, vcc
	v_xor_b32_e32 v20, v16, v3
	v_xor_b32_e32 v16, v17, v3
	v_sub_co_u32_e32 v16, vcc, v16, v3
	v_subb_co_u32_e32 v17, vcc, v20, v3, vcc
.LBB90_36:                              ;   in Loop: Header=BB90_22 Depth=2
	s_andn2_saveexec_b64 s[0:1], s[58:59]
	s_cbranch_execz .LBB90_21
; %bb.37:                               ;   in Loop: Header=BB90_22 Depth=2
	v_cvt_f32_u32_e32 v3, s54
	s_sub_i32 s58, 0, s54
	v_rcp_iflag_f32_e32 v3, v3
	v_mul_f32_e32 v3, 0x4f7ffffe, v3
	v_cvt_u32_f32_e32 v3, v3
	v_mul_lo_u32 v16, s58, v3
	v_mul_hi_u32 v16, v3, v16
	v_add_u32_e32 v3, v3, v16
	v_mul_hi_u32 v3, v14, v3
	v_mul_lo_u32 v16, v3, s54
	v_add_u32_e32 v17, 1, v3
	v_sub_u32_e32 v16, v14, v16
	v_subrev_u32_e32 v20, s54, v16
	v_cmp_le_u32_e32 vcc, s54, v16
	v_cndmask_b32_e32 v16, v16, v20, vcc
	v_cndmask_b32_e32 v3, v3, v17, vcc
	v_add_u32_e32 v17, 1, v3
	v_cmp_le_u32_e32 vcc, s54, v16
	v_cndmask_b32_e32 v16, v3, v17, vcc
	v_mov_b32_e32 v17, v2
	s_branch .LBB90_21
.LBB90_38:                              ;   in Loop: Header=BB90_3 Depth=1
	s_load_dwordx2 s[0:1], s[22:23], 0x0
	s_waitcnt lgkmcnt(0)
	v_cmp_gt_i64_e32 vcc, s[0:1], v[4:5]
	s_and_b64 exec, exec, vcc
	s_cbranch_execz .LBB90_2
; %bb.39:                               ;   in Loop: Header=BB90_3 Depth=1
	v_lshlrev_b64 v[6:7], 2, v[6:7]
	v_mov_b32_e32 v3, s13
	v_add_co_u32_e32 v6, vcc, s12, v6
	v_addc_co_u32_e32 v7, vcc, v3, v7, vcc
	v_add_co_u32_e32 v3, vcc, 1, v4
	v_addc_co_u32_e32 v4, vcc, 0, v5, vcc
	v_cmp_gt_i64_e32 vcc, s[0:1], v[3:4]
	v_sub_co_u32_e64 v3, s[0:1], v3, v18
	v_subb_co_u32_e64 v4, s[0:1], v4, v19, s[0:1]
	v_cmp_gt_i64_e64 s[0:1], s[8:9], v[3:4]
	global_store_dword v[6:7], v2, off
	s_and_b64 s[0:1], vcc, s[0:1]
	s_and_b64 exec, exec, s[0:1]
	s_cbranch_execz .LBB90_2
; %bb.40:                               ;   in Loop: Header=BB90_3 Depth=1
	s_lshl_b64 s[0:1], s[2:3], 2
	v_mov_b32_e32 v4, s1
	v_add_co_u32_e32 v3, vcc, s0, v6
	v_addc_co_u32_e32 v4, vcc, v7, v4, vcc
	global_store_dword v[3:4], v2, off
	s_branch .LBB90_2
.LBB90_41:
	s_endpgm
	.section	.rodata,"a",@progbits
	.p2align	6, 0x0
	.amdhsa_kernel _ZN2at6native16triu_tril_kernelIN3c107complexINS2_4HalfEEElLb1ELi2ELb1EEEvNS_4cuda6detail10TensorInfoIT_T0_EENS8_IKS9_SA_EEllSA_
		.amdhsa_group_segment_fixed_size 0
		.amdhsa_private_segment_fixed_size 0
		.amdhsa_kernarg_size 1112
		.amdhsa_user_sgpr_count 6
		.amdhsa_user_sgpr_private_segment_buffer 1
		.amdhsa_user_sgpr_dispatch_ptr 0
		.amdhsa_user_sgpr_queue_ptr 0
		.amdhsa_user_sgpr_kernarg_segment_ptr 1
		.amdhsa_user_sgpr_dispatch_id 0
		.amdhsa_user_sgpr_flat_scratch_init 0
		.amdhsa_user_sgpr_private_segment_size 0
		.amdhsa_uses_dynamic_stack 0
		.amdhsa_system_sgpr_private_segment_wavefront_offset 0
		.amdhsa_system_sgpr_workgroup_id_x 1
		.amdhsa_system_sgpr_workgroup_id_y 0
		.amdhsa_system_sgpr_workgroup_id_z 0
		.amdhsa_system_sgpr_workgroup_info 0
		.amdhsa_system_vgpr_workitem_id 0
		.amdhsa_next_free_vgpr 28
		.amdhsa_next_free_sgpr 75
		.amdhsa_reserve_vcc 1
		.amdhsa_reserve_flat_scratch 0
		.amdhsa_float_round_mode_32 0
		.amdhsa_float_round_mode_16_64 0
		.amdhsa_float_denorm_mode_32 3
		.amdhsa_float_denorm_mode_16_64 3
		.amdhsa_dx10_clamp 1
		.amdhsa_ieee_mode 1
		.amdhsa_fp16_overflow 0
		.amdhsa_exception_fp_ieee_invalid_op 0
		.amdhsa_exception_fp_denorm_src 0
		.amdhsa_exception_fp_ieee_div_zero 0
		.amdhsa_exception_fp_ieee_overflow 0
		.amdhsa_exception_fp_ieee_underflow 0
		.amdhsa_exception_fp_ieee_inexact 0
		.amdhsa_exception_int_div_zero 0
	.end_amdhsa_kernel
	.section	.text._ZN2at6native16triu_tril_kernelIN3c107complexINS2_4HalfEEElLb1ELi2ELb1EEEvNS_4cuda6detail10TensorInfoIT_T0_EENS8_IKS9_SA_EEllSA_,"axG",@progbits,_ZN2at6native16triu_tril_kernelIN3c107complexINS2_4HalfEEElLb1ELi2ELb1EEEvNS_4cuda6detail10TensorInfoIT_T0_EENS8_IKS9_SA_EEllSA_,comdat
.Lfunc_end90:
	.size	_ZN2at6native16triu_tril_kernelIN3c107complexINS2_4HalfEEElLb1ELi2ELb1EEEvNS_4cuda6detail10TensorInfoIT_T0_EENS8_IKS9_SA_EEllSA_, .Lfunc_end90-_ZN2at6native16triu_tril_kernelIN3c107complexINS2_4HalfEEElLb1ELi2ELb1EEEvNS_4cuda6detail10TensorInfoIT_T0_EENS8_IKS9_SA_EEllSA_
                                        ; -- End function
	.set _ZN2at6native16triu_tril_kernelIN3c107complexINS2_4HalfEEElLb1ELi2ELb1EEEvNS_4cuda6detail10TensorInfoIT_T0_EENS8_IKS9_SA_EEllSA_.num_vgpr, 28
	.set _ZN2at6native16triu_tril_kernelIN3c107complexINS2_4HalfEEElLb1ELi2ELb1EEEvNS_4cuda6detail10TensorInfoIT_T0_EENS8_IKS9_SA_EEllSA_.num_agpr, 0
	.set _ZN2at6native16triu_tril_kernelIN3c107complexINS2_4HalfEEElLb1ELi2ELb1EEEvNS_4cuda6detail10TensorInfoIT_T0_EENS8_IKS9_SA_EEllSA_.numbered_sgpr, 75
	.set _ZN2at6native16triu_tril_kernelIN3c107complexINS2_4HalfEEElLb1ELi2ELb1EEEvNS_4cuda6detail10TensorInfoIT_T0_EENS8_IKS9_SA_EEllSA_.num_named_barrier, 0
	.set _ZN2at6native16triu_tril_kernelIN3c107complexINS2_4HalfEEElLb1ELi2ELb1EEEvNS_4cuda6detail10TensorInfoIT_T0_EENS8_IKS9_SA_EEllSA_.private_seg_size, 0
	.set _ZN2at6native16triu_tril_kernelIN3c107complexINS2_4HalfEEElLb1ELi2ELb1EEEvNS_4cuda6detail10TensorInfoIT_T0_EENS8_IKS9_SA_EEllSA_.uses_vcc, 1
	.set _ZN2at6native16triu_tril_kernelIN3c107complexINS2_4HalfEEElLb1ELi2ELb1EEEvNS_4cuda6detail10TensorInfoIT_T0_EENS8_IKS9_SA_EEllSA_.uses_flat_scratch, 0
	.set _ZN2at6native16triu_tril_kernelIN3c107complexINS2_4HalfEEElLb1ELi2ELb1EEEvNS_4cuda6detail10TensorInfoIT_T0_EENS8_IKS9_SA_EEllSA_.has_dyn_sized_stack, 0
	.set _ZN2at6native16triu_tril_kernelIN3c107complexINS2_4HalfEEElLb1ELi2ELb1EEEvNS_4cuda6detail10TensorInfoIT_T0_EENS8_IKS9_SA_EEllSA_.has_recursion, 0
	.set _ZN2at6native16triu_tril_kernelIN3c107complexINS2_4HalfEEElLb1ELi2ELb1EEEvNS_4cuda6detail10TensorInfoIT_T0_EENS8_IKS9_SA_EEllSA_.has_indirect_call, 0
	.section	.AMDGPU.csdata,"",@progbits
; Kernel info:
; codeLenInByte = 6440
; TotalNumSgprs: 79
; NumVgprs: 28
; ScratchSize: 0
; MemoryBound: 0
; FloatMode: 240
; IeeeMode: 1
; LDSByteSize: 0 bytes/workgroup (compile time only)
; SGPRBlocks: 9
; VGPRBlocks: 6
; NumSGPRsForWavesPerEU: 79
; NumVGPRsForWavesPerEU: 28
; Occupancy: 9
; WaveLimiterHint : 0
; COMPUTE_PGM_RSRC2:SCRATCH_EN: 0
; COMPUTE_PGM_RSRC2:USER_SGPR: 6
; COMPUTE_PGM_RSRC2:TRAP_HANDLER: 0
; COMPUTE_PGM_RSRC2:TGID_X_EN: 1
; COMPUTE_PGM_RSRC2:TGID_Y_EN: 0
; COMPUTE_PGM_RSRC2:TGID_Z_EN: 0
; COMPUTE_PGM_RSRC2:TIDIG_COMP_CNT: 0
	.section	.text._ZN2at6native16triu_tril_kernelIN3c107complexINS2_4HalfEEElLb1ELi2ELb0EEEvNS_4cuda6detail10TensorInfoIT_T0_EENS8_IKS9_SA_EEllSA_,"axG",@progbits,_ZN2at6native16triu_tril_kernelIN3c107complexINS2_4HalfEEElLb1ELi2ELb0EEEvNS_4cuda6detail10TensorInfoIT_T0_EENS8_IKS9_SA_EEllSA_,comdat
	.protected	_ZN2at6native16triu_tril_kernelIN3c107complexINS2_4HalfEEElLb1ELi2ELb0EEEvNS_4cuda6detail10TensorInfoIT_T0_EENS8_IKS9_SA_EEllSA_ ; -- Begin function _ZN2at6native16triu_tril_kernelIN3c107complexINS2_4HalfEEElLb1ELi2ELb0EEEvNS_4cuda6detail10TensorInfoIT_T0_EENS8_IKS9_SA_EEllSA_
	.globl	_ZN2at6native16triu_tril_kernelIN3c107complexINS2_4HalfEEElLb1ELi2ELb0EEEvNS_4cuda6detail10TensorInfoIT_T0_EENS8_IKS9_SA_EEllSA_
	.p2align	8
	.type	_ZN2at6native16triu_tril_kernelIN3c107complexINS2_4HalfEEElLb1ELi2ELb0EEEvNS_4cuda6detail10TensorInfoIT_T0_EENS8_IKS9_SA_EEllSA_,@function
_ZN2at6native16triu_tril_kernelIN3c107complexINS2_4HalfEEElLb1ELi2ELb0EEEvNS_4cuda6detail10TensorInfoIT_T0_EENS8_IKS9_SA_EEllSA_: ; @_ZN2at6native16triu_tril_kernelIN3c107complexINS2_4HalfEEElLb1ELi2ELb0EEEvNS_4cuda6detail10TensorInfoIT_T0_EENS8_IKS9_SA_EEllSA_
; %bb.0:
	s_load_dword s2, s[4:5], 0x364
	s_load_dwordx4 s[8:11], s[4:5], 0x340
	s_add_u32 s0, s4, 0x358
	v_mov_b32_e32 v2, 0
	s_addc_u32 s1, s5, 0
	s_waitcnt lgkmcnt(0)
	s_and_b32 s7, s2, 0xffff
	v_mov_b32_e32 v1, v2
	v_mov_b32_e32 v3, s6
	v_mad_u64_u32 v[0:1], s[2:3], s7, v3, v[0:1]
	v_lshlrev_b64 v[0:1], 1, v[0:1]
	v_cmp_gt_i64_e32 vcc, s[10:11], v[0:1]
	s_and_saveexec_b64 s[2:3], vcc
	s_cbranch_execz .LBB91_38
; %bb.1:
	s_load_dword s6, s[0:1], 0x0
	s_load_dword s24, s[4:5], 0x338
	s_add_u32 s33, s4, 0x1a0
	s_addc_u32 s62, s5, 0
	s_load_dwordx2 s[2:3], s[4:5], 0x1a0
	s_waitcnt lgkmcnt(0)
	s_mul_i32 s30, s6, s7
	s_ashr_i32 s25, s24, 31
	s_lshl_b64 s[0:1], s[24:25], 3
	s_add_u32 s20, s33, s0
	s_addc_u32 s21, s62, s1
	s_add_u32 s22, s20, -8
	s_addc_u32 s23, s21, -1
	s_add_u32 s0, s4, s0
	v_cmp_gt_i64_e64 s[6:7], s[24:25], 2
	s_addc_u32 s1, s5, s1
	s_add_i32 s24, s24, -3
	s_ashr_i32 s25, s24, 31
	s_lshl_b32 s63, s30, 1
	s_bitcmp0_b32 s24, 0
	s_load_dwordx4 s[12:15], s[22:23], 0x0
	s_load_dwordx4 s[16:19], s[20:21], 0xc0
	s_cselect_b64 s[30:31], -1, 0
	s_load_dwordx4 s[20:23], s[0:1], 0xc0
	s_lshl_b64 s[0:1], s[24:25], 3
	s_add_u32 s34, s33, s0
	s_addc_u32 s35, s62, s1
	s_add_u32 s36, s4, s0
	s_addc_u32 s37, s5, s1
	s_load_dwordx2 s[26:27], s[4:5], 0x350
	s_load_dwordx2 s[28:29], s[4:5], 0x0
	s_add_u32 s38, s24, -1
	s_addc_u32 s39, s25, -1
	s_cmp_lg_u32 s24, 0
	s_cselect_b64 s[40:41], -1, 0
	s_add_u32 s64, s4, 0xc8
	s_addc_u32 s65, s5, 0
	s_mov_b64 s[4:5], 0
	s_branch .LBB91_3
.LBB91_2:                               ;   in Loop: Header=BB91_3 Depth=1
	s_or_b64 exec, exec, s[0:1]
	v_add_co_u32_e32 v0, vcc, s63, v0
	v_addc_co_u32_e32 v1, vcc, 0, v1, vcc
	v_cmp_le_i64_e32 vcc, s[10:11], v[0:1]
	s_or_b64 s[4:5], vcc, s[4:5]
	s_andn2_b64 exec, exec, s[4:5]
	s_cbranch_execz .LBB91_38
.LBB91_3:                               ; =>This Loop Header: Depth=1
                                        ;     Child Loop BB91_21 Depth 2
	s_waitcnt lgkmcnt(0)
	v_or_b32_e32 v3, s27, v1
	v_cmp_ne_u64_e32 vcc, 0, v[2:3]
                                        ; implicit-def: $vgpr6_vgpr7
	s_and_saveexec_b64 s[0:1], vcc
	s_xor_b64 s[42:43], exec, s[0:1]
	s_cbranch_execz .LBB91_5
; %bb.4:                                ;   in Loop: Header=BB91_3 Depth=1
	s_ashr_i32 s44, s27, 31
	s_add_u32 s0, s26, s44
	s_mov_b32 s45, s44
	s_addc_u32 s1, s27, s44
	s_xor_b64 s[46:47], s[0:1], s[44:45]
	v_cvt_f32_u32_e32 v3, s46
	v_cvt_f32_u32_e32 v4, s47
	s_sub_u32 s45, 0, s46
	s_subb_u32 s48, 0, s47
	v_ashrrev_i32_e32 v7, 31, v1
	v_mac_f32_e32 v3, 0x4f800000, v4
	v_rcp_f32_e32 v3, v3
	v_mul_f32_e32 v3, 0x5f7ffffc, v3
	v_mul_f32_e32 v4, 0x2f800000, v3
	v_trunc_f32_e32 v4, v4
	v_mac_f32_e32 v3, 0xcf800000, v4
	v_cvt_u32_f32_e32 v4, v4
	v_cvt_u32_f32_e32 v3, v3
	v_readfirstlane_b32 s49, v4
	v_readfirstlane_b32 s0, v3
	s_mul_i32 s1, s45, s49
	s_mul_hi_u32 s51, s45, s0
	s_mul_i32 s50, s48, s0
	s_add_i32 s1, s51, s1
	s_add_i32 s1, s1, s50
	s_mul_i32 s52, s45, s0
	s_mul_i32 s51, s0, s1
	s_mul_hi_u32 s53, s0, s52
	s_mul_hi_u32 s50, s0, s1
	s_add_u32 s51, s53, s51
	s_addc_u32 s50, 0, s50
	s_mul_hi_u32 s54, s49, s52
	s_mul_i32 s52, s49, s52
	s_add_u32 s51, s51, s52
	s_mul_hi_u32 s53, s49, s1
	s_addc_u32 s50, s50, s54
	s_addc_u32 s51, s53, 0
	s_mul_i32 s1, s49, s1
	s_add_u32 s1, s50, s1
	s_addc_u32 s50, 0, s51
	s_add_u32 s51, s0, s1
	s_cselect_b64 s[0:1], -1, 0
	s_cmp_lg_u64 s[0:1], 0
	s_addc_u32 s49, s49, s50
	s_mul_i32 s0, s45, s49
	s_mul_hi_u32 s1, s45, s51
	s_add_i32 s0, s1, s0
	s_mul_i32 s48, s48, s51
	s_add_i32 s0, s0, s48
	s_mul_i32 s45, s45, s51
	s_mul_hi_u32 s48, s49, s45
	s_mul_i32 s50, s49, s45
	s_mul_i32 s53, s51, s0
	s_mul_hi_u32 s45, s51, s45
	s_mul_hi_u32 s52, s51, s0
	s_add_u32 s45, s45, s53
	s_addc_u32 s52, 0, s52
	s_add_u32 s45, s45, s50
	s_mul_hi_u32 s1, s49, s0
	s_addc_u32 s45, s52, s48
	s_addc_u32 s1, s1, 0
	s_mul_i32 s0, s49, s0
	s_add_u32 s0, s45, s0
	s_addc_u32 s45, 0, s1
	s_add_u32 s48, s51, s0
	s_cselect_b64 s[0:1], -1, 0
	s_cmp_lg_u64 s[0:1], 0
	v_add_co_u32_e32 v3, vcc, v0, v7
	s_addc_u32 s45, s49, s45
	v_xor_b32_e32 v8, v3, v7
	v_mad_u64_u32 v[3:4], s[0:1], v8, s45, 0
	v_mul_hi_u32 v6, v8, s48
	v_addc_co_u32_e32 v5, vcc, v1, v7, vcc
	v_xor_b32_e32 v9, v5, v7
	v_add_co_u32_e32 v10, vcc, v6, v3
	v_addc_co_u32_e32 v11, vcc, 0, v4, vcc
	v_mad_u64_u32 v[3:4], s[0:1], v9, s48, 0
	v_mad_u64_u32 v[5:6], s[0:1], v9, s45, 0
	v_add_co_u32_e32 v3, vcc, v10, v3
	v_addc_co_u32_e32 v3, vcc, v11, v4, vcc
	v_addc_co_u32_e32 v4, vcc, 0, v6, vcc
	v_add_co_u32_e32 v5, vcc, v3, v5
	v_addc_co_u32_e32 v6, vcc, 0, v4, vcc
	v_mul_lo_u32 v10, s47, v5
	v_mul_lo_u32 v11, s46, v6
	v_mad_u64_u32 v[3:4], s[0:1], s46, v5, 0
	v_add3_u32 v4, v4, v11, v10
	v_sub_u32_e32 v10, v9, v4
	v_mov_b32_e32 v11, s47
	v_sub_co_u32_e32 v3, vcc, v8, v3
	v_subb_co_u32_e64 v8, s[0:1], v10, v11, vcc
	v_subrev_co_u32_e64 v10, s[0:1], s46, v3
	v_subbrev_co_u32_e64 v8, s[0:1], 0, v8, s[0:1]
	v_cmp_le_u32_e64 s[0:1], s47, v8
	v_cndmask_b32_e64 v11, 0, -1, s[0:1]
	v_cmp_le_u32_e64 s[0:1], s46, v10
	v_cndmask_b32_e64 v10, 0, -1, s[0:1]
	v_cmp_eq_u32_e64 s[0:1], s47, v8
	v_cndmask_b32_e64 v8, v11, v10, s[0:1]
	v_add_co_u32_e64 v10, s[0:1], 2, v5
	v_subb_co_u32_e32 v4, vcc, v9, v4, vcc
	v_addc_co_u32_e64 v11, s[0:1], 0, v6, s[0:1]
	v_cmp_le_u32_e32 vcc, s47, v4
	v_add_co_u32_e64 v12, s[0:1], 1, v5
	v_cndmask_b32_e64 v9, 0, -1, vcc
	v_cmp_le_u32_e32 vcc, s46, v3
	v_addc_co_u32_e64 v13, s[0:1], 0, v6, s[0:1]
	v_cndmask_b32_e64 v3, 0, -1, vcc
	v_cmp_eq_u32_e32 vcc, s47, v4
	v_cmp_ne_u32_e64 s[0:1], 0, v8
	v_cndmask_b32_e32 v3, v9, v3, vcc
	v_cmp_ne_u32_e32 vcc, 0, v3
	v_cndmask_b32_e64 v4, v12, v10, s[0:1]
	v_cndmask_b32_e64 v8, v13, v11, s[0:1]
	v_cndmask_b32_e32 v4, v5, v4, vcc
	v_xor_b32_e32 v5, s44, v7
	v_cndmask_b32_e32 v3, v6, v8, vcc
	v_xor_b32_e32 v4, v4, v5
	v_xor_b32_e32 v3, v3, v5
	v_sub_co_u32_e32 v6, vcc, v4, v5
	v_subb_co_u32_e32 v7, vcc, v3, v5, vcc
.LBB91_5:                               ;   in Loop: Header=BB91_3 Depth=1
	s_andn2_saveexec_b64 s[0:1], s[42:43]
	s_cbranch_execz .LBB91_7
; %bb.6:                                ;   in Loop: Header=BB91_3 Depth=1
	v_cvt_f32_u32_e32 v3, s26
	s_sub_i32 s42, 0, s26
	v_mov_b32_e32 v7, v2
	v_rcp_iflag_f32_e32 v3, v3
	v_mul_f32_e32 v3, 0x4f7ffffe, v3
	v_cvt_u32_f32_e32 v3, v3
	v_mul_lo_u32 v4, s42, v3
	v_mul_hi_u32 v4, v3, v4
	v_add_u32_e32 v3, v3, v4
	v_mul_hi_u32 v3, v0, v3
	v_mul_lo_u32 v4, v3, s26
	v_add_u32_e32 v5, 1, v3
	v_sub_u32_e32 v4, v0, v4
	v_subrev_u32_e32 v6, s26, v4
	v_cmp_le_u32_e32 vcc, s26, v4
	v_cndmask_b32_e32 v4, v4, v6, vcc
	v_cndmask_b32_e32 v3, v3, v5, vcc
	v_add_u32_e32 v5, 1, v3
	v_cmp_le_u32_e32 vcc, s26, v4
	v_cndmask_b32_e32 v6, v3, v5, vcc
.LBB91_7:                               ;   in Loop: Header=BB91_3 Depth=1
	s_or_b64 exec, exec, s[0:1]
	v_or_b32_e32 v3, s13, v7
	v_cmp_ne_u64_e32 vcc, 0, v[2:3]
                                        ; implicit-def: $vgpr10_vgpr11
	s_and_saveexec_b64 s[0:1], vcc
	s_xor_b64 s[42:43], exec, s[0:1]
	s_cbranch_execz .LBB91_9
; %bb.8:                                ;   in Loop: Header=BB91_3 Depth=1
	s_ashr_i32 s44, s13, 31
	s_add_u32 s0, s12, s44
	s_mov_b32 s45, s44
	s_addc_u32 s1, s13, s44
	s_xor_b64 s[46:47], s[0:1], s[44:45]
	v_cvt_f32_u32_e32 v3, s46
	v_cvt_f32_u32_e32 v4, s47
	s_sub_u32 s45, 0, s46
	s_subb_u32 s48, 0, s47
	v_ashrrev_i32_e32 v5, 31, v7
	v_mac_f32_e32 v3, 0x4f800000, v4
	v_rcp_f32_e32 v3, v3
	v_mul_f32_e32 v3, 0x5f7ffffc, v3
	v_mul_f32_e32 v4, 0x2f800000, v3
	v_trunc_f32_e32 v4, v4
	v_mac_f32_e32 v3, 0xcf800000, v4
	v_cvt_u32_f32_e32 v4, v4
	v_cvt_u32_f32_e32 v3, v3
	v_readfirstlane_b32 s49, v4
	v_readfirstlane_b32 s0, v3
	s_mul_i32 s1, s45, s49
	s_mul_hi_u32 s51, s45, s0
	s_mul_i32 s50, s48, s0
	s_add_i32 s1, s51, s1
	s_add_i32 s1, s1, s50
	s_mul_i32 s52, s45, s0
	s_mul_i32 s51, s0, s1
	s_mul_hi_u32 s53, s0, s52
	s_mul_hi_u32 s50, s0, s1
	s_add_u32 s51, s53, s51
	s_addc_u32 s50, 0, s50
	s_mul_hi_u32 s54, s49, s52
	s_mul_i32 s52, s49, s52
	s_add_u32 s51, s51, s52
	s_mul_hi_u32 s53, s49, s1
	s_addc_u32 s50, s50, s54
	s_addc_u32 s51, s53, 0
	s_mul_i32 s1, s49, s1
	s_add_u32 s1, s50, s1
	s_addc_u32 s50, 0, s51
	s_add_u32 s51, s0, s1
	s_cselect_b64 s[0:1], -1, 0
	s_cmp_lg_u64 s[0:1], 0
	s_addc_u32 s49, s49, s50
	s_mul_i32 s0, s45, s49
	s_mul_hi_u32 s1, s45, s51
	s_add_i32 s0, s1, s0
	s_mul_i32 s48, s48, s51
	s_add_i32 s0, s0, s48
	s_mul_i32 s45, s45, s51
	s_mul_hi_u32 s48, s49, s45
	s_mul_i32 s50, s49, s45
	s_mul_i32 s53, s51, s0
	s_mul_hi_u32 s45, s51, s45
	s_mul_hi_u32 s52, s51, s0
	s_add_u32 s45, s45, s53
	s_addc_u32 s52, 0, s52
	s_add_u32 s45, s45, s50
	s_mul_hi_u32 s1, s49, s0
	s_addc_u32 s45, s52, s48
	s_addc_u32 s1, s1, 0
	s_mul_i32 s0, s49, s0
	s_add_u32 s0, s45, s0
	s_addc_u32 s45, 0, s1
	s_add_u32 s48, s51, s0
	s_cselect_b64 s[0:1], -1, 0
	s_cmp_lg_u64 s[0:1], 0
	v_add_co_u32_e32 v3, vcc, v6, v5
	s_addc_u32 s45, s49, s45
	v_xor_b32_e32 v10, v3, v5
	v_mad_u64_u32 v[3:4], s[0:1], v10, s45, 0
	v_mul_hi_u32 v9, v10, s48
	v_addc_co_u32_e32 v8, vcc, v7, v5, vcc
	v_xor_b32_e32 v11, v8, v5
	v_add_co_u32_e32 v12, vcc, v9, v3
	v_addc_co_u32_e32 v13, vcc, 0, v4, vcc
	v_mad_u64_u32 v[3:4], s[0:1], v11, s48, 0
	v_mad_u64_u32 v[8:9], s[0:1], v11, s45, 0
	v_add_co_u32_e32 v3, vcc, v12, v3
	v_addc_co_u32_e32 v3, vcc, v13, v4, vcc
	v_addc_co_u32_e32 v4, vcc, 0, v9, vcc
	v_add_co_u32_e32 v8, vcc, v3, v8
	v_addc_co_u32_e32 v9, vcc, 0, v4, vcc
	v_mul_lo_u32 v12, s47, v8
	v_mul_lo_u32 v13, s46, v9
	v_mad_u64_u32 v[3:4], s[0:1], s46, v8, 0
	v_xor_b32_e32 v5, s44, v5
	v_add3_u32 v4, v4, v13, v12
	v_sub_u32_e32 v12, v11, v4
	v_mov_b32_e32 v13, s47
	v_sub_co_u32_e32 v3, vcc, v10, v3
	v_subb_co_u32_e64 v10, s[0:1], v12, v13, vcc
	v_subrev_co_u32_e64 v12, s[0:1], s46, v3
	v_subbrev_co_u32_e64 v10, s[0:1], 0, v10, s[0:1]
	v_cmp_le_u32_e64 s[0:1], s47, v10
	v_cndmask_b32_e64 v13, 0, -1, s[0:1]
	v_cmp_le_u32_e64 s[0:1], s46, v12
	v_cndmask_b32_e64 v12, 0, -1, s[0:1]
	v_cmp_eq_u32_e64 s[0:1], s47, v10
	v_cndmask_b32_e64 v10, v13, v12, s[0:1]
	v_add_co_u32_e64 v12, s[0:1], 2, v8
	v_subb_co_u32_e32 v4, vcc, v11, v4, vcc
	v_addc_co_u32_e64 v13, s[0:1], 0, v9, s[0:1]
	v_cmp_le_u32_e32 vcc, s47, v4
	v_add_co_u32_e64 v14, s[0:1], 1, v8
	v_cndmask_b32_e64 v11, 0, -1, vcc
	v_cmp_le_u32_e32 vcc, s46, v3
	v_addc_co_u32_e64 v15, s[0:1], 0, v9, s[0:1]
	v_cndmask_b32_e64 v3, 0, -1, vcc
	v_cmp_eq_u32_e32 vcc, s47, v4
	v_cmp_ne_u32_e64 s[0:1], 0, v10
	v_cndmask_b32_e32 v3, v11, v3, vcc
	v_cmp_ne_u32_e32 vcc, 0, v3
	v_cndmask_b32_e64 v4, v14, v12, s[0:1]
	v_cndmask_b32_e64 v10, v15, v13, s[0:1]
	v_cndmask_b32_e32 v4, v8, v4, vcc
	v_cndmask_b32_e32 v3, v9, v10, vcc
	v_xor_b32_e32 v4, v4, v5
	v_xor_b32_e32 v3, v3, v5
	v_sub_co_u32_e32 v10, vcc, v4, v5
	v_subb_co_u32_e32 v11, vcc, v3, v5, vcc
.LBB91_9:                               ;   in Loop: Header=BB91_3 Depth=1
	s_andn2_saveexec_b64 s[0:1], s[42:43]
	s_cbranch_execz .LBB91_11
; %bb.10:                               ;   in Loop: Header=BB91_3 Depth=1
	v_cvt_f32_u32_e32 v3, s12
	s_sub_i32 s42, 0, s12
	v_mov_b32_e32 v11, v2
	v_rcp_iflag_f32_e32 v3, v3
	v_mul_f32_e32 v3, 0x4f7ffffe, v3
	v_cvt_u32_f32_e32 v3, v3
	v_mul_lo_u32 v4, s42, v3
	v_mul_hi_u32 v4, v3, v4
	v_add_u32_e32 v3, v3, v4
	v_mul_hi_u32 v3, v6, v3
	v_mul_lo_u32 v4, v3, s12
	v_add_u32_e32 v5, 1, v3
	v_sub_u32_e32 v4, v6, v4
	v_subrev_u32_e32 v8, s12, v4
	v_cmp_le_u32_e32 vcc, s12, v4
	v_cndmask_b32_e32 v4, v4, v8, vcc
	v_cndmask_b32_e32 v3, v3, v5, vcc
	v_add_u32_e32 v5, 1, v3
	v_cmp_le_u32_e32 vcc, s12, v4
	v_cndmask_b32_e32 v10, v3, v5, vcc
.LBB91_11:                              ;   in Loop: Header=BB91_3 Depth=1
	s_or_b64 exec, exec, s[0:1]
	v_mul_lo_u32 v5, v7, s26
	v_mul_lo_u32 v8, v6, s27
	v_mad_u64_u32 v[3:4], s[0:1], v6, s26, 0
	v_mul_lo_u32 v12, v11, s12
	v_mul_lo_u32 v13, v10, s13
	v_add3_u32 v5, v4, v8, v5
	v_mad_u64_u32 v[8:9], s[0:1], v10, s12, 0
	v_sub_co_u32_e32 v4, vcc, v0, v3
	v_subb_co_u32_e32 v5, vcc, v1, v5, vcc
	v_add3_u32 v3, v9, v13, v12
	v_mul_lo_u32 v9, s19, v4
	v_mul_lo_u32 v14, s18, v5
	v_mad_u64_u32 v[12:13], s[0:1], s18, v4, 0
	v_sub_co_u32_e32 v16, vcc, v6, v8
	v_subb_co_u32_e32 v17, vcc, v7, v3, vcc
	v_add3_u32 v13, v13, v14, v9
	v_mul_lo_u32 v3, s23, v4
	v_mul_lo_u32 v14, s22, v5
	v_mad_u64_u32 v[6:7], s[0:1], s22, v4, 0
	v_mad_u64_u32 v[8:9], s[0:1], s16, v16, v[12:13]
	v_mul_lo_u32 v12, s16, v17
	v_mul_lo_u32 v13, s17, v16
	v_add3_u32 v7, v7, v14, v3
	v_mad_u64_u32 v[6:7], s[0:1], s20, v16, v[6:7]
	v_add3_u32 v9, v13, v9, v12
	v_mul_lo_u32 v3, s20, v17
	v_mul_lo_u32 v12, s21, v16
	s_andn2_b64 vcc, exec, s[6:7]
	v_add3_u32 v7, v12, v7, v3
	s_cbranch_vccnz .LBB91_29
; %bb.12:                               ;   in Loop: Header=BB91_3 Depth=1
	s_andn2_b64 vcc, exec, s[30:31]
	s_cbranch_vccnz .LBB91_18
; %bb.13:                               ;   in Loop: Header=BB91_3 Depth=1
	s_load_dwordx2 s[42:43], s[34:35], 0x8
                                        ; implicit-def: $vgpr12_vgpr13
	s_waitcnt lgkmcnt(0)
	v_or_b32_e32 v3, s43, v11
	v_cmp_ne_u64_e32 vcc, 0, v[2:3]
	s_and_saveexec_b64 s[0:1], vcc
	s_xor_b64 s[44:45], exec, s[0:1]
	s_cbranch_execz .LBB91_15
; %bb.14:                               ;   in Loop: Header=BB91_3 Depth=1
	s_ashr_i32 s46, s43, 31
	s_add_u32 s0, s42, s46
	s_mov_b32 s47, s46
	s_addc_u32 s1, s43, s46
	s_xor_b64 s[48:49], s[0:1], s[46:47]
	v_cvt_f32_u32_e32 v3, s48
	v_cvt_f32_u32_e32 v12, s49
	s_sub_u32 s47, 0, s48
	s_subb_u32 s50, 0, s49
	v_mac_f32_e32 v3, 0x4f800000, v12
	v_rcp_f32_e32 v3, v3
	v_mul_f32_e32 v3, 0x5f7ffffc, v3
	v_mul_f32_e32 v12, 0x2f800000, v3
	v_trunc_f32_e32 v12, v12
	v_mac_f32_e32 v3, 0xcf800000, v12
	v_cvt_u32_f32_e32 v12, v12
	v_cvt_u32_f32_e32 v3, v3
	v_readfirstlane_b32 s51, v12
	v_readfirstlane_b32 s0, v3
	s_mul_i32 s1, s47, s51
	s_mul_hi_u32 s53, s47, s0
	s_mul_i32 s52, s50, s0
	s_add_i32 s1, s53, s1
	s_add_i32 s1, s1, s52
	s_mul_i32 s54, s47, s0
	s_mul_i32 s53, s0, s1
	s_mul_hi_u32 s55, s0, s54
	s_mul_hi_u32 s52, s0, s1
	s_add_u32 s53, s55, s53
	s_addc_u32 s52, 0, s52
	s_mul_hi_u32 s56, s51, s54
	s_mul_i32 s54, s51, s54
	s_add_u32 s53, s53, s54
	s_mul_hi_u32 s55, s51, s1
	s_addc_u32 s52, s52, s56
	s_addc_u32 s53, s55, 0
	s_mul_i32 s1, s51, s1
	s_add_u32 s1, s52, s1
	s_addc_u32 s52, 0, s53
	s_add_u32 s53, s0, s1
	s_cselect_b64 s[0:1], -1, 0
	s_cmp_lg_u64 s[0:1], 0
	s_addc_u32 s51, s51, s52
	s_mul_i32 s0, s47, s51
	s_mul_hi_u32 s1, s47, s53
	s_add_i32 s0, s1, s0
	s_mul_i32 s50, s50, s53
	s_add_i32 s0, s0, s50
	s_mul_i32 s47, s47, s53
	s_mul_hi_u32 s50, s51, s47
	s_mul_i32 s52, s51, s47
	s_mul_i32 s55, s53, s0
	s_mul_hi_u32 s47, s53, s47
	s_mul_hi_u32 s54, s53, s0
	s_add_u32 s47, s47, s55
	s_addc_u32 s54, 0, s54
	s_add_u32 s47, s47, s52
	s_mul_hi_u32 s1, s51, s0
	s_addc_u32 s47, s54, s50
	s_addc_u32 s1, s1, 0
	s_mul_i32 s0, s51, s0
	s_add_u32 s0, s47, s0
	s_addc_u32 s47, 0, s1
	s_add_u32 s50, s53, s0
	s_cselect_b64 s[0:1], -1, 0
	v_ashrrev_i32_e32 v3, 31, v11
	s_cmp_lg_u64 s[0:1], 0
	v_add_co_u32_e32 v12, vcc, v10, v3
	s_addc_u32 s47, s51, s47
	v_xor_b32_e32 v18, v12, v3
	v_mad_u64_u32 v[12:13], s[0:1], v18, s47, 0
	v_mul_hi_u32 v15, v18, s50
	v_addc_co_u32_e32 v14, vcc, v11, v3, vcc
	v_xor_b32_e32 v19, v14, v3
	v_add_co_u32_e32 v20, vcc, v15, v12
	v_addc_co_u32_e32 v21, vcc, 0, v13, vcc
	v_mad_u64_u32 v[12:13], s[0:1], v19, s50, 0
	v_mad_u64_u32 v[14:15], s[0:1], v19, s47, 0
	v_add_co_u32_e32 v12, vcc, v20, v12
	v_addc_co_u32_e32 v12, vcc, v21, v13, vcc
	v_addc_co_u32_e32 v13, vcc, 0, v15, vcc
	v_add_co_u32_e32 v14, vcc, v12, v14
	v_addc_co_u32_e32 v15, vcc, 0, v13, vcc
	v_mul_lo_u32 v20, s49, v14
	v_mul_lo_u32 v21, s48, v15
	v_mad_u64_u32 v[12:13], s[0:1], s48, v14, 0
	v_xor_b32_e32 v3, s46, v3
	v_add3_u32 v13, v13, v21, v20
	v_sub_u32_e32 v20, v19, v13
	v_mov_b32_e32 v21, s49
	v_sub_co_u32_e32 v12, vcc, v18, v12
	v_subb_co_u32_e64 v18, s[0:1], v20, v21, vcc
	v_subrev_co_u32_e64 v20, s[0:1], s48, v12
	v_subbrev_co_u32_e64 v18, s[0:1], 0, v18, s[0:1]
	v_cmp_le_u32_e64 s[0:1], s49, v18
	v_cndmask_b32_e64 v21, 0, -1, s[0:1]
	v_cmp_le_u32_e64 s[0:1], s48, v20
	v_cndmask_b32_e64 v20, 0, -1, s[0:1]
	v_cmp_eq_u32_e64 s[0:1], s49, v18
	v_cndmask_b32_e64 v18, v21, v20, s[0:1]
	v_add_co_u32_e64 v20, s[0:1], 2, v14
	v_subb_co_u32_e32 v13, vcc, v19, v13, vcc
	v_addc_co_u32_e64 v21, s[0:1], 0, v15, s[0:1]
	v_cmp_le_u32_e32 vcc, s49, v13
	v_add_co_u32_e64 v22, s[0:1], 1, v14
	v_cndmask_b32_e64 v19, 0, -1, vcc
	v_cmp_le_u32_e32 vcc, s48, v12
	v_addc_co_u32_e64 v23, s[0:1], 0, v15, s[0:1]
	v_cndmask_b32_e64 v12, 0, -1, vcc
	v_cmp_eq_u32_e32 vcc, s49, v13
	v_cmp_ne_u32_e64 s[0:1], 0, v18
	v_cndmask_b32_e32 v12, v19, v12, vcc
	v_cndmask_b32_e64 v18, v23, v21, s[0:1]
	v_cmp_ne_u32_e32 vcc, 0, v12
	v_cndmask_b32_e64 v13, v22, v20, s[0:1]
	v_cndmask_b32_e32 v12, v15, v18, vcc
	v_cndmask_b32_e32 v13, v14, v13, vcc
	v_xor_b32_e32 v14, v12, v3
	v_xor_b32_e32 v12, v13, v3
	v_sub_co_u32_e32 v12, vcc, v12, v3
	v_subb_co_u32_e32 v13, vcc, v14, v3, vcc
.LBB91_15:                              ;   in Loop: Header=BB91_3 Depth=1
	s_andn2_saveexec_b64 s[0:1], s[44:45]
	s_cbranch_execz .LBB91_17
; %bb.16:                               ;   in Loop: Header=BB91_3 Depth=1
	v_cvt_f32_u32_e32 v3, s42
	s_sub_i32 s44, 0, s42
	v_rcp_iflag_f32_e32 v3, v3
	v_mul_f32_e32 v3, 0x4f7ffffe, v3
	v_cvt_u32_f32_e32 v3, v3
	v_mul_lo_u32 v12, s44, v3
	v_mul_hi_u32 v12, v3, v12
	v_add_u32_e32 v3, v3, v12
	v_mul_hi_u32 v3, v10, v3
	v_mul_lo_u32 v12, v3, s42
	v_add_u32_e32 v13, 1, v3
	v_sub_u32_e32 v12, v10, v12
	v_subrev_u32_e32 v14, s42, v12
	v_cmp_le_u32_e32 vcc, s42, v12
	v_cndmask_b32_e32 v12, v12, v14, vcc
	v_cndmask_b32_e32 v3, v3, v13, vcc
	v_add_u32_e32 v13, 1, v3
	v_cmp_le_u32_e32 vcc, s42, v12
	v_cndmask_b32_e32 v12, v3, v13, vcc
	v_mov_b32_e32 v13, v2
.LBB91_17:                              ;   in Loop: Header=BB91_3 Depth=1
	s_or_b64 exec, exec, s[0:1]
	v_mul_lo_u32 v3, v13, s42
	v_mul_lo_u32 v18, v12, s43
	v_mad_u64_u32 v[14:15], s[0:1], v12, s42, 0
	s_load_dwordx2 s[0:1], s[34:35], 0xd0
	s_load_dwordx2 s[42:43], s[36:37], 0xd0
	v_add3_u32 v3, v15, v18, v3
	v_sub_co_u32_e32 v10, vcc, v10, v14
	v_subb_co_u32_e32 v3, vcc, v11, v3, vcc
	s_waitcnt lgkmcnt(0)
	v_mul_lo_u32 v11, s0, v3
	v_mul_lo_u32 v14, s1, v10
	v_mad_u64_u32 v[8:9], s[0:1], s0, v10, v[8:9]
	v_mul_lo_u32 v3, s42, v3
	v_mul_lo_u32 v15, s43, v10
	v_mad_u64_u32 v[6:7], s[0:1], s42, v10, v[6:7]
	v_add3_u32 v9, v14, v9, v11
	v_mov_b32_e32 v10, v12
	v_add3_u32 v7, v15, v7, v3
	v_mov_b32_e32 v11, v13
	s_mov_b64 s[0:1], s[38:39]
	s_andn2_b64 vcc, exec, s[40:41]
	s_cbranch_vccz .LBB91_19
	s_branch .LBB91_29
.LBB91_18:                              ;   in Loop: Header=BB91_3 Depth=1
	s_mov_b64 s[0:1], s[24:25]
	s_andn2_b64 vcc, exec, s[40:41]
	s_cbranch_vccnz .LBB91_29
.LBB91_19:                              ;   in Loop: Header=BB91_3 Depth=1
	s_lshl_b64 s[44:45], s[0:1], 3
	s_add_u32 s42, s64, s44
	s_addc_u32 s43, s65, s45
	s_add_u32 s44, s33, s44
	s_addc_u32 s45, s62, s45
	;; [unrolled: 2-line block ×3, first 2 shown]
	s_branch .LBB91_21
.LBB91_20:                              ;   in Loop: Header=BB91_21 Depth=2
	s_or_b64 exec, exec, s[0:1]
	v_mul_lo_u32 v3, v13, s48
	v_mul_lo_u32 v20, v12, s49
	v_mad_u64_u32 v[18:19], s[0:1], v12, s48, 0
	v_mul_lo_u32 v21, v15, s50
	v_mul_lo_u32 v22, v14, s51
	v_add3_u32 v3, v19, v20, v3
	v_sub_co_u32_e32 v10, vcc, v10, v18
	v_subb_co_u32_e32 v3, vcc, v11, v3, vcc
	v_mul_lo_u32 v18, s54, v3
	v_mul_lo_u32 v19, s55, v10
	v_mad_u64_u32 v[8:9], s[0:1], s54, v10, v[8:9]
	v_mul_lo_u32 v3, s52, v3
	v_mul_lo_u32 v20, s53, v10
	v_mad_u64_u32 v[6:7], s[0:1], s52, v10, v[6:7]
	v_mad_u64_u32 v[10:11], s[0:1], v14, s50, 0
	s_load_dwordx2 s[0:1], s[44:45], 0xc8
	s_load_dwordx2 s[48:49], s[42:43], 0x0
	v_add3_u32 v7, v20, v7, v3
	v_add3_u32 v3, v11, v22, v21
	v_sub_co_u32_e32 v10, vcc, v12, v10
	v_add3_u32 v9, v19, v9, v18
	v_subb_co_u32_e32 v3, vcc, v13, v3, vcc
	s_add_u32 s42, s42, -16
	s_waitcnt lgkmcnt(0)
	v_mad_u64_u32 v[8:9], s[50:51], s0, v10, v[8:9]
	v_mul_lo_u32 v11, s0, v3
	v_mul_lo_u32 v12, s1, v10
	v_mad_u64_u32 v[6:7], s[0:1], s48, v10, v[6:7]
	v_mul_lo_u32 v3, s48, v3
	v_mul_lo_u32 v10, s49, v10
	s_addc_u32 s43, s43, -1
	s_add_u32 s44, s44, -16
	s_addc_u32 s45, s45, -1
	s_add_u32 s46, s46, -2
	v_add3_u32 v9, v12, v9, v11
	v_add3_u32 v7, v10, v7, v3
	s_addc_u32 s47, s47, -1
	v_mov_b32_e32 v10, v14
	s_cmp_eq_u64 s[46:47], 0
	v_mov_b32_e32 v11, v15
	s_cbranch_scc1 .LBB91_29
.LBB91_21:                              ;   Parent Loop BB91_3 Depth=1
                                        ; =>  This Inner Loop Header: Depth=2
	s_load_dwordx2 s[48:49], s[44:45], 0x8
                                        ; implicit-def: $vgpr12_vgpr13
	s_waitcnt lgkmcnt(0)
	v_or_b32_e32 v3, s49, v11
	v_cmp_ne_u64_e32 vcc, 0, v[2:3]
	s_and_saveexec_b64 s[0:1], vcc
	s_xor_b64 s[50:51], exec, s[0:1]
	s_cbranch_execz .LBB91_23
; %bb.22:                               ;   in Loop: Header=BB91_21 Depth=2
	s_ashr_i32 s52, s49, 31
	s_add_u32 s0, s48, s52
	s_mov_b32 s53, s52
	s_addc_u32 s1, s49, s52
	s_xor_b64 s[54:55], s[0:1], s[52:53]
	v_cvt_f32_u32_e32 v3, s54
	v_cvt_f32_u32_e32 v12, s55
	s_sub_u32 s53, 0, s54
	s_subb_u32 s56, 0, s55
	v_mac_f32_e32 v3, 0x4f800000, v12
	v_rcp_f32_e32 v3, v3
	v_mul_f32_e32 v3, 0x5f7ffffc, v3
	v_mul_f32_e32 v12, 0x2f800000, v3
	v_trunc_f32_e32 v12, v12
	v_mac_f32_e32 v3, 0xcf800000, v12
	v_cvt_u32_f32_e32 v12, v12
	v_cvt_u32_f32_e32 v3, v3
	v_readfirstlane_b32 s57, v12
	v_readfirstlane_b32 s0, v3
	s_mul_i32 s1, s53, s57
	s_mul_hi_u32 s59, s53, s0
	s_mul_i32 s58, s56, s0
	s_add_i32 s1, s59, s1
	s_add_i32 s1, s1, s58
	s_mul_i32 s60, s53, s0
	s_mul_i32 s59, s0, s1
	s_mul_hi_u32 s61, s0, s60
	s_mul_hi_u32 s58, s0, s1
	s_add_u32 s59, s61, s59
	s_addc_u32 s58, 0, s58
	s_mul_hi_u32 s66, s57, s60
	s_mul_i32 s60, s57, s60
	s_add_u32 s59, s59, s60
	s_mul_hi_u32 s61, s57, s1
	s_addc_u32 s58, s58, s66
	s_addc_u32 s59, s61, 0
	s_mul_i32 s1, s57, s1
	s_add_u32 s1, s58, s1
	s_addc_u32 s58, 0, s59
	s_add_u32 s59, s0, s1
	s_cselect_b64 s[0:1], -1, 0
	s_cmp_lg_u64 s[0:1], 0
	s_addc_u32 s57, s57, s58
	s_mul_i32 s0, s53, s57
	s_mul_hi_u32 s1, s53, s59
	s_add_i32 s0, s1, s0
	s_mul_i32 s56, s56, s59
	s_add_i32 s0, s0, s56
	s_mul_i32 s53, s53, s59
	s_mul_hi_u32 s56, s57, s53
	s_mul_i32 s58, s57, s53
	s_mul_i32 s61, s59, s0
	s_mul_hi_u32 s53, s59, s53
	s_mul_hi_u32 s60, s59, s0
	s_add_u32 s53, s53, s61
	s_addc_u32 s60, 0, s60
	s_add_u32 s53, s53, s58
	s_mul_hi_u32 s1, s57, s0
	s_addc_u32 s53, s60, s56
	s_addc_u32 s1, s1, 0
	s_mul_i32 s0, s57, s0
	s_add_u32 s0, s53, s0
	s_addc_u32 s53, 0, s1
	s_add_u32 s56, s59, s0
	s_cselect_b64 s[0:1], -1, 0
	v_ashrrev_i32_e32 v3, 31, v11
	s_cmp_lg_u64 s[0:1], 0
	v_add_co_u32_e32 v12, vcc, v10, v3
	s_addc_u32 s53, s57, s53
	v_xor_b32_e32 v18, v12, v3
	v_mad_u64_u32 v[12:13], s[0:1], v18, s53, 0
	v_mul_hi_u32 v15, v18, s56
	v_addc_co_u32_e32 v14, vcc, v11, v3, vcc
	v_xor_b32_e32 v19, v14, v3
	v_add_co_u32_e32 v20, vcc, v15, v12
	v_addc_co_u32_e32 v21, vcc, 0, v13, vcc
	v_mad_u64_u32 v[12:13], s[0:1], v19, s56, 0
	v_mad_u64_u32 v[14:15], s[0:1], v19, s53, 0
	v_add_co_u32_e32 v12, vcc, v20, v12
	v_addc_co_u32_e32 v12, vcc, v21, v13, vcc
	v_addc_co_u32_e32 v13, vcc, 0, v15, vcc
	v_add_co_u32_e32 v14, vcc, v12, v14
	v_addc_co_u32_e32 v15, vcc, 0, v13, vcc
	v_mul_lo_u32 v20, s55, v14
	v_mul_lo_u32 v21, s54, v15
	v_mad_u64_u32 v[12:13], s[0:1], s54, v14, 0
	v_xor_b32_e32 v3, s52, v3
	v_add3_u32 v13, v13, v21, v20
	v_sub_u32_e32 v20, v19, v13
	v_mov_b32_e32 v21, s55
	v_sub_co_u32_e32 v12, vcc, v18, v12
	v_subb_co_u32_e64 v18, s[0:1], v20, v21, vcc
	v_subrev_co_u32_e64 v20, s[0:1], s54, v12
	v_subbrev_co_u32_e64 v18, s[0:1], 0, v18, s[0:1]
	v_cmp_le_u32_e64 s[0:1], s55, v18
	v_cndmask_b32_e64 v21, 0, -1, s[0:1]
	v_cmp_le_u32_e64 s[0:1], s54, v20
	v_cndmask_b32_e64 v20, 0, -1, s[0:1]
	v_cmp_eq_u32_e64 s[0:1], s55, v18
	v_cndmask_b32_e64 v18, v21, v20, s[0:1]
	v_add_co_u32_e64 v20, s[0:1], 2, v14
	v_subb_co_u32_e32 v13, vcc, v19, v13, vcc
	v_addc_co_u32_e64 v21, s[0:1], 0, v15, s[0:1]
	v_cmp_le_u32_e32 vcc, s55, v13
	v_add_co_u32_e64 v22, s[0:1], 1, v14
	v_cndmask_b32_e64 v19, 0, -1, vcc
	v_cmp_le_u32_e32 vcc, s54, v12
	v_addc_co_u32_e64 v23, s[0:1], 0, v15, s[0:1]
	v_cndmask_b32_e64 v12, 0, -1, vcc
	v_cmp_eq_u32_e32 vcc, s55, v13
	v_cmp_ne_u32_e64 s[0:1], 0, v18
	v_cndmask_b32_e32 v12, v19, v12, vcc
	v_cndmask_b32_e64 v18, v23, v21, s[0:1]
	v_cmp_ne_u32_e32 vcc, 0, v12
	v_cndmask_b32_e64 v13, v22, v20, s[0:1]
	v_cndmask_b32_e32 v12, v15, v18, vcc
	v_cndmask_b32_e32 v13, v14, v13, vcc
	v_xor_b32_e32 v14, v12, v3
	v_xor_b32_e32 v12, v13, v3
	v_sub_co_u32_e32 v12, vcc, v12, v3
	v_subb_co_u32_e32 v13, vcc, v14, v3, vcc
.LBB91_23:                              ;   in Loop: Header=BB91_21 Depth=2
	s_andn2_saveexec_b64 s[0:1], s[50:51]
	s_cbranch_execz .LBB91_25
; %bb.24:                               ;   in Loop: Header=BB91_21 Depth=2
	v_cvt_f32_u32_e32 v3, s48
	s_sub_i32 s50, 0, s48
	v_rcp_iflag_f32_e32 v3, v3
	v_mul_f32_e32 v3, 0x4f7ffffe, v3
	v_cvt_u32_f32_e32 v3, v3
	v_mul_lo_u32 v12, s50, v3
	v_mul_hi_u32 v12, v3, v12
	v_add_u32_e32 v3, v3, v12
	v_mul_hi_u32 v3, v10, v3
	v_mul_lo_u32 v12, v3, s48
	v_add_u32_e32 v13, 1, v3
	v_sub_u32_e32 v12, v10, v12
	v_subrev_u32_e32 v14, s48, v12
	v_cmp_le_u32_e32 vcc, s48, v12
	v_cndmask_b32_e32 v12, v12, v14, vcc
	v_cndmask_b32_e32 v3, v3, v13, vcc
	v_add_u32_e32 v13, 1, v3
	v_cmp_le_u32_e32 vcc, s48, v12
	v_cndmask_b32_e32 v12, v3, v13, vcc
	v_mov_b32_e32 v13, v2
.LBB91_25:                              ;   in Loop: Header=BB91_21 Depth=2
	s_or_b64 exec, exec, s[0:1]
	s_load_dwordx2 s[50:51], s[44:45], 0x0
	s_load_dwordx2 s[54:55], s[44:45], 0xd0
	;; [unrolled: 1-line block ×3, first 2 shown]
                                        ; implicit-def: $vgpr14_vgpr15
	s_waitcnt lgkmcnt(0)
	v_or_b32_e32 v3, s51, v13
	v_cmp_ne_u64_e32 vcc, 0, v[2:3]
	s_and_saveexec_b64 s[0:1], vcc
	s_xor_b64 s[56:57], exec, s[0:1]
	s_cbranch_execz .LBB91_27
; %bb.26:                               ;   in Loop: Header=BB91_21 Depth=2
	s_ashr_i32 s58, s51, 31
	s_add_u32 s0, s50, s58
	s_mov_b32 s59, s58
	s_addc_u32 s1, s51, s58
	s_xor_b64 s[60:61], s[0:1], s[58:59]
	v_cvt_f32_u32_e32 v3, s60
	v_cvt_f32_u32_e32 v14, s61
	s_sub_u32 s59, 0, s60
	s_subb_u32 s66, 0, s61
	v_mac_f32_e32 v3, 0x4f800000, v14
	v_rcp_f32_e32 v3, v3
	v_mul_f32_e32 v3, 0x5f7ffffc, v3
	v_mul_f32_e32 v14, 0x2f800000, v3
	v_trunc_f32_e32 v14, v14
	v_mac_f32_e32 v3, 0xcf800000, v14
	v_cvt_u32_f32_e32 v14, v14
	v_cvt_u32_f32_e32 v3, v3
	v_readfirstlane_b32 s67, v14
	v_readfirstlane_b32 s0, v3
	s_mul_i32 s1, s59, s67
	s_mul_hi_u32 s69, s59, s0
	s_mul_i32 s68, s66, s0
	s_add_i32 s1, s69, s1
	s_add_i32 s1, s1, s68
	s_mul_i32 s70, s59, s0
	s_mul_i32 s69, s0, s1
	s_mul_hi_u32 s71, s0, s70
	s_mul_hi_u32 s68, s0, s1
	s_add_u32 s69, s71, s69
	s_addc_u32 s68, 0, s68
	s_mul_hi_u32 s72, s67, s70
	s_mul_i32 s70, s67, s70
	s_add_u32 s69, s69, s70
	s_mul_hi_u32 s71, s67, s1
	s_addc_u32 s68, s68, s72
	s_addc_u32 s69, s71, 0
	s_mul_i32 s1, s67, s1
	s_add_u32 s1, s68, s1
	s_addc_u32 s68, 0, s69
	s_add_u32 s69, s0, s1
	s_cselect_b64 s[0:1], -1, 0
	s_cmp_lg_u64 s[0:1], 0
	s_addc_u32 s67, s67, s68
	s_mul_i32 s0, s59, s67
	s_mul_hi_u32 s1, s59, s69
	s_add_i32 s0, s1, s0
	s_mul_i32 s66, s66, s69
	s_add_i32 s0, s0, s66
	s_mul_i32 s59, s59, s69
	s_mul_hi_u32 s66, s67, s59
	s_mul_i32 s68, s67, s59
	s_mul_i32 s71, s69, s0
	s_mul_hi_u32 s59, s69, s59
	s_mul_hi_u32 s70, s69, s0
	s_add_u32 s59, s59, s71
	s_addc_u32 s70, 0, s70
	s_add_u32 s59, s59, s68
	s_mul_hi_u32 s1, s67, s0
	s_addc_u32 s59, s70, s66
	s_addc_u32 s1, s1, 0
	s_mul_i32 s0, s67, s0
	s_add_u32 s0, s59, s0
	s_addc_u32 s59, 0, s1
	s_add_u32 s66, s69, s0
	s_cselect_b64 s[0:1], -1, 0
	v_ashrrev_i32_e32 v3, 31, v13
	s_cmp_lg_u64 s[0:1], 0
	v_add_co_u32_e32 v14, vcc, v12, v3
	s_addc_u32 s59, s67, s59
	v_xor_b32_e32 v20, v14, v3
	v_mad_u64_u32 v[14:15], s[0:1], v20, s59, 0
	v_mul_hi_u32 v19, v20, s66
	v_addc_co_u32_e32 v18, vcc, v13, v3, vcc
	v_xor_b32_e32 v21, v18, v3
	v_add_co_u32_e32 v22, vcc, v19, v14
	v_addc_co_u32_e32 v23, vcc, 0, v15, vcc
	v_mad_u64_u32 v[14:15], s[0:1], v21, s66, 0
	v_mad_u64_u32 v[18:19], s[0:1], v21, s59, 0
	v_add_co_u32_e32 v14, vcc, v22, v14
	v_addc_co_u32_e32 v14, vcc, v23, v15, vcc
	v_addc_co_u32_e32 v15, vcc, 0, v19, vcc
	v_add_co_u32_e32 v18, vcc, v14, v18
	v_addc_co_u32_e32 v19, vcc, 0, v15, vcc
	v_mul_lo_u32 v22, s61, v18
	v_mul_lo_u32 v23, s60, v19
	v_mad_u64_u32 v[14:15], s[0:1], s60, v18, 0
	v_xor_b32_e32 v3, s58, v3
	v_add3_u32 v15, v15, v23, v22
	v_sub_u32_e32 v22, v21, v15
	v_mov_b32_e32 v23, s61
	v_sub_co_u32_e32 v14, vcc, v20, v14
	v_subb_co_u32_e64 v20, s[0:1], v22, v23, vcc
	v_subrev_co_u32_e64 v22, s[0:1], s60, v14
	v_subbrev_co_u32_e64 v20, s[0:1], 0, v20, s[0:1]
	v_cmp_le_u32_e64 s[0:1], s61, v20
	v_cndmask_b32_e64 v23, 0, -1, s[0:1]
	v_cmp_le_u32_e64 s[0:1], s60, v22
	v_cndmask_b32_e64 v22, 0, -1, s[0:1]
	v_cmp_eq_u32_e64 s[0:1], s61, v20
	v_cndmask_b32_e64 v20, v23, v22, s[0:1]
	v_add_co_u32_e64 v22, s[0:1], 2, v18
	v_subb_co_u32_e32 v15, vcc, v21, v15, vcc
	v_addc_co_u32_e64 v23, s[0:1], 0, v19, s[0:1]
	v_cmp_le_u32_e32 vcc, s61, v15
	v_add_co_u32_e64 v24, s[0:1], 1, v18
	v_cndmask_b32_e64 v21, 0, -1, vcc
	v_cmp_le_u32_e32 vcc, s60, v14
	v_addc_co_u32_e64 v25, s[0:1], 0, v19, s[0:1]
	v_cndmask_b32_e64 v14, 0, -1, vcc
	v_cmp_eq_u32_e32 vcc, s61, v15
	v_cmp_ne_u32_e64 s[0:1], 0, v20
	v_cndmask_b32_e32 v14, v21, v14, vcc
	v_cndmask_b32_e64 v20, v25, v23, s[0:1]
	v_cmp_ne_u32_e32 vcc, 0, v14
	v_cndmask_b32_e64 v15, v24, v22, s[0:1]
	v_cndmask_b32_e32 v14, v19, v20, vcc
	v_cndmask_b32_e32 v15, v18, v15, vcc
	v_xor_b32_e32 v18, v14, v3
	v_xor_b32_e32 v14, v15, v3
	v_sub_co_u32_e32 v14, vcc, v14, v3
	v_subb_co_u32_e32 v15, vcc, v18, v3, vcc
.LBB91_27:                              ;   in Loop: Header=BB91_21 Depth=2
	s_andn2_saveexec_b64 s[0:1], s[56:57]
	s_cbranch_execz .LBB91_20
; %bb.28:                               ;   in Loop: Header=BB91_21 Depth=2
	v_cvt_f32_u32_e32 v3, s50
	s_sub_i32 s56, 0, s50
	v_rcp_iflag_f32_e32 v3, v3
	v_mul_f32_e32 v3, 0x4f7ffffe, v3
	v_cvt_u32_f32_e32 v3, v3
	v_mul_lo_u32 v14, s56, v3
	v_mul_hi_u32 v14, v3, v14
	v_add_u32_e32 v3, v3, v14
	v_mul_hi_u32 v3, v12, v3
	v_mul_lo_u32 v14, v3, s50
	v_add_u32_e32 v15, 1, v3
	v_sub_u32_e32 v14, v12, v14
	v_subrev_u32_e32 v18, s50, v14
	v_cmp_le_u32_e32 vcc, s50, v14
	v_cndmask_b32_e32 v14, v14, v18, vcc
	v_cndmask_b32_e32 v3, v3, v15, vcc
	v_add_u32_e32 v15, 1, v3
	v_cmp_le_u32_e32 vcc, s50, v14
	v_cndmask_b32_e32 v14, v3, v15, vcc
	v_mov_b32_e32 v15, v2
	s_branch .LBB91_20
.LBB91_29:                              ;   in Loop: Header=BB91_3 Depth=1
	v_sub_co_u32_e32 v10, vcc, v4, v16
	v_subb_co_u32_e32 v11, vcc, v5, v17, vcc
	v_add_co_u32_e32 v12, vcc, 2, v10
	v_addc_co_u32_e32 v13, vcc, 0, v11, vcc
	v_cmp_le_i64_e32 vcc, s[8:9], v[12:13]
	v_mov_b32_e32 v3, 0
	v_mov_b32_e32 v12, 0
	v_mov_b32_e32 v14, 0
	v_mov_b32_e32 v15, 0
	s_and_saveexec_b64 s[0:1], vcc
	s_cbranch_execz .LBB91_35
; %bb.30:                               ;   in Loop: Header=BB91_3 Depth=1
	v_cmp_gt_i64_e32 vcc, s[14:15], v[4:5]
	v_mov_b32_e32 v14, 0
	v_mov_b32_e32 v3, 0
	;; [unrolled: 1-line block ×4, first 2 shown]
	s_and_saveexec_b64 s[42:43], vcc
	s_cbranch_execz .LBB91_34
; %bb.31:                               ;   in Loop: Header=BB91_3 Depth=1
	v_lshlrev_b64 v[8:9], 2, v[8:9]
	v_mov_b32_e32 v3, s3
	v_add_co_u32_e32 v8, vcc, s2, v8
	v_addc_co_u32_e32 v9, vcc, v3, v9, vcc
	global_load_dword v3, v[8:9], off
	v_add_co_u32_e32 v12, vcc, 1, v4
	v_addc_co_u32_e32 v13, vcc, 0, v5, vcc
	v_cmp_gt_i64_e32 vcc, s[14:15], v[12:13]
	v_mov_b32_e32 v13, 0
	v_mov_b32_e32 v12, 0
	s_and_saveexec_b64 s[44:45], vcc
	s_xor_b64 s[44:45], exec, s[44:45]
	s_cbranch_execz .LBB91_33
; %bb.32:                               ;   in Loop: Header=BB91_3 Depth=1
	s_lshl_b64 s[46:47], s[18:19], 2
	v_mov_b32_e32 v12, s47
	v_add_co_u32_e32 v8, vcc, s46, v8
	v_addc_co_u32_e32 v9, vcc, v9, v12, vcc
	global_load_dword v8, v[8:9], off
	s_waitcnt vmcnt(0)
	v_and_b32_e32 v12, 0xffff0000, v8
	v_and_b32_e32 v13, 0xffff, v8
.LBB91_33:                              ;   in Loop: Header=BB91_3 Depth=1
	s_or_b64 exec, exec, s[44:45]
	s_waitcnt vmcnt(0)
	v_lshrrev_b32_e32 v14, 16, v3
.LBB91_34:                              ;   in Loop: Header=BB91_3 Depth=1
	s_or_b64 exec, exec, s[42:43]
	v_cmp_gt_i64_e32 vcc, s[8:9], v[10:11]
	v_lshlrev_b32_e32 v8, 16, v14
	v_and_b32_e32 v3, 0xffff, v3
	v_cndmask_b32_e64 v14, v3, 0, vcc
	v_cndmask_b32_e64 v15, v8, 0, vcc
	v_add_co_u32_e32 v8, vcc, 1, v10
	v_addc_co_u32_e32 v9, vcc, 0, v11, vcc
	v_cmp_gt_i64_e32 vcc, s[8:9], v[8:9]
	v_cndmask_b32_e64 v3, v13, 0, vcc
	v_cndmask_b32_e64 v12, v12, 0, vcc
.LBB91_35:                              ;   in Loop: Header=BB91_3 Depth=1
	s_or_b64 exec, exec, s[0:1]
	v_cmp_gt_i64_e32 vcc, s[14:15], v[4:5]
	s_and_saveexec_b64 s[0:1], vcc
	s_cbranch_execz .LBB91_2
; %bb.36:                               ;   in Loop: Header=BB91_3 Depth=1
	v_lshlrev_b64 v[6:7], 2, v[6:7]
	v_mov_b32_e32 v8, s29
	v_add_co_u32_e32 v6, vcc, s28, v6
	v_addc_co_u32_e32 v7, vcc, v8, v7, vcc
	v_add_co_u32_e32 v4, vcc, 1, v4
	v_addc_co_u32_e32 v5, vcc, 0, v5, vcc
	v_cmp_gt_i64_e32 vcc, s[14:15], v[4:5]
	v_or_b32_e32 v8, v15, v14
	global_store_dword v[6:7], v8, off
	s_and_saveexec_b64 s[42:43], vcc
	s_xor_b64 s[42:43], exec, s[42:43]
	s_cbranch_execz .LBB91_2
; %bb.37:                               ;   in Loop: Header=BB91_3 Depth=1
	s_lshl_b64 s[42:43], s[22:23], 2
	v_mov_b32_e32 v5, s43
	v_add_co_u32_e32 v4, vcc, s42, v6
	v_addc_co_u32_e32 v5, vcc, v7, v5, vcc
	v_or_b32_e32 v3, v12, v3
	global_store_dword v[4:5], v3, off
	s_branch .LBB91_2
.LBB91_38:
	s_endpgm
	.section	.rodata,"a",@progbits
	.p2align	6, 0x0
	.amdhsa_kernel _ZN2at6native16triu_tril_kernelIN3c107complexINS2_4HalfEEElLb1ELi2ELb0EEEvNS_4cuda6detail10TensorInfoIT_T0_EENS8_IKS9_SA_EEllSA_
		.amdhsa_group_segment_fixed_size 0
		.amdhsa_private_segment_fixed_size 0
		.amdhsa_kernarg_size 1112
		.amdhsa_user_sgpr_count 6
		.amdhsa_user_sgpr_private_segment_buffer 1
		.amdhsa_user_sgpr_dispatch_ptr 0
		.amdhsa_user_sgpr_queue_ptr 0
		.amdhsa_user_sgpr_kernarg_segment_ptr 1
		.amdhsa_user_sgpr_dispatch_id 0
		.amdhsa_user_sgpr_flat_scratch_init 0
		.amdhsa_user_sgpr_private_segment_size 0
		.amdhsa_uses_dynamic_stack 0
		.amdhsa_system_sgpr_private_segment_wavefront_offset 0
		.amdhsa_system_sgpr_workgroup_id_x 1
		.amdhsa_system_sgpr_workgroup_id_y 0
		.amdhsa_system_sgpr_workgroup_id_z 0
		.amdhsa_system_sgpr_workgroup_info 0
		.amdhsa_system_vgpr_workitem_id 0
		.amdhsa_next_free_vgpr 26
		.amdhsa_next_free_sgpr 73
		.amdhsa_reserve_vcc 1
		.amdhsa_reserve_flat_scratch 0
		.amdhsa_float_round_mode_32 0
		.amdhsa_float_round_mode_16_64 0
		.amdhsa_float_denorm_mode_32 3
		.amdhsa_float_denorm_mode_16_64 3
		.amdhsa_dx10_clamp 1
		.amdhsa_ieee_mode 1
		.amdhsa_fp16_overflow 0
		.amdhsa_exception_fp_ieee_invalid_op 0
		.amdhsa_exception_fp_denorm_src 0
		.amdhsa_exception_fp_ieee_div_zero 0
		.amdhsa_exception_fp_ieee_overflow 0
		.amdhsa_exception_fp_ieee_underflow 0
		.amdhsa_exception_fp_ieee_inexact 0
		.amdhsa_exception_int_div_zero 0
	.end_amdhsa_kernel
	.section	.text._ZN2at6native16triu_tril_kernelIN3c107complexINS2_4HalfEEElLb1ELi2ELb0EEEvNS_4cuda6detail10TensorInfoIT_T0_EENS8_IKS9_SA_EEllSA_,"axG",@progbits,_ZN2at6native16triu_tril_kernelIN3c107complexINS2_4HalfEEElLb1ELi2ELb0EEEvNS_4cuda6detail10TensorInfoIT_T0_EENS8_IKS9_SA_EEllSA_,comdat
.Lfunc_end91:
	.size	_ZN2at6native16triu_tril_kernelIN3c107complexINS2_4HalfEEElLb1ELi2ELb0EEEvNS_4cuda6detail10TensorInfoIT_T0_EENS8_IKS9_SA_EEllSA_, .Lfunc_end91-_ZN2at6native16triu_tril_kernelIN3c107complexINS2_4HalfEEElLb1ELi2ELb0EEEvNS_4cuda6detail10TensorInfoIT_T0_EENS8_IKS9_SA_EEllSA_
                                        ; -- End function
	.set _ZN2at6native16triu_tril_kernelIN3c107complexINS2_4HalfEEElLb1ELi2ELb0EEEvNS_4cuda6detail10TensorInfoIT_T0_EENS8_IKS9_SA_EEllSA_.num_vgpr, 26
	.set _ZN2at6native16triu_tril_kernelIN3c107complexINS2_4HalfEEElLb1ELi2ELb0EEEvNS_4cuda6detail10TensorInfoIT_T0_EENS8_IKS9_SA_EEllSA_.num_agpr, 0
	.set _ZN2at6native16triu_tril_kernelIN3c107complexINS2_4HalfEEElLb1ELi2ELb0EEEvNS_4cuda6detail10TensorInfoIT_T0_EENS8_IKS9_SA_EEllSA_.numbered_sgpr, 73
	.set _ZN2at6native16triu_tril_kernelIN3c107complexINS2_4HalfEEElLb1ELi2ELb0EEEvNS_4cuda6detail10TensorInfoIT_T0_EENS8_IKS9_SA_EEllSA_.num_named_barrier, 0
	.set _ZN2at6native16triu_tril_kernelIN3c107complexINS2_4HalfEEElLb1ELi2ELb0EEEvNS_4cuda6detail10TensorInfoIT_T0_EENS8_IKS9_SA_EEllSA_.private_seg_size, 0
	.set _ZN2at6native16triu_tril_kernelIN3c107complexINS2_4HalfEEElLb1ELi2ELb0EEEvNS_4cuda6detail10TensorInfoIT_T0_EENS8_IKS9_SA_EEllSA_.uses_vcc, 1
	.set _ZN2at6native16triu_tril_kernelIN3c107complexINS2_4HalfEEElLb1ELi2ELb0EEEvNS_4cuda6detail10TensorInfoIT_T0_EENS8_IKS9_SA_EEllSA_.uses_flat_scratch, 0
	.set _ZN2at6native16triu_tril_kernelIN3c107complexINS2_4HalfEEElLb1ELi2ELb0EEEvNS_4cuda6detail10TensorInfoIT_T0_EENS8_IKS9_SA_EEllSA_.has_dyn_sized_stack, 0
	.set _ZN2at6native16triu_tril_kernelIN3c107complexINS2_4HalfEEElLb1ELi2ELb0EEEvNS_4cuda6detail10TensorInfoIT_T0_EENS8_IKS9_SA_EEllSA_.has_recursion, 0
	.set _ZN2at6native16triu_tril_kernelIN3c107complexINS2_4HalfEEElLb1ELi2ELb0EEEvNS_4cuda6detail10TensorInfoIT_T0_EENS8_IKS9_SA_EEllSA_.has_indirect_call, 0
	.section	.AMDGPU.csdata,"",@progbits
; Kernel info:
; codeLenInByte = 5092
; TotalNumSgprs: 77
; NumVgprs: 26
; ScratchSize: 0
; MemoryBound: 0
; FloatMode: 240
; IeeeMode: 1
; LDSByteSize: 0 bytes/workgroup (compile time only)
; SGPRBlocks: 9
; VGPRBlocks: 6
; NumSGPRsForWavesPerEU: 77
; NumVGPRsForWavesPerEU: 26
; Occupancy: 9
; WaveLimiterHint : 0
; COMPUTE_PGM_RSRC2:SCRATCH_EN: 0
; COMPUTE_PGM_RSRC2:USER_SGPR: 6
; COMPUTE_PGM_RSRC2:TRAP_HANDLER: 0
; COMPUTE_PGM_RSRC2:TGID_X_EN: 1
; COMPUTE_PGM_RSRC2:TGID_Y_EN: 0
; COMPUTE_PGM_RSRC2:TGID_Z_EN: 0
; COMPUTE_PGM_RSRC2:TIDIG_COMP_CNT: 0
	.section	.text._ZN2at6native16triu_tril_kernelIN3c104HalfEiLb1ELi4ELb1EEEvNS_4cuda6detail10TensorInfoIT_T0_EENS6_IKS7_S8_EEllS8_,"axG",@progbits,_ZN2at6native16triu_tril_kernelIN3c104HalfEiLb1ELi4ELb1EEEvNS_4cuda6detail10TensorInfoIT_T0_EENS6_IKS7_S8_EEllS8_,comdat
	.protected	_ZN2at6native16triu_tril_kernelIN3c104HalfEiLb1ELi4ELb1EEEvNS_4cuda6detail10TensorInfoIT_T0_EENS6_IKS7_S8_EEllS8_ ; -- Begin function _ZN2at6native16triu_tril_kernelIN3c104HalfEiLb1ELi4ELb1EEEvNS_4cuda6detail10TensorInfoIT_T0_EENS6_IKS7_S8_EEllS8_
	.globl	_ZN2at6native16triu_tril_kernelIN3c104HalfEiLb1ELi4ELb1EEEvNS_4cuda6detail10TensorInfoIT_T0_EENS6_IKS7_S8_EEllS8_
	.p2align	8
	.type	_ZN2at6native16triu_tril_kernelIN3c104HalfEiLb1ELi4ELb1EEEvNS_4cuda6detail10TensorInfoIT_T0_EENS6_IKS7_S8_EEllS8_,@function
_ZN2at6native16triu_tril_kernelIN3c104HalfEiLb1ELi4ELb1EEEvNS_4cuda6detail10TensorInfoIT_T0_EENS6_IKS7_S8_EEllS8_: ; @_ZN2at6native16triu_tril_kernelIN3c104HalfEiLb1ELi4ELb1EEEvNS_4cuda6detail10TensorInfoIT_T0_EENS6_IKS7_S8_EEllS8_
; %bb.0:
	s_load_dword s2, s[4:5], 0x1d4
	s_load_dwordx4 s[8:11], s[4:5], 0x1b0
	s_add_u32 s0, s4, 0x1c8
	v_mov_b32_e32 v2, 0
	s_addc_u32 s1, s5, 0
	s_waitcnt lgkmcnt(0)
	s_and_b32 s7, s2, 0xffff
	v_mov_b32_e32 v1, v2
	v_mov_b32_e32 v3, s6
	v_mad_u64_u32 v[0:1], s[2:3], s7, v3, v[0:1]
	v_lshlrev_b64 v[0:1], 2, v[0:1]
	v_cmp_gt_i64_e32 vcc, s[10:11], v[0:1]
	s_and_saveexec_b64 s[2:3], vcc
	s_cbranch_execz .LBB92_67
; %bb.1:
	s_load_dword s33, s[4:5], 0x1c0
	s_load_dword s16, s[4:5], 0x1a8
	s_add_u32 s42, s4, 0xd8
	s_addc_u32 s43, s5, 0
	s_load_dword s6, s[0:1], 0x0
	s_waitcnt lgkmcnt(0)
	s_ashr_i32 s44, s33, 31
	s_ashr_i32 s17, s16, 31
	s_lshl_b64 s[0:1], s[16:17], 2
	s_add_u32 s2, s42, s0
	s_addc_u32 s3, s43, s1
	s_load_dword s45, s[2:3], 0x0
	s_load_dwordx2 s[12:13], s[4:5], 0x0
	s_mul_i32 s18, s6, s7
	v_cmp_gt_i64_e64 s[6:7], s[16:17], 2
	s_mov_b32 s17, 0
	s_waitcnt lgkmcnt(0)
	s_ashr_i32 s46, s45, 31
	s_add_u32 s14, s4, s0
	s_addc_u32 s15, s5, s1
	s_add_i32 s0, s16, 6
	s_add_i32 s47, s16, -3
	s_lshl_b32 s48, s18, 2
	s_and_b32 s49, s0, 7
	s_and_b32 s0, s16, 7
	s_cmp_lg_u32 s0, 2
	s_cselect_b64 s[18:19], -1, 0
	s_cmp_gt_u32 s47, 6
	s_cselect_b64 s[20:21], -1, 0
	s_mov_b64 s[22:23], 0
	s_ashr_i32 s24, s44, 31
	s_branch .LBB92_3
.LBB92_2:                               ;   in Loop: Header=BB92_3 Depth=1
	s_or_b64 exec, exec, s[26:27]
	v_add_co_u32_e32 v0, vcc, s48, v0
	v_addc_co_u32_e32 v1, vcc, 0, v1, vcc
	v_cmp_le_i64_e32 vcc, s[10:11], v[0:1]
	s_or_b64 s[22:23], vcc, s[22:23]
	s_andn2_b64 exec, exec, s[22:23]
	s_cbranch_execz .LBB92_67
.LBB92_3:                               ; =>This Loop Header: Depth=1
                                        ;     Child Loop BB92_14 Depth 2
                                        ;     Child Loop BB92_23 Depth 2
	v_or_b32_e32 v3, s44, v1
	v_cmp_ne_u64_e32 vcc, 0, v[2:3]
                                        ; implicit-def: $vgpr4_vgpr5
	s_and_saveexec_b64 s[0:1], vcc
	s_xor_b64 s[26:27], exec, s[0:1]
	s_cbranch_execz .LBB92_5
; %bb.4:                                ;   in Loop: Header=BB92_3 Depth=1
	s_add_u32 s0, s33, s24
	s_mov_b32 s25, s24
	s_addc_u32 s1, s44, s24
	s_xor_b64 s[28:29], s[0:1], s[24:25]
	v_cvt_f32_u32_e32 v3, s28
	v_cvt_f32_u32_e32 v4, s29
	s_sub_u32 s16, 0, s28
	s_subb_u32 s25, 0, s29
	v_ashrrev_i32_e32 v7, 31, v1
	v_mac_f32_e32 v3, 0x4f800000, v4
	v_rcp_f32_e32 v3, v3
	v_mul_f32_e32 v3, 0x5f7ffffc, v3
	v_mul_f32_e32 v4, 0x2f800000, v3
	v_trunc_f32_e32 v4, v4
	v_mac_f32_e32 v3, 0xcf800000, v4
	v_cvt_u32_f32_e32 v4, v4
	v_cvt_u32_f32_e32 v3, v3
	v_readfirstlane_b32 s30, v4
	v_readfirstlane_b32 s0, v3
	s_mul_i32 s1, s16, s30
	s_mul_hi_u32 s34, s16, s0
	s_mul_i32 s31, s25, s0
	s_add_i32 s1, s34, s1
	s_add_i32 s1, s1, s31
	s_mul_i32 s35, s16, s0
	s_mul_i32 s34, s0, s1
	s_mul_hi_u32 s36, s0, s35
	s_mul_hi_u32 s31, s0, s1
	s_add_u32 s34, s36, s34
	s_addc_u32 s31, 0, s31
	s_mul_hi_u32 s37, s30, s35
	s_mul_i32 s35, s30, s35
	s_add_u32 s34, s34, s35
	s_mul_hi_u32 s36, s30, s1
	s_addc_u32 s31, s31, s37
	s_addc_u32 s34, s36, 0
	s_mul_i32 s1, s30, s1
	s_add_u32 s1, s31, s1
	s_addc_u32 s31, 0, s34
	s_add_u32 s34, s0, s1
	s_cselect_b64 s[0:1], -1, 0
	s_cmp_lg_u64 s[0:1], 0
	s_addc_u32 s30, s30, s31
	s_mul_i32 s0, s16, s30
	s_mul_hi_u32 s1, s16, s34
	s_add_i32 s0, s1, s0
	s_mul_i32 s25, s25, s34
	s_add_i32 s0, s0, s25
	s_mul_i32 s16, s16, s34
	s_mul_hi_u32 s25, s30, s16
	s_mul_i32 s31, s30, s16
	s_mul_i32 s36, s34, s0
	s_mul_hi_u32 s16, s34, s16
	s_mul_hi_u32 s35, s34, s0
	s_add_u32 s16, s16, s36
	s_addc_u32 s35, 0, s35
	s_add_u32 s16, s16, s31
	s_mul_hi_u32 s1, s30, s0
	s_addc_u32 s16, s35, s25
	s_addc_u32 s1, s1, 0
	s_mul_i32 s0, s30, s0
	s_add_u32 s0, s16, s0
	s_addc_u32 s16, 0, s1
	s_add_u32 s25, s34, s0
	s_cselect_b64 s[0:1], -1, 0
	s_cmp_lg_u64 s[0:1], 0
	v_add_co_u32_e32 v3, vcc, v0, v7
	s_addc_u32 s16, s30, s16
	v_xor_b32_e32 v8, v3, v7
	v_mad_u64_u32 v[3:4], s[0:1], v8, s16, 0
	v_mul_hi_u32 v6, v8, s25
	v_addc_co_u32_e32 v5, vcc, v1, v7, vcc
	v_xor_b32_e32 v9, v5, v7
	v_add_co_u32_e32 v10, vcc, v6, v3
	v_addc_co_u32_e32 v11, vcc, 0, v4, vcc
	v_mad_u64_u32 v[3:4], s[0:1], v9, s25, 0
	v_mad_u64_u32 v[5:6], s[0:1], v9, s16, 0
	v_add_co_u32_e32 v3, vcc, v10, v3
	v_addc_co_u32_e32 v3, vcc, v11, v4, vcc
	v_addc_co_u32_e32 v4, vcc, 0, v6, vcc
	v_add_co_u32_e32 v5, vcc, v3, v5
	v_addc_co_u32_e32 v6, vcc, 0, v4, vcc
	v_mul_lo_u32 v10, s29, v5
	v_mul_lo_u32 v11, s28, v6
	v_mad_u64_u32 v[3:4], s[0:1], s28, v5, 0
	v_add3_u32 v4, v4, v11, v10
	v_sub_u32_e32 v10, v9, v4
	v_mov_b32_e32 v11, s29
	v_sub_co_u32_e32 v3, vcc, v8, v3
	v_subb_co_u32_e64 v8, s[0:1], v10, v11, vcc
	v_subrev_co_u32_e64 v10, s[0:1], s28, v3
	v_subbrev_co_u32_e64 v8, s[0:1], 0, v8, s[0:1]
	v_cmp_le_u32_e64 s[0:1], s29, v8
	v_cndmask_b32_e64 v11, 0, -1, s[0:1]
	v_cmp_le_u32_e64 s[0:1], s28, v10
	v_cndmask_b32_e64 v10, 0, -1, s[0:1]
	v_cmp_eq_u32_e64 s[0:1], s29, v8
	v_cndmask_b32_e64 v8, v11, v10, s[0:1]
	v_add_co_u32_e64 v10, s[0:1], 2, v5
	v_subb_co_u32_e32 v4, vcc, v9, v4, vcc
	v_addc_co_u32_e64 v11, s[0:1], 0, v6, s[0:1]
	v_cmp_le_u32_e32 vcc, s29, v4
	v_add_co_u32_e64 v12, s[0:1], 1, v5
	v_cndmask_b32_e64 v9, 0, -1, vcc
	v_cmp_le_u32_e32 vcc, s28, v3
	v_addc_co_u32_e64 v13, s[0:1], 0, v6, s[0:1]
	v_cndmask_b32_e64 v3, 0, -1, vcc
	v_cmp_eq_u32_e32 vcc, s29, v4
	v_cmp_ne_u32_e64 s[0:1], 0, v8
	v_cndmask_b32_e32 v3, v9, v3, vcc
	v_cmp_ne_u32_e32 vcc, 0, v3
	v_cndmask_b32_e64 v4, v12, v10, s[0:1]
	v_cndmask_b32_e64 v8, v13, v11, s[0:1]
	v_cndmask_b32_e32 v4, v5, v4, vcc
	v_xor_b32_e32 v5, s24, v7
	v_cndmask_b32_e32 v3, v6, v8, vcc
	v_xor_b32_e32 v4, v4, v5
	v_xor_b32_e32 v3, v3, v5
	v_sub_co_u32_e32 v4, vcc, v4, v5
	v_subb_co_u32_e32 v5, vcc, v3, v5, vcc
.LBB92_5:                               ;   in Loop: Header=BB92_3 Depth=1
	s_andn2_saveexec_b64 s[0:1], s[26:27]
	s_cbranch_execz .LBB92_7
; %bb.6:                                ;   in Loop: Header=BB92_3 Depth=1
	v_cvt_f32_u32_e32 v3, s33
	s_sub_i32 s16, 0, s33
	v_rcp_iflag_f32_e32 v3, v3
	v_mul_f32_e32 v3, 0x4f7ffffe, v3
	v_cvt_u32_f32_e32 v3, v3
	v_mul_lo_u32 v4, s16, v3
	v_mul_hi_u32 v4, v3, v4
	v_add_u32_e32 v3, v3, v4
	v_mul_hi_u32 v3, v0, v3
	v_mul_lo_u32 v4, v3, s33
	v_add_u32_e32 v5, 1, v3
	v_sub_u32_e32 v4, v0, v4
	v_subrev_u32_e32 v6, s33, v4
	v_cmp_le_u32_e32 vcc, s33, v4
	v_cndmask_b32_e32 v4, v4, v6, vcc
	v_cndmask_b32_e32 v3, v3, v5, vcc
	v_add_u32_e32 v5, 1, v3
	v_cmp_le_u32_e32 vcc, s33, v4
	v_cndmask_b32_e32 v4, v3, v5, vcc
	v_mov_b32_e32 v5, v2
.LBB92_7:                               ;   in Loop: Header=BB92_3 Depth=1
	s_or_b64 exec, exec, s[0:1]
	v_or_b32_e32 v3, s46, v5
	v_cmp_ne_u64_e32 vcc, 0, v[2:3]
                                        ; implicit-def: $vgpr6_vgpr7
	s_and_saveexec_b64 s[0:1], vcc
	s_xor_b64 s[26:27], exec, s[0:1]
	s_cbranch_execz .LBB92_9
; %bb.8:                                ;   in Loop: Header=BB92_3 Depth=1
	s_ashr_i32 s28, s46, 31
	s_add_u32 s0, s45, s28
	s_mov_b32 s29, s28
	s_addc_u32 s1, s46, s28
	s_xor_b64 s[30:31], s[0:1], s[28:29]
	v_cvt_f32_u32_e32 v3, s30
	v_cvt_f32_u32_e32 v6, s31
	s_sub_u32 s16, 0, s30
	s_subb_u32 s25, 0, s31
	v_mac_f32_e32 v3, 0x4f800000, v6
	v_rcp_f32_e32 v3, v3
	v_mul_f32_e32 v3, 0x5f7ffffc, v3
	v_mul_f32_e32 v6, 0x2f800000, v3
	v_trunc_f32_e32 v6, v6
	v_mac_f32_e32 v3, 0xcf800000, v6
	v_cvt_u32_f32_e32 v6, v6
	v_cvt_u32_f32_e32 v3, v3
	v_readfirstlane_b32 s29, v6
	v_readfirstlane_b32 s0, v3
	s_mul_i32 s1, s16, s29
	s_mul_hi_u32 s35, s16, s0
	s_mul_i32 s34, s25, s0
	s_add_i32 s1, s35, s1
	s_add_i32 s1, s1, s34
	s_mul_i32 s36, s16, s0
	s_mul_i32 s35, s0, s1
	s_mul_hi_u32 s37, s0, s36
	s_mul_hi_u32 s34, s0, s1
	s_add_u32 s35, s37, s35
	s_addc_u32 s34, 0, s34
	s_mul_hi_u32 s38, s29, s36
	s_mul_i32 s36, s29, s36
	s_add_u32 s35, s35, s36
	s_mul_hi_u32 s37, s29, s1
	s_addc_u32 s34, s34, s38
	s_addc_u32 s35, s37, 0
	s_mul_i32 s1, s29, s1
	s_add_u32 s1, s34, s1
	s_addc_u32 s34, 0, s35
	s_add_u32 s35, s0, s1
	s_cselect_b64 s[0:1], -1, 0
	s_cmp_lg_u64 s[0:1], 0
	s_addc_u32 s29, s29, s34
	s_mul_i32 s0, s16, s29
	s_mul_hi_u32 s1, s16, s35
	s_add_i32 s0, s1, s0
	s_mul_i32 s25, s25, s35
	s_add_i32 s0, s0, s25
	s_mul_i32 s16, s16, s35
	s_mul_hi_u32 s25, s29, s16
	s_mul_i32 s34, s29, s16
	s_mul_i32 s37, s35, s0
	s_mul_hi_u32 s16, s35, s16
	s_mul_hi_u32 s36, s35, s0
	s_add_u32 s16, s16, s37
	s_addc_u32 s36, 0, s36
	s_add_u32 s16, s16, s34
	s_mul_hi_u32 s1, s29, s0
	s_addc_u32 s16, s36, s25
	s_addc_u32 s1, s1, 0
	s_mul_i32 s0, s29, s0
	s_add_u32 s0, s16, s0
	s_addc_u32 s16, 0, s1
	s_add_u32 s25, s35, s0
	s_cselect_b64 s[0:1], -1, 0
	v_ashrrev_i32_e32 v3, 31, v5
	s_cmp_lg_u64 s[0:1], 0
	v_add_co_u32_e32 v6, vcc, v4, v3
	s_addc_u32 s16, s29, s16
	v_xor_b32_e32 v9, v6, v3
	v_addc_co_u32_e32 v7, vcc, v5, v3, vcc
	v_mad_u64_u32 v[5:6], s[0:1], v9, s16, 0
	v_mul_hi_u32 v8, v9, s25
	v_xor_b32_e32 v10, v7, v3
	v_xor_b32_e32 v3, s28, v3
	v_add_co_u32_e32 v11, vcc, v8, v5
	v_addc_co_u32_e32 v12, vcc, 0, v6, vcc
	v_mad_u64_u32 v[5:6], s[0:1], v10, s25, 0
	v_mad_u64_u32 v[7:8], s[0:1], v10, s16, 0
	v_add_co_u32_e32 v5, vcc, v11, v5
	v_addc_co_u32_e32 v5, vcc, v12, v6, vcc
	v_addc_co_u32_e32 v6, vcc, 0, v8, vcc
	v_add_co_u32_e32 v7, vcc, v5, v7
	v_addc_co_u32_e32 v8, vcc, 0, v6, vcc
	v_mul_lo_u32 v11, s31, v7
	v_mul_lo_u32 v12, s30, v8
	v_mad_u64_u32 v[5:6], s[0:1], s30, v7, 0
	v_add3_u32 v6, v6, v12, v11
	v_sub_u32_e32 v11, v10, v6
	v_mov_b32_e32 v12, s31
	v_sub_co_u32_e32 v5, vcc, v9, v5
	v_subb_co_u32_e64 v9, s[0:1], v11, v12, vcc
	v_subrev_co_u32_e64 v11, s[0:1], s30, v5
	v_subbrev_co_u32_e64 v9, s[0:1], 0, v9, s[0:1]
	v_cmp_le_u32_e64 s[0:1], s31, v9
	v_cndmask_b32_e64 v12, 0, -1, s[0:1]
	v_cmp_le_u32_e64 s[0:1], s30, v11
	v_cndmask_b32_e64 v11, 0, -1, s[0:1]
	v_cmp_eq_u32_e64 s[0:1], s31, v9
	v_cndmask_b32_e64 v9, v12, v11, s[0:1]
	v_add_co_u32_e64 v11, s[0:1], 2, v7
	v_subb_co_u32_e32 v6, vcc, v10, v6, vcc
	v_addc_co_u32_e64 v12, s[0:1], 0, v8, s[0:1]
	v_cmp_le_u32_e32 vcc, s31, v6
	v_add_co_u32_e64 v13, s[0:1], 1, v7
	v_cndmask_b32_e64 v10, 0, -1, vcc
	v_cmp_le_u32_e32 vcc, s30, v5
	v_addc_co_u32_e64 v14, s[0:1], 0, v8, s[0:1]
	v_cndmask_b32_e64 v5, 0, -1, vcc
	v_cmp_eq_u32_e32 vcc, s31, v6
	v_cmp_ne_u32_e64 s[0:1], 0, v9
	v_cndmask_b32_e32 v5, v10, v5, vcc
	v_cmp_ne_u32_e32 vcc, 0, v5
	v_cndmask_b32_e64 v6, v13, v11, s[0:1]
	v_cndmask_b32_e64 v9, v14, v12, s[0:1]
	v_cndmask_b32_e32 v6, v7, v6, vcc
	v_cndmask_b32_e32 v5, v8, v9, vcc
	v_xor_b32_e32 v6, v6, v3
	v_xor_b32_e32 v5, v5, v3
	v_sub_co_u32_e32 v6, vcc, v6, v3
	v_subb_co_u32_e32 v7, vcc, v5, v3, vcc
.LBB92_9:                               ;   in Loop: Header=BB92_3 Depth=1
	s_andn2_saveexec_b64 s[0:1], s[26:27]
	s_cbranch_execz .LBB92_11
; %bb.10:                               ;   in Loop: Header=BB92_3 Depth=1
	v_cvt_f32_u32_e32 v3, s45
	s_sub_i32 s16, 0, s45
	v_rcp_iflag_f32_e32 v3, v3
	v_mul_f32_e32 v3, 0x4f7ffffe, v3
	v_cvt_u32_f32_e32 v3, v3
	v_mul_lo_u32 v5, s16, v3
	v_mul_hi_u32 v5, v3, v5
	v_add_u32_e32 v3, v3, v5
	v_mul_hi_u32 v3, v4, v3
	v_mul_lo_u32 v5, v3, s45
	v_add_u32_e32 v6, 1, v3
	v_sub_u32_e32 v5, v4, v5
	v_subrev_u32_e32 v7, s45, v5
	v_cmp_le_u32_e32 vcc, s45, v5
	v_cndmask_b32_e32 v5, v5, v7, vcc
	v_cndmask_b32_e32 v3, v3, v6, vcc
	v_add_u32_e32 v6, 1, v3
	v_cmp_le_u32_e32 vcc, s45, v5
	v_cndmask_b32_e32 v6, v3, v6, vcc
	v_mov_b32_e32 v7, v2
.LBB92_11:                              ;   in Loop: Header=BB92_3 Depth=1
	s_or_b64 exec, exec, s[0:1]
	v_mad_u64_u32 v[8:9], s[0:1], v4, s33, 0
	v_mad_u64_u32 v[9:10], s[0:1], v6, s45, 0
	v_sub_co_u32_e32 v25, vcc, v0, v8
	v_sub_co_u32_e32 v24, vcc, v4, v9
	v_sub_u32_e32 v3, v25, v24
	v_ashrrev_i32_e32 v4, 31, v3
	v_cmp_gt_i64_e32 vcc, s[8:9], v[3:4]
	s_and_saveexec_b64 s[26:27], vcc
	s_cbranch_execz .LBB92_2
; %bb.12:                               ;   in Loop: Header=BB92_3 Depth=1
	s_load_dwordx2 s[28:29], s[14:15], 0x64
	s_andn2_b64 vcc, exec, s[6:7]
	s_waitcnt lgkmcnt(0)
	v_mul_lo_u32 v3, s29, v25
	v_mad_u64_u32 v[4:5], s[0:1], s28, v24, v[3:4]
	s_cbranch_vccnz .LBB92_57
; %bb.13:                               ;   in Loop: Header=BB92_3 Depth=1
	s_andn2_b64 vcc, exec, s[18:19]
	s_mov_b32 s25, s49
	s_mov_b32 s16, s47
	;; [unrolled: 1-line block ×3, first 2 shown]
	s_cbranch_vccnz .LBB92_21
.LBB92_14:                              ;   Parent Loop BB92_3 Depth=1
                                        ; =>  This Inner Loop Header: Depth=2
	s_lshl_b64 s[30:31], s[16:17], 2
	s_add_u32 s0, s42, s30
	s_addc_u32 s1, s43, s31
	s_load_dword s28, s[0:1], 0x8
                                        ; implicit-def: $vgpr8_vgpr9
	s_waitcnt lgkmcnt(0)
	s_ashr_i32 s0, s28, 31
	v_or_b32_e32 v3, s0, v7
	v_cmp_ne_u64_e32 vcc, 0, v[2:3]
	s_and_saveexec_b64 s[34:35], vcc
	s_xor_b64 s[34:35], exec, s[34:35]
	s_cbranch_execz .LBB92_16
; %bb.15:                               ;   in Loop: Header=BB92_14 Depth=2
	s_ashr_i32 s36, s0, 31
	s_add_u32 s38, s28, s36
	s_mov_b32 s37, s36
	s_addc_u32 s39, s0, s36
	s_xor_b64 s[38:39], s[38:39], s[36:37]
	v_cvt_f32_u32_e32 v3, s38
	v_cvt_f32_u32_e32 v5, s39
	s_sub_u32 s37, 0, s38
	s_subb_u32 s40, 0, s39
	v_mac_f32_e32 v3, 0x4f800000, v5
	v_rcp_f32_e32 v3, v3
	v_mul_f32_e32 v3, 0x5f7ffffc, v3
	v_mul_f32_e32 v5, 0x2f800000, v3
	v_trunc_f32_e32 v5, v5
	v_mac_f32_e32 v3, 0xcf800000, v5
	v_cvt_u32_f32_e32 v5, v5
	v_cvt_u32_f32_e32 v3, v3
	v_readfirstlane_b32 s41, v5
	v_readfirstlane_b32 s0, v3
	s_mul_i32 s1, s37, s41
	s_mul_hi_u32 s51, s37, s0
	s_mul_i32 s50, s40, s0
	s_add_i32 s1, s51, s1
	s_add_i32 s1, s1, s50
	s_mul_i32 s52, s37, s0
	s_mul_i32 s51, s0, s1
	s_mul_hi_u32 s53, s0, s52
	s_mul_hi_u32 s50, s0, s1
	s_add_u32 s51, s53, s51
	s_addc_u32 s50, 0, s50
	s_mul_hi_u32 s54, s41, s52
	s_mul_i32 s52, s41, s52
	s_add_u32 s51, s51, s52
	s_mul_hi_u32 s53, s41, s1
	s_addc_u32 s50, s50, s54
	s_addc_u32 s51, s53, 0
	s_mul_i32 s1, s41, s1
	s_add_u32 s1, s50, s1
	s_addc_u32 s50, 0, s51
	s_add_u32 s51, s0, s1
	s_cselect_b64 s[0:1], -1, 0
	s_cmp_lg_u64 s[0:1], 0
	s_addc_u32 s41, s41, s50
	s_mul_i32 s0, s37, s41
	s_mul_hi_u32 s1, s37, s51
	s_add_i32 s0, s1, s0
	s_mul_i32 s40, s40, s51
	s_add_i32 s0, s0, s40
	s_mul_i32 s37, s37, s51
	s_mul_hi_u32 s40, s41, s37
	s_mul_i32 s50, s41, s37
	s_mul_i32 s53, s51, s0
	s_mul_hi_u32 s37, s51, s37
	s_mul_hi_u32 s52, s51, s0
	s_add_u32 s37, s37, s53
	s_addc_u32 s52, 0, s52
	s_add_u32 s37, s37, s50
	s_mul_hi_u32 s1, s41, s0
	s_addc_u32 s37, s52, s40
	s_addc_u32 s1, s1, 0
	s_mul_i32 s0, s41, s0
	s_add_u32 s0, s37, s0
	s_addc_u32 s37, 0, s1
	s_add_u32 s40, s51, s0
	s_cselect_b64 s[0:1], -1, 0
	v_ashrrev_i32_e32 v3, 31, v7
	s_cmp_lg_u64 s[0:1], 0
	v_add_co_u32_e32 v5, vcc, v6, v3
	s_addc_u32 s37, s41, s37
	v_xor_b32_e32 v5, v5, v3
	v_addc_co_u32_e32 v9, vcc, v7, v3, vcc
	v_mad_u64_u32 v[7:8], s[0:1], v5, s37, 0
	v_mul_hi_u32 v10, v5, s40
	v_xor_b32_e32 v11, v9, v3
	v_xor_b32_e32 v3, s36, v3
	v_add_co_u32_e32 v12, vcc, v10, v7
	v_addc_co_u32_e32 v13, vcc, 0, v8, vcc
	v_mad_u64_u32 v[7:8], s[0:1], v11, s40, 0
	v_mad_u64_u32 v[9:10], s[0:1], v11, s37, 0
	v_add_co_u32_e32 v7, vcc, v12, v7
	v_addc_co_u32_e32 v7, vcc, v13, v8, vcc
	v_addc_co_u32_e32 v8, vcc, 0, v10, vcc
	v_add_co_u32_e32 v9, vcc, v7, v9
	v_addc_co_u32_e32 v10, vcc, 0, v8, vcc
	v_mul_lo_u32 v12, s39, v9
	v_mul_lo_u32 v13, s38, v10
	v_mad_u64_u32 v[7:8], s[0:1], s38, v9, 0
	v_add3_u32 v8, v8, v13, v12
	v_sub_u32_e32 v12, v11, v8
	v_mov_b32_e32 v13, s39
	v_sub_co_u32_e32 v5, vcc, v5, v7
	v_subb_co_u32_e64 v7, s[0:1], v12, v13, vcc
	v_subrev_co_u32_e64 v12, s[0:1], s38, v5
	v_subbrev_co_u32_e64 v7, s[0:1], 0, v7, s[0:1]
	v_cmp_le_u32_e64 s[0:1], s39, v7
	v_cndmask_b32_e64 v13, 0, -1, s[0:1]
	v_cmp_le_u32_e64 s[0:1], s38, v12
	v_cndmask_b32_e64 v12, 0, -1, s[0:1]
	v_cmp_eq_u32_e64 s[0:1], s39, v7
	v_cndmask_b32_e64 v7, v13, v12, s[0:1]
	v_add_co_u32_e64 v12, s[0:1], 2, v9
	v_subb_co_u32_e32 v8, vcc, v11, v8, vcc
	v_addc_co_u32_e64 v13, s[0:1], 0, v10, s[0:1]
	v_cmp_le_u32_e32 vcc, s39, v8
	v_add_co_u32_e64 v14, s[0:1], 1, v9
	v_cndmask_b32_e64 v11, 0, -1, vcc
	v_cmp_le_u32_e32 vcc, s38, v5
	v_addc_co_u32_e64 v15, s[0:1], 0, v10, s[0:1]
	v_cndmask_b32_e64 v5, 0, -1, vcc
	v_cmp_eq_u32_e32 vcc, s39, v8
	v_cmp_ne_u32_e64 s[0:1], 0, v7
	v_cndmask_b32_e32 v5, v11, v5, vcc
	v_cndmask_b32_e64 v7, v15, v13, s[0:1]
	v_cmp_ne_u32_e32 vcc, 0, v5
	v_cndmask_b32_e32 v5, v10, v7, vcc
	v_cndmask_b32_e64 v7, v14, v12, s[0:1]
	v_cndmask_b32_e32 v7, v9, v7, vcc
	v_xor_b32_e32 v7, v7, v3
	v_xor_b32_e32 v5, v5, v3
	v_sub_co_u32_e32 v8, vcc, v7, v3
	v_subb_co_u32_e32 v9, vcc, v5, v3, vcc
.LBB92_16:                              ;   in Loop: Header=BB92_14 Depth=2
	s_andn2_saveexec_b64 s[0:1], s[34:35]
	s_cbranch_execz .LBB92_18
; %bb.17:                               ;   in Loop: Header=BB92_14 Depth=2
	v_cvt_f32_u32_e32 v3, s28
	s_sub_i32 s34, 0, s28
	v_mov_b32_e32 v9, v2
	v_rcp_iflag_f32_e32 v3, v3
	v_mul_f32_e32 v3, 0x4f7ffffe, v3
	v_cvt_u32_f32_e32 v3, v3
	v_mul_lo_u32 v5, s34, v3
	v_mul_hi_u32 v5, v3, v5
	v_add_u32_e32 v3, v3, v5
	v_mul_hi_u32 v3, v6, v3
	v_mul_lo_u32 v5, v3, s28
	v_add_u32_e32 v7, 1, v3
	v_sub_u32_e32 v5, v6, v5
	v_subrev_u32_e32 v8, s28, v5
	v_cmp_le_u32_e32 vcc, s28, v5
	v_cndmask_b32_e32 v5, v5, v8, vcc
	v_cndmask_b32_e32 v3, v3, v7, vcc
	v_add_u32_e32 v7, 1, v3
	v_cmp_le_u32_e32 vcc, s28, v5
	v_cndmask_b32_e32 v8, v3, v7, vcc
.LBB92_18:                              ;   in Loop: Header=BB92_14 Depth=2
	s_or_b64 exec, exec, s[0:1]
	s_add_u32 s0, s4, s30
	s_addc_u32 s1, s5, s31
	v_mul_lo_u32 v3, v8, s28
	s_load_dword s0, s[0:1], 0x6c
	s_add_i32 s16, s16, -1
	s_add_i32 s25, s25, -1
	v_sub_u32_e32 v3, v6, v3
	s_cmp_lg_u32 s25, 0
	s_waitcnt lgkmcnt(0)
	v_mad_u64_u32 v[4:5], s[0:1], s0, v3, v[4:5]
	s_cbranch_scc0 .LBB92_20
; %bb.19:                               ;   in Loop: Header=BB92_14 Depth=2
	v_mov_b32_e32 v6, v8
	v_mov_b32_e32 v7, v9
	s_branch .LBB92_14
.LBB92_20:                              ;   in Loop: Header=BB92_3 Depth=1
	v_mov_b32_e32 v6, v8
	s_mov_b32 s0, s16
	v_mov_b32_e32 v7, v9
.LBB92_21:                              ;   in Loop: Header=BB92_3 Depth=1
	s_andn2_b64 vcc, exec, s[20:21]
	s_cbranch_vccnz .LBB92_57
; %bb.22:                               ;   in Loop: Header=BB92_3 Depth=1
	s_add_i32 s30, s0, -7
.LBB92_23:                              ;   Parent Loop BB92_3 Depth=1
                                        ; =>  This Inner Loop Header: Depth=2
	s_add_i32 s16, s30, 7
	s_lshl_b64 s[34:35], s[16:17], 2
	s_add_u32 s0, s42, s34
	s_addc_u32 s1, s43, s35
	s_load_dword s25, s[0:1], 0x8
                                        ; implicit-def: $vgpr8_vgpr9
	s_waitcnt lgkmcnt(0)
	s_ashr_i32 s0, s25, 31
	v_or_b32_e32 v3, s0, v7
	v_cmp_ne_u64_e32 vcc, 0, v[2:3]
	s_and_saveexec_b64 s[36:37], vcc
	s_xor_b64 s[36:37], exec, s[36:37]
	s_cbranch_execz .LBB92_25
; %bb.24:                               ;   in Loop: Header=BB92_23 Depth=2
	s_ashr_i32 s38, s0, 31
	s_add_u32 s40, s25, s38
	s_mov_b32 s39, s38
	s_addc_u32 s41, s0, s38
	s_xor_b64 s[40:41], s[40:41], s[38:39]
	v_cvt_f32_u32_e32 v3, s40
	v_cvt_f32_u32_e32 v5, s41
	s_sub_u32 s16, 0, s40
	s_subb_u32 s28, 0, s41
	v_mac_f32_e32 v3, 0x4f800000, v5
	v_rcp_f32_e32 v3, v3
	v_mul_f32_e32 v3, 0x5f7ffffc, v3
	v_mul_f32_e32 v5, 0x2f800000, v3
	v_trunc_f32_e32 v5, v5
	v_mac_f32_e32 v3, 0xcf800000, v5
	v_cvt_u32_f32_e32 v5, v5
	v_cvt_u32_f32_e32 v3, v3
	v_readfirstlane_b32 s31, v5
	v_readfirstlane_b32 s0, v3
	s_mul_i32 s1, s16, s31
	s_mul_hi_u32 s50, s16, s0
	s_mul_i32 s39, s28, s0
	s_add_i32 s1, s50, s1
	s_add_i32 s1, s1, s39
	s_mul_i32 s51, s16, s0
	s_mul_i32 s50, s0, s1
	s_mul_hi_u32 s52, s0, s51
	s_mul_hi_u32 s39, s0, s1
	s_add_u32 s50, s52, s50
	s_addc_u32 s39, 0, s39
	s_mul_hi_u32 s53, s31, s51
	s_mul_i32 s51, s31, s51
	s_add_u32 s50, s50, s51
	s_mul_hi_u32 s52, s31, s1
	s_addc_u32 s39, s39, s53
	s_addc_u32 s50, s52, 0
	s_mul_i32 s1, s31, s1
	s_add_u32 s1, s39, s1
	s_addc_u32 s39, 0, s50
	s_add_u32 s50, s0, s1
	s_cselect_b64 s[0:1], -1, 0
	s_cmp_lg_u64 s[0:1], 0
	s_addc_u32 s31, s31, s39
	s_mul_i32 s0, s16, s31
	s_mul_hi_u32 s1, s16, s50
	s_add_i32 s0, s1, s0
	s_mul_i32 s28, s28, s50
	s_add_i32 s0, s0, s28
	s_mul_i32 s16, s16, s50
	s_mul_hi_u32 s28, s31, s16
	s_mul_i32 s39, s31, s16
	s_mul_i32 s52, s50, s0
	s_mul_hi_u32 s16, s50, s16
	s_mul_hi_u32 s51, s50, s0
	s_add_u32 s16, s16, s52
	s_addc_u32 s51, 0, s51
	s_add_u32 s16, s16, s39
	s_mul_hi_u32 s1, s31, s0
	s_addc_u32 s16, s51, s28
	s_addc_u32 s1, s1, 0
	s_mul_i32 s0, s31, s0
	s_add_u32 s0, s16, s0
	s_addc_u32 s16, 0, s1
	s_add_u32 s28, s50, s0
	s_cselect_b64 s[0:1], -1, 0
	v_ashrrev_i32_e32 v3, 31, v7
	s_cmp_lg_u64 s[0:1], 0
	v_add_co_u32_e32 v5, vcc, v6, v3
	s_addc_u32 s16, s31, s16
	v_xor_b32_e32 v5, v5, v3
	v_addc_co_u32_e32 v9, vcc, v7, v3, vcc
	v_mad_u64_u32 v[7:8], s[0:1], v5, s16, 0
	v_mul_hi_u32 v10, v5, s28
	v_xor_b32_e32 v11, v9, v3
	v_xor_b32_e32 v3, s38, v3
	v_add_co_u32_e32 v12, vcc, v10, v7
	v_addc_co_u32_e32 v13, vcc, 0, v8, vcc
	v_mad_u64_u32 v[7:8], s[0:1], v11, s28, 0
	v_mad_u64_u32 v[9:10], s[0:1], v11, s16, 0
	v_add_co_u32_e32 v7, vcc, v12, v7
	v_addc_co_u32_e32 v7, vcc, v13, v8, vcc
	v_addc_co_u32_e32 v8, vcc, 0, v10, vcc
	v_add_co_u32_e32 v9, vcc, v7, v9
	v_addc_co_u32_e32 v10, vcc, 0, v8, vcc
	v_mul_lo_u32 v12, s41, v9
	v_mul_lo_u32 v13, s40, v10
	v_mad_u64_u32 v[7:8], s[0:1], s40, v9, 0
	v_add3_u32 v8, v8, v13, v12
	v_sub_u32_e32 v12, v11, v8
	v_mov_b32_e32 v13, s41
	v_sub_co_u32_e32 v5, vcc, v5, v7
	v_subb_co_u32_e64 v7, s[0:1], v12, v13, vcc
	v_subrev_co_u32_e64 v12, s[0:1], s40, v5
	v_subbrev_co_u32_e64 v7, s[0:1], 0, v7, s[0:1]
	v_cmp_le_u32_e64 s[0:1], s41, v7
	v_cndmask_b32_e64 v13, 0, -1, s[0:1]
	v_cmp_le_u32_e64 s[0:1], s40, v12
	v_cndmask_b32_e64 v12, 0, -1, s[0:1]
	v_cmp_eq_u32_e64 s[0:1], s41, v7
	v_cndmask_b32_e64 v7, v13, v12, s[0:1]
	v_add_co_u32_e64 v12, s[0:1], 2, v9
	v_subb_co_u32_e32 v8, vcc, v11, v8, vcc
	v_addc_co_u32_e64 v13, s[0:1], 0, v10, s[0:1]
	v_cmp_le_u32_e32 vcc, s41, v8
	v_add_co_u32_e64 v14, s[0:1], 1, v9
	v_cndmask_b32_e64 v11, 0, -1, vcc
	v_cmp_le_u32_e32 vcc, s40, v5
	v_addc_co_u32_e64 v15, s[0:1], 0, v10, s[0:1]
	v_cndmask_b32_e64 v5, 0, -1, vcc
	v_cmp_eq_u32_e32 vcc, s41, v8
	v_cmp_ne_u32_e64 s[0:1], 0, v7
	v_cndmask_b32_e32 v5, v11, v5, vcc
	v_cndmask_b32_e64 v7, v15, v13, s[0:1]
	v_cmp_ne_u32_e32 vcc, 0, v5
	v_cndmask_b32_e32 v5, v10, v7, vcc
	v_cndmask_b32_e64 v7, v14, v12, s[0:1]
	v_cndmask_b32_e32 v7, v9, v7, vcc
	v_xor_b32_e32 v7, v7, v3
	v_xor_b32_e32 v5, v5, v3
	v_sub_co_u32_e32 v8, vcc, v7, v3
	v_subb_co_u32_e32 v9, vcc, v5, v3, vcc
.LBB92_25:                              ;   in Loop: Header=BB92_23 Depth=2
	s_andn2_saveexec_b64 s[0:1], s[36:37]
	s_cbranch_execz .LBB92_27
; %bb.26:                               ;   in Loop: Header=BB92_23 Depth=2
	v_cvt_f32_u32_e32 v3, s25
	s_sub_i32 s16, 0, s25
	v_mov_b32_e32 v9, v2
	v_rcp_iflag_f32_e32 v3, v3
	v_mul_f32_e32 v3, 0x4f7ffffe, v3
	v_cvt_u32_f32_e32 v3, v3
	v_mul_lo_u32 v5, s16, v3
	v_mul_hi_u32 v5, v3, v5
	v_add_u32_e32 v3, v3, v5
	v_mul_hi_u32 v3, v6, v3
	v_mul_lo_u32 v5, v3, s25
	v_add_u32_e32 v7, 1, v3
	v_sub_u32_e32 v5, v6, v5
	v_subrev_u32_e32 v8, s25, v5
	v_cmp_le_u32_e32 vcc, s25, v5
	v_cndmask_b32_e32 v5, v5, v8, vcc
	v_cndmask_b32_e32 v3, v3, v7, vcc
	v_add_u32_e32 v7, 1, v3
	v_cmp_le_u32_e32 vcc, s25, v5
	v_cndmask_b32_e32 v8, v3, v7, vcc
.LBB92_27:                              ;   in Loop: Header=BB92_23 Depth=2
	s_or_b64 exec, exec, s[0:1]
	s_add_u32 s0, s4, s34
	s_addc_u32 s1, s5, s35
	s_add_i32 s16, s30, 6
	s_lshl_b64 s[34:35], s[16:17], 2
	s_add_u32 s36, s42, s34
	s_addc_u32 s37, s43, s35
	s_load_dword s50, s[36:37], 0x8
	s_load_dword s28, s[0:1], 0x6c
                                        ; implicit-def: $vgpr10_vgpr11
	s_waitcnt lgkmcnt(0)
	s_ashr_i32 s0, s50, 31
	v_or_b32_e32 v3, s0, v9
	v_cmp_ne_u64_e32 vcc, 0, v[2:3]
	s_and_saveexec_b64 s[36:37], vcc
	s_xor_b64 s[36:37], exec, s[36:37]
	s_cbranch_execz .LBB92_29
; %bb.28:                               ;   in Loop: Header=BB92_23 Depth=2
	s_ashr_i32 s38, s0, 31
	s_add_u32 s40, s50, s38
	s_mov_b32 s39, s38
	s_addc_u32 s41, s0, s38
	s_xor_b64 s[40:41], s[40:41], s[38:39]
	v_cvt_f32_u32_e32 v3, s40
	v_cvt_f32_u32_e32 v5, s41
	s_sub_u32 s16, 0, s40
	s_subb_u32 s31, 0, s41
	v_mac_f32_e32 v3, 0x4f800000, v5
	v_rcp_f32_e32 v3, v3
	v_mul_f32_e32 v3, 0x5f7ffffc, v3
	v_mul_f32_e32 v5, 0x2f800000, v3
	v_trunc_f32_e32 v5, v5
	v_mac_f32_e32 v3, 0xcf800000, v5
	v_cvt_u32_f32_e32 v5, v5
	v_cvt_u32_f32_e32 v3, v3
	v_readfirstlane_b32 s39, v5
	v_readfirstlane_b32 s0, v3
	s_mul_i32 s1, s16, s39
	s_mul_hi_u32 s52, s16, s0
	s_mul_i32 s51, s31, s0
	s_add_i32 s1, s52, s1
	s_add_i32 s1, s1, s51
	s_mul_i32 s53, s16, s0
	s_mul_i32 s52, s0, s1
	s_mul_hi_u32 s54, s0, s53
	s_mul_hi_u32 s51, s0, s1
	s_add_u32 s52, s54, s52
	s_addc_u32 s51, 0, s51
	s_mul_hi_u32 s55, s39, s53
	s_mul_i32 s53, s39, s53
	s_add_u32 s52, s52, s53
	s_mul_hi_u32 s54, s39, s1
	s_addc_u32 s51, s51, s55
	s_addc_u32 s52, s54, 0
	s_mul_i32 s1, s39, s1
	s_add_u32 s1, s51, s1
	s_addc_u32 s51, 0, s52
	s_add_u32 s52, s0, s1
	s_cselect_b64 s[0:1], -1, 0
	s_cmp_lg_u64 s[0:1], 0
	s_addc_u32 s39, s39, s51
	s_mul_i32 s0, s16, s39
	s_mul_hi_u32 s1, s16, s52
	s_add_i32 s0, s1, s0
	s_mul_i32 s31, s31, s52
	s_add_i32 s0, s0, s31
	s_mul_i32 s16, s16, s52
	s_mul_hi_u32 s31, s39, s16
	s_mul_i32 s51, s39, s16
	s_mul_i32 s54, s52, s0
	s_mul_hi_u32 s16, s52, s16
	s_mul_hi_u32 s53, s52, s0
	s_add_u32 s16, s16, s54
	s_addc_u32 s53, 0, s53
	s_add_u32 s16, s16, s51
	s_mul_hi_u32 s1, s39, s0
	s_addc_u32 s16, s53, s31
	s_addc_u32 s1, s1, 0
	s_mul_i32 s0, s39, s0
	s_add_u32 s0, s16, s0
	s_addc_u32 s16, 0, s1
	s_add_u32 s31, s52, s0
	s_cselect_b64 s[0:1], -1, 0
	v_ashrrev_i32_e32 v3, 31, v9
	s_cmp_lg_u64 s[0:1], 0
	v_add_co_u32_e32 v5, vcc, v8, v3
	s_addc_u32 s16, s39, s16
	v_xor_b32_e32 v5, v5, v3
	v_addc_co_u32_e32 v7, vcc, v9, v3, vcc
	v_mad_u64_u32 v[9:10], s[0:1], v5, s16, 0
	v_mul_hi_u32 v11, v5, s31
	v_xor_b32_e32 v7, v7, v3
	v_xor_b32_e32 v3, s38, v3
	v_add_co_u32_e32 v13, vcc, v11, v9
	v_addc_co_u32_e32 v14, vcc, 0, v10, vcc
	v_mad_u64_u32 v[9:10], s[0:1], v7, s31, 0
	v_mad_u64_u32 v[11:12], s[0:1], v7, s16, 0
	v_add_co_u32_e32 v9, vcc, v13, v9
	v_addc_co_u32_e32 v9, vcc, v14, v10, vcc
	v_addc_co_u32_e32 v10, vcc, 0, v12, vcc
	v_add_co_u32_e32 v11, vcc, v9, v11
	v_addc_co_u32_e32 v12, vcc, 0, v10, vcc
	v_mul_lo_u32 v13, s41, v11
	v_mul_lo_u32 v14, s40, v12
	v_mad_u64_u32 v[9:10], s[0:1], s40, v11, 0
	v_add3_u32 v10, v10, v14, v13
	v_sub_u32_e32 v13, v7, v10
	v_mov_b32_e32 v14, s41
	v_sub_co_u32_e32 v5, vcc, v5, v9
	v_subb_co_u32_e64 v9, s[0:1], v13, v14, vcc
	v_subrev_co_u32_e64 v13, s[0:1], s40, v5
	v_subbrev_co_u32_e64 v9, s[0:1], 0, v9, s[0:1]
	v_cmp_le_u32_e64 s[0:1], s41, v9
	v_cndmask_b32_e64 v14, 0, -1, s[0:1]
	v_cmp_le_u32_e64 s[0:1], s40, v13
	v_cndmask_b32_e64 v13, 0, -1, s[0:1]
	v_cmp_eq_u32_e64 s[0:1], s41, v9
	v_cndmask_b32_e64 v9, v14, v13, s[0:1]
	v_add_co_u32_e64 v13, s[0:1], 2, v11
	v_subb_co_u32_e32 v7, vcc, v7, v10, vcc
	v_addc_co_u32_e64 v14, s[0:1], 0, v12, s[0:1]
	v_cmp_le_u32_e32 vcc, s41, v7
	v_add_co_u32_e64 v15, s[0:1], 1, v11
	v_cndmask_b32_e64 v10, 0, -1, vcc
	v_cmp_le_u32_e32 vcc, s40, v5
	v_addc_co_u32_e64 v16, s[0:1], 0, v12, s[0:1]
	v_cndmask_b32_e64 v5, 0, -1, vcc
	v_cmp_eq_u32_e32 vcc, s41, v7
	v_cmp_ne_u32_e64 s[0:1], 0, v9
	v_cndmask_b32_e32 v5, v10, v5, vcc
	v_cmp_ne_u32_e32 vcc, 0, v5
	v_cndmask_b32_e64 v7, v15, v13, s[0:1]
	v_cndmask_b32_e64 v9, v16, v14, s[0:1]
	v_cndmask_b32_e32 v7, v11, v7, vcc
	v_cndmask_b32_e32 v5, v12, v9, vcc
	v_xor_b32_e32 v7, v7, v3
	v_xor_b32_e32 v5, v5, v3
	v_sub_co_u32_e32 v10, vcc, v7, v3
	v_subb_co_u32_e32 v11, vcc, v5, v3, vcc
.LBB92_29:                              ;   in Loop: Header=BB92_23 Depth=2
	s_andn2_saveexec_b64 s[0:1], s[36:37]
	s_cbranch_execz .LBB92_31
; %bb.30:                               ;   in Loop: Header=BB92_23 Depth=2
	v_cvt_f32_u32_e32 v3, s50
	s_sub_i32 s16, 0, s50
	v_mov_b32_e32 v11, v2
	v_rcp_iflag_f32_e32 v3, v3
	v_mul_f32_e32 v3, 0x4f7ffffe, v3
	v_cvt_u32_f32_e32 v3, v3
	v_mul_lo_u32 v5, s16, v3
	v_mul_hi_u32 v5, v3, v5
	v_add_u32_e32 v3, v3, v5
	v_mul_hi_u32 v3, v8, v3
	v_mul_lo_u32 v5, v3, s50
	v_add_u32_e32 v7, 1, v3
	v_sub_u32_e32 v5, v8, v5
	v_subrev_u32_e32 v9, s50, v5
	v_cmp_le_u32_e32 vcc, s50, v5
	v_cndmask_b32_e32 v5, v5, v9, vcc
	v_cndmask_b32_e32 v3, v3, v7, vcc
	v_add_u32_e32 v7, 1, v3
	v_cmp_le_u32_e32 vcc, s50, v5
	v_cndmask_b32_e32 v10, v3, v7, vcc
.LBB92_31:                              ;   in Loop: Header=BB92_23 Depth=2
	s_or_b64 exec, exec, s[0:1]
	s_add_u32 s0, s4, s34
	s_addc_u32 s1, s5, s35
	s_add_i32 s16, s30, 5
	s_lshl_b64 s[34:35], s[16:17], 2
	s_add_u32 s36, s42, s34
	s_addc_u32 s37, s43, s35
	s_load_dword s52, s[36:37], 0x8
	s_load_dword s51, s[0:1], 0x6c
                                        ; implicit-def: $vgpr12_vgpr13
	s_waitcnt lgkmcnt(0)
	s_ashr_i32 s0, s52, 31
	v_or_b32_e32 v3, s0, v11
	v_cmp_ne_u64_e32 vcc, 0, v[2:3]
	s_and_saveexec_b64 s[36:37], vcc
	s_xor_b64 s[36:37], exec, s[36:37]
	s_cbranch_execz .LBB92_33
; %bb.32:                               ;   in Loop: Header=BB92_23 Depth=2
	s_ashr_i32 s38, s0, 31
	s_add_u32 s40, s52, s38
	s_mov_b32 s39, s38
	s_addc_u32 s41, s0, s38
	s_xor_b64 s[40:41], s[40:41], s[38:39]
	v_cvt_f32_u32_e32 v3, s40
	v_cvt_f32_u32_e32 v5, s41
	s_sub_u32 s16, 0, s40
	s_subb_u32 s31, 0, s41
	v_mac_f32_e32 v3, 0x4f800000, v5
	v_rcp_f32_e32 v3, v3
	v_mul_f32_e32 v3, 0x5f7ffffc, v3
	v_mul_f32_e32 v5, 0x2f800000, v3
	v_trunc_f32_e32 v5, v5
	v_mac_f32_e32 v3, 0xcf800000, v5
	v_cvt_u32_f32_e32 v5, v5
	v_cvt_u32_f32_e32 v3, v3
	v_readfirstlane_b32 s39, v5
	v_readfirstlane_b32 s0, v3
	s_mul_i32 s1, s16, s39
	s_mul_hi_u32 s54, s16, s0
	s_mul_i32 s53, s31, s0
	s_add_i32 s1, s54, s1
	s_add_i32 s1, s1, s53
	s_mul_i32 s55, s16, s0
	s_mul_i32 s54, s0, s1
	s_mul_hi_u32 s56, s0, s55
	s_mul_hi_u32 s53, s0, s1
	s_add_u32 s54, s56, s54
	s_addc_u32 s53, 0, s53
	s_mul_hi_u32 s57, s39, s55
	s_mul_i32 s55, s39, s55
	s_add_u32 s54, s54, s55
	s_mul_hi_u32 s56, s39, s1
	s_addc_u32 s53, s53, s57
	s_addc_u32 s54, s56, 0
	s_mul_i32 s1, s39, s1
	s_add_u32 s1, s53, s1
	s_addc_u32 s53, 0, s54
	s_add_u32 s54, s0, s1
	s_cselect_b64 s[0:1], -1, 0
	s_cmp_lg_u64 s[0:1], 0
	s_addc_u32 s39, s39, s53
	s_mul_i32 s0, s16, s39
	s_mul_hi_u32 s1, s16, s54
	s_add_i32 s0, s1, s0
	s_mul_i32 s31, s31, s54
	s_add_i32 s0, s0, s31
	s_mul_i32 s16, s16, s54
	s_mul_hi_u32 s31, s39, s16
	s_mul_i32 s53, s39, s16
	s_mul_i32 s56, s54, s0
	s_mul_hi_u32 s16, s54, s16
	s_mul_hi_u32 s55, s54, s0
	s_add_u32 s16, s16, s56
	s_addc_u32 s55, 0, s55
	s_add_u32 s16, s16, s53
	s_mul_hi_u32 s1, s39, s0
	s_addc_u32 s16, s55, s31
	s_addc_u32 s1, s1, 0
	s_mul_i32 s0, s39, s0
	s_add_u32 s0, s16, s0
	s_addc_u32 s16, 0, s1
	s_add_u32 s31, s54, s0
	s_cselect_b64 s[0:1], -1, 0
	v_ashrrev_i32_e32 v3, 31, v11
	s_cmp_lg_u64 s[0:1], 0
	v_add_co_u32_e32 v5, vcc, v10, v3
	s_addc_u32 s16, s39, s16
	v_xor_b32_e32 v5, v5, v3
	v_addc_co_u32_e32 v7, vcc, v11, v3, vcc
	v_mad_u64_u32 v[11:12], s[0:1], v5, s16, 0
	v_mul_hi_u32 v9, v5, s31
	v_xor_b32_e32 v7, v7, v3
	v_mad_u64_u32 v[13:14], s[0:1], v7, s16, 0
	v_add_co_u32_e32 v9, vcc, v9, v11
	v_addc_co_u32_e32 v15, vcc, 0, v12, vcc
	v_mad_u64_u32 v[11:12], s[0:1], v7, s31, 0
	v_xor_b32_e32 v3, s38, v3
	v_add_co_u32_e32 v9, vcc, v9, v11
	v_addc_co_u32_e32 v9, vcc, v15, v12, vcc
	v_addc_co_u32_e32 v11, vcc, 0, v14, vcc
	v_add_co_u32_e32 v9, vcc, v9, v13
	v_addc_co_u32_e32 v13, vcc, 0, v11, vcc
	v_mul_lo_u32 v14, s41, v9
	v_mul_lo_u32 v15, s40, v13
	v_mad_u64_u32 v[11:12], s[0:1], s40, v9, 0
	v_add3_u32 v12, v12, v15, v14
	v_sub_u32_e32 v14, v7, v12
	v_mov_b32_e32 v15, s41
	v_sub_co_u32_e32 v5, vcc, v5, v11
	v_subb_co_u32_e64 v11, s[0:1], v14, v15, vcc
	v_subrev_co_u32_e64 v14, s[0:1], s40, v5
	v_subbrev_co_u32_e64 v11, s[0:1], 0, v11, s[0:1]
	v_cmp_le_u32_e64 s[0:1], s41, v11
	v_cndmask_b32_e64 v15, 0, -1, s[0:1]
	v_cmp_le_u32_e64 s[0:1], s40, v14
	v_cndmask_b32_e64 v14, 0, -1, s[0:1]
	v_cmp_eq_u32_e64 s[0:1], s41, v11
	v_cndmask_b32_e64 v11, v15, v14, s[0:1]
	v_add_co_u32_e64 v14, s[0:1], 2, v9
	v_subb_co_u32_e32 v7, vcc, v7, v12, vcc
	v_addc_co_u32_e64 v15, s[0:1], 0, v13, s[0:1]
	v_cmp_le_u32_e32 vcc, s41, v7
	v_add_co_u32_e64 v16, s[0:1], 1, v9
	v_cndmask_b32_e64 v12, 0, -1, vcc
	v_cmp_le_u32_e32 vcc, s40, v5
	v_addc_co_u32_e64 v17, s[0:1], 0, v13, s[0:1]
	v_cndmask_b32_e64 v5, 0, -1, vcc
	v_cmp_eq_u32_e32 vcc, s41, v7
	v_cmp_ne_u32_e64 s[0:1], 0, v11
	v_cndmask_b32_e32 v5, v12, v5, vcc
	v_cmp_ne_u32_e32 vcc, 0, v5
	v_cndmask_b32_e64 v7, v16, v14, s[0:1]
	v_cndmask_b32_e64 v11, v17, v15, s[0:1]
	v_cndmask_b32_e32 v7, v9, v7, vcc
	v_cndmask_b32_e32 v5, v13, v11, vcc
	v_xor_b32_e32 v7, v7, v3
	v_xor_b32_e32 v5, v5, v3
	v_sub_co_u32_e32 v12, vcc, v7, v3
	v_subb_co_u32_e32 v13, vcc, v5, v3, vcc
.LBB92_33:                              ;   in Loop: Header=BB92_23 Depth=2
	s_andn2_saveexec_b64 s[0:1], s[36:37]
	s_cbranch_execz .LBB92_35
; %bb.34:                               ;   in Loop: Header=BB92_23 Depth=2
	v_cvt_f32_u32_e32 v3, s52
	s_sub_i32 s16, 0, s52
	v_mov_b32_e32 v13, v2
	v_rcp_iflag_f32_e32 v3, v3
	v_mul_f32_e32 v3, 0x4f7ffffe, v3
	v_cvt_u32_f32_e32 v3, v3
	v_mul_lo_u32 v5, s16, v3
	v_mul_hi_u32 v5, v3, v5
	v_add_u32_e32 v3, v3, v5
	v_mul_hi_u32 v3, v10, v3
	v_mul_lo_u32 v5, v3, s52
	v_add_u32_e32 v7, 1, v3
	v_sub_u32_e32 v5, v10, v5
	v_subrev_u32_e32 v9, s52, v5
	v_cmp_le_u32_e32 vcc, s52, v5
	v_cndmask_b32_e32 v5, v5, v9, vcc
	v_cndmask_b32_e32 v3, v3, v7, vcc
	v_add_u32_e32 v7, 1, v3
	v_cmp_le_u32_e32 vcc, s52, v5
	v_cndmask_b32_e32 v12, v3, v7, vcc
.LBB92_35:                              ;   in Loop: Header=BB92_23 Depth=2
	s_or_b64 exec, exec, s[0:1]
	s_add_u32 s0, s4, s34
	s_addc_u32 s1, s5, s35
	s_add_i32 s16, s30, 4
	s_lshl_b64 s[34:35], s[16:17], 2
	s_add_u32 s36, s42, s34
	s_addc_u32 s37, s43, s35
	s_load_dword s54, s[36:37], 0x8
	s_load_dword s53, s[0:1], 0x6c
                                        ; implicit-def: $vgpr14_vgpr15
	s_waitcnt lgkmcnt(0)
	s_ashr_i32 s0, s54, 31
	v_or_b32_e32 v3, s0, v13
	v_cmp_ne_u64_e32 vcc, 0, v[2:3]
	s_and_saveexec_b64 s[36:37], vcc
	s_xor_b64 s[36:37], exec, s[36:37]
	s_cbranch_execz .LBB92_37
; %bb.36:                               ;   in Loop: Header=BB92_23 Depth=2
	s_ashr_i32 s38, s0, 31
	s_add_u32 s40, s54, s38
	s_mov_b32 s39, s38
	s_addc_u32 s41, s0, s38
	s_xor_b64 s[40:41], s[40:41], s[38:39]
	v_cvt_f32_u32_e32 v3, s40
	v_cvt_f32_u32_e32 v5, s41
	s_sub_u32 s16, 0, s40
	s_subb_u32 s31, 0, s41
	v_mac_f32_e32 v3, 0x4f800000, v5
	v_rcp_f32_e32 v3, v3
	v_mul_f32_e32 v3, 0x5f7ffffc, v3
	v_mul_f32_e32 v5, 0x2f800000, v3
	v_trunc_f32_e32 v5, v5
	v_mac_f32_e32 v3, 0xcf800000, v5
	v_cvt_u32_f32_e32 v5, v5
	v_cvt_u32_f32_e32 v3, v3
	v_readfirstlane_b32 s39, v5
	v_readfirstlane_b32 s0, v3
	s_mul_i32 s1, s16, s39
	s_mul_hi_u32 s56, s16, s0
	s_mul_i32 s55, s31, s0
	s_add_i32 s1, s56, s1
	s_add_i32 s1, s1, s55
	s_mul_i32 s57, s16, s0
	s_mul_i32 s56, s0, s1
	s_mul_hi_u32 s58, s0, s57
	s_mul_hi_u32 s55, s0, s1
	s_add_u32 s56, s58, s56
	s_addc_u32 s55, 0, s55
	s_mul_hi_u32 s59, s39, s57
	s_mul_i32 s57, s39, s57
	s_add_u32 s56, s56, s57
	s_mul_hi_u32 s58, s39, s1
	s_addc_u32 s55, s55, s59
	s_addc_u32 s56, s58, 0
	s_mul_i32 s1, s39, s1
	s_add_u32 s1, s55, s1
	s_addc_u32 s55, 0, s56
	s_add_u32 s56, s0, s1
	s_cselect_b64 s[0:1], -1, 0
	s_cmp_lg_u64 s[0:1], 0
	s_addc_u32 s39, s39, s55
	s_mul_i32 s0, s16, s39
	s_mul_hi_u32 s1, s16, s56
	s_add_i32 s0, s1, s0
	s_mul_i32 s31, s31, s56
	s_add_i32 s0, s0, s31
	s_mul_i32 s16, s16, s56
	s_mul_hi_u32 s31, s39, s16
	s_mul_i32 s55, s39, s16
	s_mul_i32 s58, s56, s0
	s_mul_hi_u32 s16, s56, s16
	s_mul_hi_u32 s57, s56, s0
	s_add_u32 s16, s16, s58
	s_addc_u32 s57, 0, s57
	s_add_u32 s16, s16, s55
	s_mul_hi_u32 s1, s39, s0
	s_addc_u32 s16, s57, s31
	s_addc_u32 s1, s1, 0
	s_mul_i32 s0, s39, s0
	s_add_u32 s0, s16, s0
	s_addc_u32 s16, 0, s1
	s_add_u32 s31, s56, s0
	s_cselect_b64 s[0:1], -1, 0
	v_ashrrev_i32_e32 v3, 31, v13
	s_cmp_lg_u64 s[0:1], 0
	v_add_co_u32_e32 v5, vcc, v12, v3
	s_addc_u32 s16, s39, s16
	v_xor_b32_e32 v5, v5, v3
	v_addc_co_u32_e32 v7, vcc, v13, v3, vcc
	v_mad_u64_u32 v[13:14], s[0:1], v5, s16, 0
	v_mul_hi_u32 v9, v5, s31
	v_xor_b32_e32 v7, v7, v3
	v_mad_u64_u32 v[15:16], s[0:1], v7, s16, 0
	v_add_co_u32_e32 v9, vcc, v9, v13
	v_addc_co_u32_e32 v11, vcc, 0, v14, vcc
	v_mad_u64_u32 v[13:14], s[0:1], v7, s31, 0
	v_xor_b32_e32 v3, s38, v3
	v_add_co_u32_e32 v9, vcc, v9, v13
	v_addc_co_u32_e32 v9, vcc, v11, v14, vcc
	v_addc_co_u32_e32 v11, vcc, 0, v16, vcc
	v_add_co_u32_e32 v9, vcc, v9, v15
	v_addc_co_u32_e32 v11, vcc, 0, v11, vcc
	v_mul_lo_u32 v15, s41, v9
	v_mul_lo_u32 v16, s40, v11
	v_mad_u64_u32 v[13:14], s[0:1], s40, v9, 0
	v_add3_u32 v14, v14, v16, v15
	v_sub_u32_e32 v15, v7, v14
	v_mov_b32_e32 v16, s41
	v_sub_co_u32_e32 v5, vcc, v5, v13
	v_subb_co_u32_e64 v13, s[0:1], v15, v16, vcc
	v_subrev_co_u32_e64 v15, s[0:1], s40, v5
	v_subbrev_co_u32_e64 v13, s[0:1], 0, v13, s[0:1]
	v_cmp_le_u32_e64 s[0:1], s41, v13
	v_cndmask_b32_e64 v16, 0, -1, s[0:1]
	v_cmp_le_u32_e64 s[0:1], s40, v15
	v_cndmask_b32_e64 v15, 0, -1, s[0:1]
	v_cmp_eq_u32_e64 s[0:1], s41, v13
	v_cndmask_b32_e64 v13, v16, v15, s[0:1]
	v_add_co_u32_e64 v15, s[0:1], 2, v9
	v_subb_co_u32_e32 v7, vcc, v7, v14, vcc
	v_addc_co_u32_e64 v16, s[0:1], 0, v11, s[0:1]
	v_cmp_le_u32_e32 vcc, s41, v7
	v_add_co_u32_e64 v17, s[0:1], 1, v9
	v_cndmask_b32_e64 v14, 0, -1, vcc
	v_cmp_le_u32_e32 vcc, s40, v5
	v_addc_co_u32_e64 v18, s[0:1], 0, v11, s[0:1]
	v_cndmask_b32_e64 v5, 0, -1, vcc
	v_cmp_eq_u32_e32 vcc, s41, v7
	v_cmp_ne_u32_e64 s[0:1], 0, v13
	v_cndmask_b32_e32 v5, v14, v5, vcc
	v_cmp_ne_u32_e32 vcc, 0, v5
	v_cndmask_b32_e64 v7, v17, v15, s[0:1]
	v_cndmask_b32_e64 v13, v18, v16, s[0:1]
	v_cndmask_b32_e32 v7, v9, v7, vcc
	v_cndmask_b32_e32 v5, v11, v13, vcc
	v_xor_b32_e32 v7, v7, v3
	v_xor_b32_e32 v5, v5, v3
	v_sub_co_u32_e32 v14, vcc, v7, v3
	v_subb_co_u32_e32 v15, vcc, v5, v3, vcc
.LBB92_37:                              ;   in Loop: Header=BB92_23 Depth=2
	s_andn2_saveexec_b64 s[0:1], s[36:37]
	s_cbranch_execz .LBB92_39
; %bb.38:                               ;   in Loop: Header=BB92_23 Depth=2
	v_cvt_f32_u32_e32 v3, s54
	s_sub_i32 s16, 0, s54
	v_mov_b32_e32 v15, v2
	v_rcp_iflag_f32_e32 v3, v3
	v_mul_f32_e32 v3, 0x4f7ffffe, v3
	v_cvt_u32_f32_e32 v3, v3
	v_mul_lo_u32 v5, s16, v3
	v_mul_hi_u32 v5, v3, v5
	v_add_u32_e32 v3, v3, v5
	v_mul_hi_u32 v3, v12, v3
	v_mul_lo_u32 v5, v3, s54
	v_add_u32_e32 v7, 1, v3
	v_sub_u32_e32 v5, v12, v5
	v_subrev_u32_e32 v9, s54, v5
	v_cmp_le_u32_e32 vcc, s54, v5
	v_cndmask_b32_e32 v5, v5, v9, vcc
	v_cndmask_b32_e32 v3, v3, v7, vcc
	v_add_u32_e32 v7, 1, v3
	v_cmp_le_u32_e32 vcc, s54, v5
	v_cndmask_b32_e32 v14, v3, v7, vcc
.LBB92_39:                              ;   in Loop: Header=BB92_23 Depth=2
	s_or_b64 exec, exec, s[0:1]
	s_add_u32 s0, s4, s34
	s_addc_u32 s1, s5, s35
	s_add_i32 s16, s30, 3
	s_lshl_b64 s[34:35], s[16:17], 2
	s_add_u32 s36, s42, s34
	s_addc_u32 s37, s43, s35
	s_load_dword s55, s[36:37], 0x8
	s_load_dword s56, s[0:1], 0x6c
                                        ; implicit-def: $vgpr16_vgpr17
	s_waitcnt lgkmcnt(0)
	s_ashr_i32 s0, s55, 31
	v_or_b32_e32 v3, s0, v15
	v_cmp_ne_u64_e32 vcc, 0, v[2:3]
	s_and_saveexec_b64 s[36:37], vcc
	s_xor_b64 s[36:37], exec, s[36:37]
	s_cbranch_execz .LBB92_41
; %bb.40:                               ;   in Loop: Header=BB92_23 Depth=2
	s_ashr_i32 s38, s0, 31
	s_add_u32 s40, s55, s38
	s_mov_b32 s39, s38
	s_addc_u32 s41, s0, s38
	s_xor_b64 s[40:41], s[40:41], s[38:39]
	v_cvt_f32_u32_e32 v3, s40
	v_cvt_f32_u32_e32 v5, s41
	s_sub_u32 s16, 0, s40
	s_subb_u32 s31, 0, s41
	v_mac_f32_e32 v3, 0x4f800000, v5
	v_rcp_f32_e32 v3, v3
	v_mul_f32_e32 v3, 0x5f7ffffc, v3
	v_mul_f32_e32 v5, 0x2f800000, v3
	v_trunc_f32_e32 v5, v5
	v_mac_f32_e32 v3, 0xcf800000, v5
	v_cvt_u32_f32_e32 v5, v5
	v_cvt_u32_f32_e32 v3, v3
	v_readfirstlane_b32 s39, v5
	v_readfirstlane_b32 s0, v3
	s_mul_i32 s1, s16, s39
	s_mul_hi_u32 s58, s16, s0
	s_mul_i32 s57, s31, s0
	s_add_i32 s1, s58, s1
	s_add_i32 s1, s1, s57
	s_mul_i32 s59, s16, s0
	s_mul_i32 s58, s0, s1
	s_mul_hi_u32 s60, s0, s59
	s_mul_hi_u32 s57, s0, s1
	s_add_u32 s58, s60, s58
	s_addc_u32 s57, 0, s57
	s_mul_hi_u32 s61, s39, s59
	s_mul_i32 s59, s39, s59
	s_add_u32 s58, s58, s59
	s_mul_hi_u32 s60, s39, s1
	s_addc_u32 s57, s57, s61
	s_addc_u32 s58, s60, 0
	s_mul_i32 s1, s39, s1
	s_add_u32 s1, s57, s1
	s_addc_u32 s57, 0, s58
	s_add_u32 s58, s0, s1
	s_cselect_b64 s[0:1], -1, 0
	s_cmp_lg_u64 s[0:1], 0
	s_addc_u32 s39, s39, s57
	s_mul_i32 s0, s16, s39
	s_mul_hi_u32 s1, s16, s58
	s_add_i32 s0, s1, s0
	s_mul_i32 s31, s31, s58
	s_add_i32 s0, s0, s31
	s_mul_i32 s16, s16, s58
	s_mul_hi_u32 s31, s39, s16
	s_mul_i32 s57, s39, s16
	s_mul_i32 s60, s58, s0
	s_mul_hi_u32 s16, s58, s16
	s_mul_hi_u32 s59, s58, s0
	s_add_u32 s16, s16, s60
	s_addc_u32 s59, 0, s59
	s_add_u32 s16, s16, s57
	s_mul_hi_u32 s1, s39, s0
	s_addc_u32 s16, s59, s31
	s_addc_u32 s1, s1, 0
	s_mul_i32 s0, s39, s0
	s_add_u32 s0, s16, s0
	s_addc_u32 s16, 0, s1
	s_add_u32 s31, s58, s0
	s_cselect_b64 s[0:1], -1, 0
	v_ashrrev_i32_e32 v3, 31, v15
	s_cmp_lg_u64 s[0:1], 0
	v_add_co_u32_e32 v5, vcc, v14, v3
	s_addc_u32 s16, s39, s16
	v_xor_b32_e32 v5, v5, v3
	v_addc_co_u32_e32 v7, vcc, v15, v3, vcc
	v_mad_u64_u32 v[15:16], s[0:1], v5, s16, 0
	v_mul_hi_u32 v9, v5, s31
	v_xor_b32_e32 v7, v7, v3
	v_mad_u64_u32 v[17:18], s[0:1], v7, s16, 0
	v_add_co_u32_e32 v9, vcc, v9, v15
	v_addc_co_u32_e32 v11, vcc, 0, v16, vcc
	v_mad_u64_u32 v[15:16], s[0:1], v7, s31, 0
	v_xor_b32_e32 v3, s38, v3
	v_add_co_u32_e32 v9, vcc, v9, v15
	v_addc_co_u32_e32 v9, vcc, v11, v16, vcc
	v_addc_co_u32_e32 v11, vcc, 0, v18, vcc
	v_add_co_u32_e32 v9, vcc, v9, v17
	v_addc_co_u32_e32 v11, vcc, 0, v11, vcc
	v_mul_lo_u32 v13, s41, v9
	v_mul_lo_u32 v17, s40, v11
	v_mad_u64_u32 v[15:16], s[0:1], s40, v9, 0
	v_add3_u32 v13, v16, v17, v13
	v_sub_u32_e32 v16, v7, v13
	v_mov_b32_e32 v17, s41
	v_sub_co_u32_e32 v5, vcc, v5, v15
	v_subb_co_u32_e64 v15, s[0:1], v16, v17, vcc
	v_subrev_co_u32_e64 v16, s[0:1], s40, v5
	v_subbrev_co_u32_e64 v15, s[0:1], 0, v15, s[0:1]
	v_cmp_le_u32_e64 s[0:1], s41, v15
	v_cndmask_b32_e64 v17, 0, -1, s[0:1]
	v_cmp_le_u32_e64 s[0:1], s40, v16
	v_cndmask_b32_e64 v16, 0, -1, s[0:1]
	v_cmp_eq_u32_e64 s[0:1], s41, v15
	v_cndmask_b32_e64 v15, v17, v16, s[0:1]
	v_add_co_u32_e64 v16, s[0:1], 2, v9
	v_subb_co_u32_e32 v7, vcc, v7, v13, vcc
	v_addc_co_u32_e64 v17, s[0:1], 0, v11, s[0:1]
	v_cmp_le_u32_e32 vcc, s41, v7
	v_add_co_u32_e64 v18, s[0:1], 1, v9
	v_cndmask_b32_e64 v13, 0, -1, vcc
	v_cmp_le_u32_e32 vcc, s40, v5
	v_addc_co_u32_e64 v19, s[0:1], 0, v11, s[0:1]
	v_cndmask_b32_e64 v5, 0, -1, vcc
	v_cmp_eq_u32_e32 vcc, s41, v7
	v_cmp_ne_u32_e64 s[0:1], 0, v15
	v_cndmask_b32_e32 v5, v13, v5, vcc
	v_cmp_ne_u32_e32 vcc, 0, v5
	v_cndmask_b32_e64 v7, v18, v16, s[0:1]
	v_cndmask_b32_e64 v15, v19, v17, s[0:1]
	v_cndmask_b32_e32 v7, v9, v7, vcc
	v_cndmask_b32_e32 v5, v11, v15, vcc
	v_xor_b32_e32 v7, v7, v3
	v_xor_b32_e32 v5, v5, v3
	v_sub_co_u32_e32 v16, vcc, v7, v3
	v_subb_co_u32_e32 v17, vcc, v5, v3, vcc
.LBB92_41:                              ;   in Loop: Header=BB92_23 Depth=2
	s_andn2_saveexec_b64 s[0:1], s[36:37]
	s_cbranch_execz .LBB92_43
; %bb.42:                               ;   in Loop: Header=BB92_23 Depth=2
	v_cvt_f32_u32_e32 v3, s55
	s_sub_i32 s16, 0, s55
	v_mov_b32_e32 v17, v2
	v_rcp_iflag_f32_e32 v3, v3
	v_mul_f32_e32 v3, 0x4f7ffffe, v3
	v_cvt_u32_f32_e32 v3, v3
	v_mul_lo_u32 v5, s16, v3
	v_mul_hi_u32 v5, v3, v5
	v_add_u32_e32 v3, v3, v5
	v_mul_hi_u32 v3, v14, v3
	v_mul_lo_u32 v5, v3, s55
	v_add_u32_e32 v7, 1, v3
	v_sub_u32_e32 v5, v14, v5
	v_subrev_u32_e32 v9, s55, v5
	v_cmp_le_u32_e32 vcc, s55, v5
	v_cndmask_b32_e32 v5, v5, v9, vcc
	v_cndmask_b32_e32 v3, v3, v7, vcc
	v_add_u32_e32 v7, 1, v3
	v_cmp_le_u32_e32 vcc, s55, v5
	v_cndmask_b32_e32 v16, v3, v7, vcc
.LBB92_43:                              ;   in Loop: Header=BB92_23 Depth=2
	s_or_b64 exec, exec, s[0:1]
	s_add_u32 s0, s4, s34
	s_addc_u32 s1, s5, s35
	s_add_i32 s16, s30, 2
	s_lshl_b64 s[34:35], s[16:17], 2
	s_add_u32 s36, s42, s34
	s_addc_u32 s37, s43, s35
	s_load_dword s58, s[36:37], 0x8
	s_load_dword s57, s[0:1], 0x6c
                                        ; implicit-def: $vgpr18_vgpr19
	s_waitcnt lgkmcnt(0)
	s_ashr_i32 s0, s58, 31
	v_or_b32_e32 v3, s0, v17
	v_cmp_ne_u64_e32 vcc, 0, v[2:3]
	s_and_saveexec_b64 s[36:37], vcc
	s_xor_b64 s[36:37], exec, s[36:37]
	s_cbranch_execz .LBB92_45
; %bb.44:                               ;   in Loop: Header=BB92_23 Depth=2
	s_ashr_i32 s38, s0, 31
	s_add_u32 s40, s58, s38
	s_mov_b32 s39, s38
	s_addc_u32 s41, s0, s38
	s_xor_b64 s[40:41], s[40:41], s[38:39]
	v_cvt_f32_u32_e32 v3, s40
	v_cvt_f32_u32_e32 v5, s41
	s_sub_u32 s16, 0, s40
	s_subb_u32 s31, 0, s41
	v_mac_f32_e32 v3, 0x4f800000, v5
	v_rcp_f32_e32 v3, v3
	v_mul_f32_e32 v3, 0x5f7ffffc, v3
	v_mul_f32_e32 v5, 0x2f800000, v3
	v_trunc_f32_e32 v5, v5
	v_mac_f32_e32 v3, 0xcf800000, v5
	v_cvt_u32_f32_e32 v5, v5
	v_cvt_u32_f32_e32 v3, v3
	v_readfirstlane_b32 s39, v5
	v_readfirstlane_b32 s0, v3
	s_mul_i32 s1, s16, s39
	s_mul_hi_u32 s60, s16, s0
	s_mul_i32 s59, s31, s0
	s_add_i32 s1, s60, s1
	s_add_i32 s1, s1, s59
	s_mul_i32 s61, s16, s0
	s_mul_i32 s60, s0, s1
	s_mul_hi_u32 s62, s0, s61
	s_mul_hi_u32 s59, s0, s1
	s_add_u32 s60, s62, s60
	s_addc_u32 s59, 0, s59
	s_mul_hi_u32 s63, s39, s61
	s_mul_i32 s61, s39, s61
	s_add_u32 s60, s60, s61
	s_mul_hi_u32 s62, s39, s1
	s_addc_u32 s59, s59, s63
	s_addc_u32 s60, s62, 0
	s_mul_i32 s1, s39, s1
	s_add_u32 s1, s59, s1
	s_addc_u32 s59, 0, s60
	s_add_u32 s60, s0, s1
	s_cselect_b64 s[0:1], -1, 0
	s_cmp_lg_u64 s[0:1], 0
	s_addc_u32 s39, s39, s59
	s_mul_i32 s0, s16, s39
	s_mul_hi_u32 s1, s16, s60
	s_add_i32 s0, s1, s0
	s_mul_i32 s31, s31, s60
	s_add_i32 s0, s0, s31
	s_mul_i32 s16, s16, s60
	s_mul_hi_u32 s31, s39, s16
	s_mul_i32 s59, s39, s16
	s_mul_i32 s62, s60, s0
	s_mul_hi_u32 s16, s60, s16
	s_mul_hi_u32 s61, s60, s0
	s_add_u32 s16, s16, s62
	s_addc_u32 s61, 0, s61
	s_add_u32 s16, s16, s59
	s_mul_hi_u32 s1, s39, s0
	s_addc_u32 s16, s61, s31
	s_addc_u32 s1, s1, 0
	s_mul_i32 s0, s39, s0
	s_add_u32 s0, s16, s0
	s_addc_u32 s16, 0, s1
	s_add_u32 s31, s60, s0
	s_cselect_b64 s[0:1], -1, 0
	v_ashrrev_i32_e32 v3, 31, v17
	s_cmp_lg_u64 s[0:1], 0
	v_add_co_u32_e32 v5, vcc, v16, v3
	s_addc_u32 s16, s39, s16
	v_xor_b32_e32 v5, v5, v3
	v_addc_co_u32_e32 v7, vcc, v17, v3, vcc
	v_mad_u64_u32 v[17:18], s[0:1], v5, s16, 0
	v_mul_hi_u32 v9, v5, s31
	v_xor_b32_e32 v7, v7, v3
	v_mad_u64_u32 v[19:20], s[0:1], v7, s16, 0
	v_add_co_u32_e32 v9, vcc, v9, v17
	v_addc_co_u32_e32 v11, vcc, 0, v18, vcc
	v_mad_u64_u32 v[17:18], s[0:1], v7, s31, 0
	v_xor_b32_e32 v3, s38, v3
	v_add_co_u32_e32 v9, vcc, v9, v17
	v_addc_co_u32_e32 v9, vcc, v11, v18, vcc
	v_addc_co_u32_e32 v11, vcc, 0, v20, vcc
	v_add_co_u32_e32 v9, vcc, v9, v19
	v_addc_co_u32_e32 v11, vcc, 0, v11, vcc
	v_mul_lo_u32 v13, s41, v9
	v_mul_lo_u32 v15, s40, v11
	v_mad_u64_u32 v[17:18], s[0:1], s40, v9, 0
	v_add3_u32 v13, v18, v15, v13
	v_sub_u32_e32 v15, v7, v13
	v_mov_b32_e32 v18, s41
	v_sub_co_u32_e32 v5, vcc, v5, v17
	v_subb_co_u32_e64 v15, s[0:1], v15, v18, vcc
	v_subrev_co_u32_e64 v17, s[0:1], s40, v5
	v_subbrev_co_u32_e64 v15, s[0:1], 0, v15, s[0:1]
	v_cmp_le_u32_e64 s[0:1], s41, v15
	v_cndmask_b32_e64 v18, 0, -1, s[0:1]
	v_cmp_le_u32_e64 s[0:1], s40, v17
	v_cndmask_b32_e64 v17, 0, -1, s[0:1]
	v_cmp_eq_u32_e64 s[0:1], s41, v15
	v_cndmask_b32_e64 v15, v18, v17, s[0:1]
	v_add_co_u32_e64 v17, s[0:1], 2, v9
	v_subb_co_u32_e32 v7, vcc, v7, v13, vcc
	v_addc_co_u32_e64 v18, s[0:1], 0, v11, s[0:1]
	v_cmp_le_u32_e32 vcc, s41, v7
	v_add_co_u32_e64 v19, s[0:1], 1, v9
	v_cndmask_b32_e64 v13, 0, -1, vcc
	v_cmp_le_u32_e32 vcc, s40, v5
	v_addc_co_u32_e64 v20, s[0:1], 0, v11, s[0:1]
	v_cndmask_b32_e64 v5, 0, -1, vcc
	v_cmp_eq_u32_e32 vcc, s41, v7
	v_cmp_ne_u32_e64 s[0:1], 0, v15
	v_cndmask_b32_e32 v5, v13, v5, vcc
	v_cmp_ne_u32_e32 vcc, 0, v5
	v_cndmask_b32_e64 v7, v19, v17, s[0:1]
	v_cndmask_b32_e64 v15, v20, v18, s[0:1]
	v_cndmask_b32_e32 v7, v9, v7, vcc
	v_cndmask_b32_e32 v5, v11, v15, vcc
	v_xor_b32_e32 v7, v7, v3
	v_xor_b32_e32 v5, v5, v3
	v_sub_co_u32_e32 v18, vcc, v7, v3
	v_subb_co_u32_e32 v19, vcc, v5, v3, vcc
.LBB92_45:                              ;   in Loop: Header=BB92_23 Depth=2
	s_andn2_saveexec_b64 s[0:1], s[36:37]
	s_cbranch_execz .LBB92_47
; %bb.46:                               ;   in Loop: Header=BB92_23 Depth=2
	v_cvt_f32_u32_e32 v3, s58
	s_sub_i32 s16, 0, s58
	v_mov_b32_e32 v19, v2
	v_rcp_iflag_f32_e32 v3, v3
	v_mul_f32_e32 v3, 0x4f7ffffe, v3
	v_cvt_u32_f32_e32 v3, v3
	v_mul_lo_u32 v5, s16, v3
	v_mul_hi_u32 v5, v3, v5
	v_add_u32_e32 v3, v3, v5
	v_mul_hi_u32 v3, v16, v3
	v_mul_lo_u32 v5, v3, s58
	v_add_u32_e32 v7, 1, v3
	v_sub_u32_e32 v5, v16, v5
	v_subrev_u32_e32 v9, s58, v5
	v_cmp_le_u32_e32 vcc, s58, v5
	v_cndmask_b32_e32 v5, v5, v9, vcc
	v_cndmask_b32_e32 v3, v3, v7, vcc
	v_add_u32_e32 v7, 1, v3
	v_cmp_le_u32_e32 vcc, s58, v5
	v_cndmask_b32_e32 v18, v3, v7, vcc
.LBB92_47:                              ;   in Loop: Header=BB92_23 Depth=2
	s_or_b64 exec, exec, s[0:1]
	s_add_u32 s0, s4, s34
	s_addc_u32 s1, s5, s35
	s_add_i32 s16, s30, 1
	s_lshl_b64 s[34:35], s[16:17], 2
	s_add_u32 s36, s42, s34
	s_addc_u32 s37, s43, s35
	s_load_dword s59, s[36:37], 0x8
	s_load_dword s16, s[0:1], 0x6c
                                        ; implicit-def: $vgpr20_vgpr21
	s_waitcnt lgkmcnt(0)
	s_ashr_i32 s0, s59, 31
	v_or_b32_e32 v3, s0, v19
	v_cmp_ne_u64_e32 vcc, 0, v[2:3]
	s_and_saveexec_b64 s[36:37], vcc
	s_xor_b64 s[36:37], exec, s[36:37]
	s_cbranch_execz .LBB92_49
; %bb.48:                               ;   in Loop: Header=BB92_23 Depth=2
	s_ashr_i32 s38, s0, 31
	s_add_u32 s40, s59, s38
	s_mov_b32 s39, s38
	s_addc_u32 s41, s0, s38
	s_xor_b64 s[40:41], s[40:41], s[38:39]
	v_cvt_f32_u32_e32 v3, s40
	v_cvt_f32_u32_e32 v5, s41
	s_sub_u32 s31, 0, s40
	s_subb_u32 s39, 0, s41
	v_mov_b32_e32 v17, s41
	v_mac_f32_e32 v3, 0x4f800000, v5
	v_rcp_f32_e32 v3, v3
	v_mul_f32_e32 v3, 0x5f7ffffc, v3
	v_mul_f32_e32 v5, 0x2f800000, v3
	v_trunc_f32_e32 v5, v5
	v_mac_f32_e32 v3, 0xcf800000, v5
	v_cvt_u32_f32_e32 v5, v5
	v_cvt_u32_f32_e32 v3, v3
	v_readfirstlane_b32 s60, v5
	v_readfirstlane_b32 s0, v3
	s_mul_i32 s1, s31, s60
	s_mul_hi_u32 s62, s31, s0
	s_mul_i32 s61, s39, s0
	s_add_i32 s1, s62, s1
	s_add_i32 s1, s1, s61
	s_mul_i32 s63, s31, s0
	s_mul_i32 s62, s0, s1
	s_mul_hi_u32 s64, s0, s63
	s_mul_hi_u32 s61, s0, s1
	s_add_u32 s62, s64, s62
	s_addc_u32 s61, 0, s61
	s_mul_hi_u32 s65, s60, s63
	s_mul_i32 s63, s60, s63
	s_add_u32 s62, s62, s63
	s_mul_hi_u32 s64, s60, s1
	s_addc_u32 s61, s61, s65
	s_addc_u32 s62, s64, 0
	s_mul_i32 s1, s60, s1
	s_add_u32 s1, s61, s1
	s_addc_u32 s61, 0, s62
	s_add_u32 s62, s0, s1
	s_cselect_b64 s[0:1], -1, 0
	s_cmp_lg_u64 s[0:1], 0
	s_addc_u32 s60, s60, s61
	s_mul_i32 s0, s31, s60
	s_mul_hi_u32 s1, s31, s62
	s_add_i32 s0, s1, s0
	s_mul_i32 s39, s39, s62
	s_add_i32 s0, s0, s39
	s_mul_i32 s31, s31, s62
	s_mul_hi_u32 s39, s60, s31
	s_mul_i32 s61, s60, s31
	s_mul_i32 s64, s62, s0
	s_mul_hi_u32 s31, s62, s31
	s_mul_hi_u32 s63, s62, s0
	s_add_u32 s31, s31, s64
	s_addc_u32 s63, 0, s63
	s_add_u32 s31, s31, s61
	s_mul_hi_u32 s1, s60, s0
	s_addc_u32 s31, s63, s39
	s_addc_u32 s1, s1, 0
	s_mul_i32 s0, s60, s0
	s_add_u32 s0, s31, s0
	s_addc_u32 s31, 0, s1
	s_add_u32 s39, s62, s0
	s_cselect_b64 s[0:1], -1, 0
	v_ashrrev_i32_e32 v3, 31, v19
	s_cmp_lg_u64 s[0:1], 0
	v_add_co_u32_e32 v5, vcc, v18, v3
	s_addc_u32 s31, s60, s31
	v_xor_b32_e32 v5, v5, v3
	v_addc_co_u32_e32 v7, vcc, v19, v3, vcc
	v_mad_u64_u32 v[19:20], s[0:1], v5, s31, 0
	v_mul_hi_u32 v9, v5, s39
	v_xor_b32_e32 v7, v7, v3
	v_mad_u64_u32 v[21:22], s[0:1], v7, s31, 0
	v_add_co_u32_e32 v9, vcc, v9, v19
	v_addc_co_u32_e32 v11, vcc, 0, v20, vcc
	v_mad_u64_u32 v[19:20], s[0:1], v7, s39, 0
	v_xor_b32_e32 v3, s38, v3
	v_add_co_u32_e32 v9, vcc, v9, v19
	v_addc_co_u32_e32 v9, vcc, v11, v20, vcc
	v_addc_co_u32_e32 v11, vcc, 0, v22, vcc
	v_add_co_u32_e32 v9, vcc, v9, v21
	v_addc_co_u32_e32 v11, vcc, 0, v11, vcc
	v_mul_lo_u32 v13, s41, v9
	v_mul_lo_u32 v15, s40, v11
	v_mad_u64_u32 v[19:20], s[0:1], s40, v9, 0
	v_add3_u32 v13, v20, v15, v13
	v_sub_u32_e32 v15, v7, v13
	v_sub_co_u32_e32 v5, vcc, v5, v19
	v_subb_co_u32_e64 v15, s[0:1], v15, v17, vcc
	v_subrev_co_u32_e64 v17, s[0:1], s40, v5
	v_subbrev_co_u32_e64 v15, s[0:1], 0, v15, s[0:1]
	v_cmp_le_u32_e64 s[0:1], s41, v15
	v_cndmask_b32_e64 v19, 0, -1, s[0:1]
	v_cmp_le_u32_e64 s[0:1], s40, v17
	v_cndmask_b32_e64 v17, 0, -1, s[0:1]
	v_cmp_eq_u32_e64 s[0:1], s41, v15
	v_cndmask_b32_e64 v15, v19, v17, s[0:1]
	v_add_co_u32_e64 v17, s[0:1], 2, v9
	v_subb_co_u32_e32 v7, vcc, v7, v13, vcc
	v_addc_co_u32_e64 v19, s[0:1], 0, v11, s[0:1]
	v_cmp_le_u32_e32 vcc, s41, v7
	v_add_co_u32_e64 v20, s[0:1], 1, v9
	v_cndmask_b32_e64 v13, 0, -1, vcc
	v_cmp_le_u32_e32 vcc, s40, v5
	v_addc_co_u32_e64 v21, s[0:1], 0, v11, s[0:1]
	v_cndmask_b32_e64 v5, 0, -1, vcc
	v_cmp_eq_u32_e32 vcc, s41, v7
	v_cmp_ne_u32_e64 s[0:1], 0, v15
	v_cndmask_b32_e32 v5, v13, v5, vcc
	v_cmp_ne_u32_e32 vcc, 0, v5
	v_cndmask_b32_e64 v7, v20, v17, s[0:1]
	v_cndmask_b32_e64 v15, v21, v19, s[0:1]
	v_cndmask_b32_e32 v7, v9, v7, vcc
	v_cndmask_b32_e32 v5, v11, v15, vcc
	v_xor_b32_e32 v7, v7, v3
	v_xor_b32_e32 v5, v5, v3
	v_sub_co_u32_e32 v20, vcc, v7, v3
	v_subb_co_u32_e32 v21, vcc, v5, v3, vcc
.LBB92_49:                              ;   in Loop: Header=BB92_23 Depth=2
	s_andn2_saveexec_b64 s[0:1], s[36:37]
	s_cbranch_execz .LBB92_51
; %bb.50:                               ;   in Loop: Header=BB92_23 Depth=2
	v_cvt_f32_u32_e32 v3, s59
	s_sub_i32 s31, 0, s59
	v_mov_b32_e32 v21, v2
	v_rcp_iflag_f32_e32 v3, v3
	v_mul_f32_e32 v3, 0x4f7ffffe, v3
	v_cvt_u32_f32_e32 v3, v3
	v_mul_lo_u32 v5, s31, v3
	v_mul_hi_u32 v5, v3, v5
	v_add_u32_e32 v3, v3, v5
	v_mul_hi_u32 v3, v18, v3
	v_mul_lo_u32 v5, v3, s59
	v_add_u32_e32 v7, 1, v3
	v_sub_u32_e32 v5, v18, v5
	v_subrev_u32_e32 v9, s59, v5
	v_cmp_le_u32_e32 vcc, s59, v5
	v_cndmask_b32_e32 v5, v5, v9, vcc
	v_cndmask_b32_e32 v3, v3, v7, vcc
	v_add_u32_e32 v7, 1, v3
	v_cmp_le_u32_e32 vcc, s59, v5
	v_cndmask_b32_e32 v20, v3, v7, vcc
.LBB92_51:                              ;   in Loop: Header=BB92_23 Depth=2
	s_or_b64 exec, exec, s[0:1]
	s_add_u32 s0, s4, s34
	s_mov_b32 s31, s17
	s_addc_u32 s1, s5, s35
	s_lshl_b64 s[34:35], s[30:31], 2
	s_add_u32 s36, s42, s34
	s_addc_u32 s37, s43, s35
	s_load_dword s60, s[36:37], 0x8
	s_load_dword s31, s[0:1], 0x6c
                                        ; implicit-def: $vgpr22_vgpr23
	s_waitcnt lgkmcnt(0)
	s_ashr_i32 s0, s60, 31
	v_or_b32_e32 v3, s0, v21
	v_cmp_ne_u64_e32 vcc, 0, v[2:3]
	s_and_saveexec_b64 s[36:37], vcc
	s_xor_b64 s[36:37], exec, s[36:37]
	s_cbranch_execz .LBB92_53
; %bb.52:                               ;   in Loop: Header=BB92_23 Depth=2
	s_ashr_i32 s38, s0, 31
	s_add_u32 s40, s60, s38
	s_mov_b32 s39, s38
	s_addc_u32 s41, s0, s38
	s_xor_b64 s[40:41], s[40:41], s[38:39]
	v_cvt_f32_u32_e32 v3, s40
	v_cvt_f32_u32_e32 v5, s41
	s_sub_u32 s39, 0, s40
	s_subb_u32 s61, 0, s41
	v_mov_b32_e32 v17, s41
	v_mac_f32_e32 v3, 0x4f800000, v5
	v_rcp_f32_e32 v3, v3
	v_mul_f32_e32 v3, 0x5f7ffffc, v3
	v_mul_f32_e32 v5, 0x2f800000, v3
	v_trunc_f32_e32 v5, v5
	v_mac_f32_e32 v3, 0xcf800000, v5
	v_cvt_u32_f32_e32 v5, v5
	v_cvt_u32_f32_e32 v3, v3
	v_readfirstlane_b32 s62, v5
	v_readfirstlane_b32 s0, v3
	s_mul_i32 s1, s39, s62
	s_mul_hi_u32 s64, s39, s0
	s_mul_i32 s63, s61, s0
	s_add_i32 s1, s64, s1
	s_add_i32 s1, s1, s63
	s_mul_i32 s65, s39, s0
	s_mul_i32 s64, s0, s1
	s_mul_hi_u32 s66, s0, s65
	s_mul_hi_u32 s63, s0, s1
	s_add_u32 s64, s66, s64
	s_addc_u32 s63, 0, s63
	s_mul_hi_u32 s67, s62, s65
	s_mul_i32 s65, s62, s65
	s_add_u32 s64, s64, s65
	s_mul_hi_u32 s66, s62, s1
	s_addc_u32 s63, s63, s67
	s_addc_u32 s64, s66, 0
	s_mul_i32 s1, s62, s1
	s_add_u32 s1, s63, s1
	s_addc_u32 s63, 0, s64
	s_add_u32 s64, s0, s1
	s_cselect_b64 s[0:1], -1, 0
	s_cmp_lg_u64 s[0:1], 0
	s_addc_u32 s62, s62, s63
	s_mul_i32 s0, s39, s62
	s_mul_hi_u32 s1, s39, s64
	s_add_i32 s0, s1, s0
	s_mul_i32 s61, s61, s64
	s_add_i32 s0, s0, s61
	s_mul_i32 s39, s39, s64
	s_mul_hi_u32 s61, s62, s39
	s_mul_i32 s63, s62, s39
	s_mul_i32 s66, s64, s0
	s_mul_hi_u32 s39, s64, s39
	s_mul_hi_u32 s65, s64, s0
	s_add_u32 s39, s39, s66
	s_addc_u32 s65, 0, s65
	s_add_u32 s39, s39, s63
	s_mul_hi_u32 s1, s62, s0
	s_addc_u32 s39, s65, s61
	s_addc_u32 s1, s1, 0
	s_mul_i32 s0, s62, s0
	s_add_u32 s0, s39, s0
	s_addc_u32 s39, 0, s1
	s_add_u32 s61, s64, s0
	s_cselect_b64 s[0:1], -1, 0
	v_ashrrev_i32_e32 v3, 31, v21
	s_cmp_lg_u64 s[0:1], 0
	v_add_co_u32_e32 v5, vcc, v20, v3
	s_addc_u32 s39, s62, s39
	v_xor_b32_e32 v5, v5, v3
	v_addc_co_u32_e32 v7, vcc, v21, v3, vcc
	v_mad_u64_u32 v[21:22], s[0:1], v5, s39, 0
	v_mul_hi_u32 v9, v5, s61
	v_xor_b32_e32 v7, v7, v3
	v_mad_u64_u32 v[26:27], s[0:1], v7, s39, 0
	v_add_co_u32_e32 v9, vcc, v9, v21
	v_addc_co_u32_e32 v11, vcc, 0, v22, vcc
	v_mad_u64_u32 v[21:22], s[0:1], v7, s61, 0
	v_xor_b32_e32 v3, s38, v3
	v_add_co_u32_e32 v9, vcc, v9, v21
	v_addc_co_u32_e32 v9, vcc, v11, v22, vcc
	v_addc_co_u32_e32 v11, vcc, 0, v27, vcc
	v_add_co_u32_e32 v9, vcc, v9, v26
	v_addc_co_u32_e32 v11, vcc, 0, v11, vcc
	v_mul_lo_u32 v13, s41, v9
	v_mul_lo_u32 v15, s40, v11
	v_mad_u64_u32 v[21:22], s[0:1], s40, v9, 0
	v_add3_u32 v13, v22, v15, v13
	v_sub_u32_e32 v15, v7, v13
	v_sub_co_u32_e32 v5, vcc, v5, v21
	v_subb_co_u32_e64 v15, s[0:1], v15, v17, vcc
	v_subrev_co_u32_e64 v17, s[0:1], s40, v5
	v_subbrev_co_u32_e64 v15, s[0:1], 0, v15, s[0:1]
	v_cmp_le_u32_e64 s[0:1], s41, v15
	v_cndmask_b32_e64 v19, 0, -1, s[0:1]
	v_cmp_le_u32_e64 s[0:1], s40, v17
	v_cndmask_b32_e64 v17, 0, -1, s[0:1]
	v_cmp_eq_u32_e64 s[0:1], s41, v15
	v_cndmask_b32_e64 v15, v19, v17, s[0:1]
	v_add_co_u32_e64 v17, s[0:1], 2, v9
	v_subb_co_u32_e32 v7, vcc, v7, v13, vcc
	v_addc_co_u32_e64 v19, s[0:1], 0, v11, s[0:1]
	v_cmp_le_u32_e32 vcc, s41, v7
	v_add_co_u32_e64 v21, s[0:1], 1, v9
	v_cndmask_b32_e64 v13, 0, -1, vcc
	v_cmp_le_u32_e32 vcc, s40, v5
	v_addc_co_u32_e64 v22, s[0:1], 0, v11, s[0:1]
	v_cndmask_b32_e64 v5, 0, -1, vcc
	v_cmp_eq_u32_e32 vcc, s41, v7
	v_cmp_ne_u32_e64 s[0:1], 0, v15
	v_cndmask_b32_e32 v5, v13, v5, vcc
	v_cmp_ne_u32_e32 vcc, 0, v5
	v_cndmask_b32_e64 v7, v21, v17, s[0:1]
	v_cndmask_b32_e64 v15, v22, v19, s[0:1]
	v_cndmask_b32_e32 v7, v9, v7, vcc
	v_cndmask_b32_e32 v5, v11, v15, vcc
	v_xor_b32_e32 v7, v7, v3
	v_xor_b32_e32 v5, v5, v3
	v_sub_co_u32_e32 v22, vcc, v7, v3
	v_subb_co_u32_e32 v23, vcc, v5, v3, vcc
.LBB92_53:                              ;   in Loop: Header=BB92_23 Depth=2
	s_andn2_saveexec_b64 s[0:1], s[36:37]
	s_cbranch_execz .LBB92_55
; %bb.54:                               ;   in Loop: Header=BB92_23 Depth=2
	v_cvt_f32_u32_e32 v3, s60
	s_sub_i32 s36, 0, s60
	v_mov_b32_e32 v23, v2
	v_rcp_iflag_f32_e32 v3, v3
	v_mul_f32_e32 v3, 0x4f7ffffe, v3
	v_cvt_u32_f32_e32 v3, v3
	v_mul_lo_u32 v5, s36, v3
	v_mul_hi_u32 v5, v3, v5
	v_add_u32_e32 v3, v3, v5
	v_mul_hi_u32 v3, v20, v3
	v_mul_lo_u32 v5, v3, s60
	v_add_u32_e32 v7, 1, v3
	v_sub_u32_e32 v5, v20, v5
	v_subrev_u32_e32 v9, s60, v5
	v_cmp_le_u32_e32 vcc, s60, v5
	v_cndmask_b32_e32 v5, v5, v9, vcc
	v_cndmask_b32_e32 v3, v3, v7, vcc
	v_add_u32_e32 v7, 1, v3
	v_cmp_le_u32_e32 vcc, s60, v5
	v_cndmask_b32_e32 v22, v3, v7, vcc
.LBB92_55:                              ;   in Loop: Header=BB92_23 Depth=2
	s_or_b64 exec, exec, s[0:1]
	v_mul_lo_u32 v3, v8, s25
	v_mul_lo_u32 v5, v10, s50
	v_mul_lo_u32 v7, v12, s52
	s_add_u32 s0, s4, s34
	v_sub_u32_e32 v3, v6, v3
	v_mul_lo_u32 v6, v14, s54
	v_sub_u32_e32 v5, v8, v5
	v_mul_lo_u32 v3, s28, v3
	v_mul_lo_u32 v5, s51, v5
	v_sub_u32_e32 v7, v10, v7
	v_sub_u32_e32 v6, v12, v6
	v_mul_lo_u32 v7, s53, v7
	v_mul_lo_u32 v6, s56, v6
	;; [unrolled: 1-line block ×3, first 2 shown]
	v_add3_u32 v3, v3, v4, v5
	v_mul_lo_u32 v4, v18, s58
	s_addc_u32 s1, s5, s35
	v_add3_u32 v3, v7, v3, v6
	v_mul_lo_u32 v6, v20, s59
	v_mul_lo_u32 v7, v22, s60
	s_load_dword s0, s[0:1], 0x6c
	v_sub_u32_e32 v5, v14, v8
	v_sub_u32_e32 v4, v16, v4
	v_mul_lo_u32 v5, s57, v5
	v_mul_lo_u32 v4, s16, v4
	v_sub_u32_e32 v6, v18, v6
	v_sub_u32_e32 v7, v20, v7
	v_mul_lo_u32 v6, s31, v6
	s_waitcnt lgkmcnt(0)
	v_mul_lo_u32 v7, s0, v7
	v_add3_u32 v3, v5, v3, v4
	s_add_i32 s30, s30, -8
	s_cmp_eq_u32 s30, -8
	v_add3_u32 v4, v6, v3, v7
	s_cbranch_scc1 .LBB92_57
; %bb.56:                               ;   in Loop: Header=BB92_23 Depth=2
	v_mov_b32_e32 v6, v22
	v_mov_b32_e32 v7, v23
	s_branch .LBB92_23
.LBB92_57:                              ;   in Loop: Header=BB92_3 Depth=1
	s_load_dword s16, s[2:3], 0x4
	s_waitcnt lgkmcnt(0)
	v_cmp_gt_i32_e32 vcc, s16, v25
	s_and_b64 exec, exec, vcc
	s_cbranch_execz .LBB92_2
; %bb.58:                               ;   in Loop: Header=BB92_3 Depth=1
	v_ashrrev_i32_e32 v5, 31, v4
	v_lshlrev_b64 v[5:6], 1, v[4:5]
	v_mov_b32_e32 v3, s13
	v_add_co_u32_e32 v5, vcc, s12, v5
	v_addc_co_u32_e32 v6, vcc, v3, v6, vcc
	v_add_u32_e32 v3, 1, v25
	v_cmp_gt_i32_e32 vcc, s16, v3
	global_store_short v[5:6], v2, off
	s_and_b64 exec, exec, vcc
	s_cbranch_execz .LBB92_2
; %bb.59:                               ;   in Loop: Header=BB92_3 Depth=1
	v_sub_u32_e32 v5, v3, v24
	v_ashrrev_i32_e32 v6, 31, v5
	v_cmp_gt_i64_e32 vcc, s[8:9], v[5:6]
	s_and_saveexec_b64 s[0:1], vcc
	s_cbranch_execz .LBB92_61
; %bb.60:                               ;   in Loop: Header=BB92_3 Depth=1
	v_add_u32_e32 v5, s29, v4
	v_ashrrev_i32_e32 v6, 31, v5
	v_lshlrev_b64 v[5:6], 1, v[5:6]
	v_mov_b32_e32 v3, s13
	v_add_co_u32_e32 v5, vcc, s12, v5
	v_addc_co_u32_e32 v6, vcc, v3, v6, vcc
	global_store_short v[5:6], v2, off
.LBB92_61:                              ;   in Loop: Header=BB92_3 Depth=1
	s_or_b64 exec, exec, s[0:1]
	v_add_u32_e32 v3, 2, v25
	v_cmp_gt_i32_e32 vcc, s16, v3
	s_and_b64 exec, exec, vcc
	s_cbranch_execz .LBB92_2
; %bb.62:                               ;   in Loop: Header=BB92_3 Depth=1
	v_sub_u32_e32 v5, v3, v24
	v_ashrrev_i32_e32 v6, 31, v5
	v_cmp_gt_i64_e32 vcc, s[8:9], v[5:6]
	s_and_saveexec_b64 s[0:1], vcc
	s_cbranch_execz .LBB92_64
; %bb.63:                               ;   in Loop: Header=BB92_3 Depth=1
	v_lshl_add_u32 v5, s29, 1, v4
	v_ashrrev_i32_e32 v6, 31, v5
	v_lshlrev_b64 v[5:6], 1, v[5:6]
	v_mov_b32_e32 v3, s13
	v_add_co_u32_e32 v5, vcc, s12, v5
	v_addc_co_u32_e32 v6, vcc, v3, v6, vcc
	global_store_short v[5:6], v2, off
.LBB92_64:                              ;   in Loop: Header=BB92_3 Depth=1
	s_or_b64 exec, exec, s[0:1]
	v_add_u32_e32 v3, 3, v25
	v_cmp_gt_i32_e32 vcc, s16, v3
	s_and_b64 exec, exec, vcc
	s_cbranch_execz .LBB92_2
; %bb.65:                               ;   in Loop: Header=BB92_3 Depth=1
	v_sub_u32_e32 v5, v3, v24
	v_ashrrev_i32_e32 v6, 31, v5
	v_cmp_gt_i64_e32 vcc, s[8:9], v[5:6]
	s_and_b64 exec, exec, vcc
	s_cbranch_execz .LBB92_2
; %bb.66:                               ;   in Loop: Header=BB92_3 Depth=1
	v_mad_u64_u32 v[3:4], s[0:1], s29, 3, v[4:5]
	v_mov_b32_e32 v5, s13
	v_ashrrev_i32_e32 v4, 31, v3
	v_lshlrev_b64 v[3:4], 1, v[3:4]
	v_add_co_u32_e32 v3, vcc, s12, v3
	v_addc_co_u32_e32 v4, vcc, v5, v4, vcc
	global_store_short v[3:4], v2, off
	s_branch .LBB92_2
.LBB92_67:
	s_endpgm
	.section	.rodata,"a",@progbits
	.p2align	6, 0x0
	.amdhsa_kernel _ZN2at6native16triu_tril_kernelIN3c104HalfEiLb1ELi4ELb1EEEvNS_4cuda6detail10TensorInfoIT_T0_EENS6_IKS7_S8_EEllS8_
		.amdhsa_group_segment_fixed_size 0
		.amdhsa_private_segment_fixed_size 0
		.amdhsa_kernarg_size 712
		.amdhsa_user_sgpr_count 6
		.amdhsa_user_sgpr_private_segment_buffer 1
		.amdhsa_user_sgpr_dispatch_ptr 0
		.amdhsa_user_sgpr_queue_ptr 0
		.amdhsa_user_sgpr_kernarg_segment_ptr 1
		.amdhsa_user_sgpr_dispatch_id 0
		.amdhsa_user_sgpr_flat_scratch_init 0
		.amdhsa_user_sgpr_private_segment_size 0
		.amdhsa_uses_dynamic_stack 0
		.amdhsa_system_sgpr_private_segment_wavefront_offset 0
		.amdhsa_system_sgpr_workgroup_id_x 1
		.amdhsa_system_sgpr_workgroup_id_y 0
		.amdhsa_system_sgpr_workgroup_id_z 0
		.amdhsa_system_sgpr_workgroup_info 0
		.amdhsa_system_vgpr_workitem_id 0
		.amdhsa_next_free_vgpr 28
		.amdhsa_next_free_sgpr 68
		.amdhsa_reserve_vcc 1
		.amdhsa_reserve_flat_scratch 0
		.amdhsa_float_round_mode_32 0
		.amdhsa_float_round_mode_16_64 0
		.amdhsa_float_denorm_mode_32 3
		.amdhsa_float_denorm_mode_16_64 3
		.amdhsa_dx10_clamp 1
		.amdhsa_ieee_mode 1
		.amdhsa_fp16_overflow 0
		.amdhsa_exception_fp_ieee_invalid_op 0
		.amdhsa_exception_fp_denorm_src 0
		.amdhsa_exception_fp_ieee_div_zero 0
		.amdhsa_exception_fp_ieee_overflow 0
		.amdhsa_exception_fp_ieee_underflow 0
		.amdhsa_exception_fp_ieee_inexact 0
		.amdhsa_exception_int_div_zero 0
	.end_amdhsa_kernel
	.section	.text._ZN2at6native16triu_tril_kernelIN3c104HalfEiLb1ELi4ELb1EEEvNS_4cuda6detail10TensorInfoIT_T0_EENS6_IKS7_S8_EEllS8_,"axG",@progbits,_ZN2at6native16triu_tril_kernelIN3c104HalfEiLb1ELi4ELb1EEEvNS_4cuda6detail10TensorInfoIT_T0_EENS6_IKS7_S8_EEllS8_,comdat
.Lfunc_end92:
	.size	_ZN2at6native16triu_tril_kernelIN3c104HalfEiLb1ELi4ELb1EEEvNS_4cuda6detail10TensorInfoIT_T0_EENS6_IKS7_S8_EEllS8_, .Lfunc_end92-_ZN2at6native16triu_tril_kernelIN3c104HalfEiLb1ELi4ELb1EEEvNS_4cuda6detail10TensorInfoIT_T0_EENS6_IKS7_S8_EEllS8_
                                        ; -- End function
	.set _ZN2at6native16triu_tril_kernelIN3c104HalfEiLb1ELi4ELb1EEEvNS_4cuda6detail10TensorInfoIT_T0_EENS6_IKS7_S8_EEllS8_.num_vgpr, 28
	.set _ZN2at6native16triu_tril_kernelIN3c104HalfEiLb1ELi4ELb1EEEvNS_4cuda6detail10TensorInfoIT_T0_EENS6_IKS7_S8_EEllS8_.num_agpr, 0
	.set _ZN2at6native16triu_tril_kernelIN3c104HalfEiLb1ELi4ELb1EEEvNS_4cuda6detail10TensorInfoIT_T0_EENS6_IKS7_S8_EEllS8_.numbered_sgpr, 68
	.set _ZN2at6native16triu_tril_kernelIN3c104HalfEiLb1ELi4ELb1EEEvNS_4cuda6detail10TensorInfoIT_T0_EENS6_IKS7_S8_EEllS8_.num_named_barrier, 0
	.set _ZN2at6native16triu_tril_kernelIN3c104HalfEiLb1ELi4ELb1EEEvNS_4cuda6detail10TensorInfoIT_T0_EENS6_IKS7_S8_EEllS8_.private_seg_size, 0
	.set _ZN2at6native16triu_tril_kernelIN3c104HalfEiLb1ELi4ELb1EEEvNS_4cuda6detail10TensorInfoIT_T0_EENS6_IKS7_S8_EEllS8_.uses_vcc, 1
	.set _ZN2at6native16triu_tril_kernelIN3c104HalfEiLb1ELi4ELb1EEEvNS_4cuda6detail10TensorInfoIT_T0_EENS6_IKS7_S8_EEllS8_.uses_flat_scratch, 0
	.set _ZN2at6native16triu_tril_kernelIN3c104HalfEiLb1ELi4ELb1EEEvNS_4cuda6detail10TensorInfoIT_T0_EENS6_IKS7_S8_EEllS8_.has_dyn_sized_stack, 0
	.set _ZN2at6native16triu_tril_kernelIN3c104HalfEiLb1ELi4ELb1EEEvNS_4cuda6detail10TensorInfoIT_T0_EENS6_IKS7_S8_EEllS8_.has_recursion, 0
	.set _ZN2at6native16triu_tril_kernelIN3c104HalfEiLb1ELi4ELb1EEEvNS_4cuda6detail10TensorInfoIT_T0_EENS6_IKS7_S8_EEllS8_.has_indirect_call, 0
	.section	.AMDGPU.csdata,"",@progbits
; Kernel info:
; codeLenInByte = 9476
; TotalNumSgprs: 72
; NumVgprs: 28
; ScratchSize: 0
; MemoryBound: 0
; FloatMode: 240
; IeeeMode: 1
; LDSByteSize: 0 bytes/workgroup (compile time only)
; SGPRBlocks: 8
; VGPRBlocks: 6
; NumSGPRsForWavesPerEU: 72
; NumVGPRsForWavesPerEU: 28
; Occupancy: 9
; WaveLimiterHint : 0
; COMPUTE_PGM_RSRC2:SCRATCH_EN: 0
; COMPUTE_PGM_RSRC2:USER_SGPR: 6
; COMPUTE_PGM_RSRC2:TRAP_HANDLER: 0
; COMPUTE_PGM_RSRC2:TGID_X_EN: 1
; COMPUTE_PGM_RSRC2:TGID_Y_EN: 0
; COMPUTE_PGM_RSRC2:TGID_Z_EN: 0
; COMPUTE_PGM_RSRC2:TIDIG_COMP_CNT: 0
	.section	.text._ZN2at6native16triu_tril_kernelIN3c104HalfEiLb1ELi4ELb0EEEvNS_4cuda6detail10TensorInfoIT_T0_EENS6_IKS7_S8_EEllS8_,"axG",@progbits,_ZN2at6native16triu_tril_kernelIN3c104HalfEiLb1ELi4ELb0EEEvNS_4cuda6detail10TensorInfoIT_T0_EENS6_IKS7_S8_EEllS8_,comdat
	.protected	_ZN2at6native16triu_tril_kernelIN3c104HalfEiLb1ELi4ELb0EEEvNS_4cuda6detail10TensorInfoIT_T0_EENS6_IKS7_S8_EEllS8_ ; -- Begin function _ZN2at6native16triu_tril_kernelIN3c104HalfEiLb1ELi4ELb0EEEvNS_4cuda6detail10TensorInfoIT_T0_EENS6_IKS7_S8_EEllS8_
	.globl	_ZN2at6native16triu_tril_kernelIN3c104HalfEiLb1ELi4ELb0EEEvNS_4cuda6detail10TensorInfoIT_T0_EENS6_IKS7_S8_EEllS8_
	.p2align	8
	.type	_ZN2at6native16triu_tril_kernelIN3c104HalfEiLb1ELi4ELb0EEEvNS_4cuda6detail10TensorInfoIT_T0_EENS6_IKS7_S8_EEllS8_,@function
_ZN2at6native16triu_tril_kernelIN3c104HalfEiLb1ELi4ELb0EEEvNS_4cuda6detail10TensorInfoIT_T0_EENS6_IKS7_S8_EEllS8_: ; @_ZN2at6native16triu_tril_kernelIN3c104HalfEiLb1ELi4ELb0EEEvNS_4cuda6detail10TensorInfoIT_T0_EENS6_IKS7_S8_EEllS8_
; %bb.0:
	s_load_dword s2, s[4:5], 0x1d4
	s_load_dwordx4 s[8:11], s[4:5], 0x1b0
	s_add_u32 s0, s4, 0x1c8
	v_mov_b32_e32 v2, 0
	s_addc_u32 s1, s5, 0
	s_waitcnt lgkmcnt(0)
	s_and_b32 s12, s2, 0xffff
	v_mov_b32_e32 v1, v2
	v_mov_b32_e32 v3, s6
	v_mad_u64_u32 v[0:1], s[2:3], s12, v3, v[0:1]
	v_lshlrev_b64 v[0:1], 2, v[0:1]
	v_cmp_gt_i64_e32 vcc, s[10:11], v[0:1]
	s_and_saveexec_b64 s[2:3], vcc
	s_cbranch_execz .LBB93_54
; %bb.1:
	s_load_dword s33, s[4:5], 0x1c0
	s_load_dwordx2 s[2:3], s[4:5], 0xd8
	s_load_dwordx2 s[18:19], s[4:5], 0x0
	s_load_dword s20, s[4:5], 0x1a8
	s_load_dword s13, s[0:1], 0x0
	s_add_u32 s46, s4, 0xd8
	s_addc_u32 s47, s5, 0
	s_waitcnt lgkmcnt(0)
	s_ashr_i32 s48, s33, 31
	s_ashr_i32 s21, s20, 31
	s_lshl_b64 s[0:1], s[20:21], 2
	s_add_u32 s16, s46, s0
	s_addc_u32 s17, s47, s1
	s_load_dwordx2 s[6:7], s[16:17], 0x0
	s_load_dwordx2 s[14:15], s[16:17], 0x64
	s_mul_i32 s22, s13, s12
	v_cmp_gt_i64_e64 s[12:13], s[20:21], 2
	s_mov_b32 s21, 0
	s_waitcnt lgkmcnt(0)
	s_ashr_i32 s49, s6, 31
	s_add_u32 s0, s4, s0
	s_addc_u32 s1, s5, s1
	s_load_dwordx2 s[16:17], s[0:1], 0x64
	s_add_i32 s50, s20, -3
	s_lshl_b32 s51, s22, 2
	s_and_b32 s52, s20, 3
	s_cmp_lg_u32 s52, 2
	s_cselect_b64 s[22:23], -1, 0
	s_cmp_gt_u32 s50, 2
	s_cselect_b64 s[24:25], -1, 0
	s_ashr_i32 s27, s15, 31
	s_mov_b32 s26, s15
	s_add_i32 s15, s15, s15
	s_waitcnt lgkmcnt(0)
	s_ashr_i32 s29, s17, 31
	s_mov_b32 s28, s17
	s_add_i32 s17, s17, s17
	s_mov_b64 s[30:31], 0
	s_ashr_i32 s34, s48, 31
	s_branch .LBB93_3
.LBB93_2:                               ;   in Loop: Header=BB93_3 Depth=1
	s_or_b64 exec, exec, s[0:1]
	v_add_co_u32_e32 v0, vcc, s51, v0
	v_addc_co_u32_e32 v1, vcc, 0, v1, vcc
	v_cmp_le_i64_e32 vcc, s[10:11], v[0:1]
	s_or_b64 s[30:31], vcc, s[30:31]
	s_andn2_b64 exec, exec, s[30:31]
	s_cbranch_execz .LBB93_54
.LBB93_3:                               ; =>This Loop Header: Depth=1
                                        ;     Child Loop BB93_13 Depth 2
                                        ;     Child Loop BB93_21 Depth 2
	v_or_b32_e32 v3, s48, v1
	v_cmp_ne_u64_e32 vcc, 0, v[2:3]
                                        ; implicit-def: $vgpr4_vgpr5
	s_and_saveexec_b64 s[0:1], vcc
	s_xor_b64 s[36:37], exec, s[0:1]
	s_cbranch_execz .LBB93_5
; %bb.4:                                ;   in Loop: Header=BB93_3 Depth=1
	s_add_u32 s0, s33, s34
	s_mov_b32 s35, s34
	s_addc_u32 s1, s48, s34
	s_xor_b64 s[38:39], s[0:1], s[34:35]
	v_cvt_f32_u32_e32 v3, s38
	v_cvt_f32_u32_e32 v4, s39
	s_sub_u32 s20, 0, s38
	s_subb_u32 s35, 0, s39
	v_ashrrev_i32_e32 v7, 31, v1
	v_mac_f32_e32 v3, 0x4f800000, v4
	v_rcp_f32_e32 v3, v3
	v_mul_f32_e32 v3, 0x5f7ffffc, v3
	v_mul_f32_e32 v4, 0x2f800000, v3
	v_trunc_f32_e32 v4, v4
	v_mac_f32_e32 v3, 0xcf800000, v4
	v_cvt_u32_f32_e32 v4, v4
	v_cvt_u32_f32_e32 v3, v3
	v_readfirstlane_b32 s40, v4
	v_readfirstlane_b32 s0, v3
	s_mul_i32 s1, s20, s40
	s_mul_hi_u32 s42, s20, s0
	s_mul_i32 s41, s35, s0
	s_add_i32 s1, s42, s1
	s_add_i32 s1, s1, s41
	s_mul_i32 s43, s20, s0
	s_mul_i32 s42, s0, s1
	s_mul_hi_u32 s44, s0, s43
	s_mul_hi_u32 s41, s0, s1
	s_add_u32 s42, s44, s42
	s_addc_u32 s41, 0, s41
	s_mul_hi_u32 s45, s40, s43
	s_mul_i32 s43, s40, s43
	s_add_u32 s42, s42, s43
	s_mul_hi_u32 s44, s40, s1
	s_addc_u32 s41, s41, s45
	s_addc_u32 s42, s44, 0
	s_mul_i32 s1, s40, s1
	s_add_u32 s1, s41, s1
	s_addc_u32 s41, 0, s42
	s_add_u32 s42, s0, s1
	s_cselect_b64 s[0:1], -1, 0
	s_cmp_lg_u64 s[0:1], 0
	s_addc_u32 s40, s40, s41
	s_mul_i32 s0, s20, s40
	s_mul_hi_u32 s1, s20, s42
	s_add_i32 s0, s1, s0
	s_mul_i32 s35, s35, s42
	s_add_i32 s0, s0, s35
	s_mul_i32 s20, s20, s42
	s_mul_hi_u32 s35, s40, s20
	s_mul_i32 s41, s40, s20
	s_mul_i32 s44, s42, s0
	s_mul_hi_u32 s20, s42, s20
	s_mul_hi_u32 s43, s42, s0
	s_add_u32 s20, s20, s44
	s_addc_u32 s43, 0, s43
	s_add_u32 s20, s20, s41
	s_mul_hi_u32 s1, s40, s0
	s_addc_u32 s20, s43, s35
	s_addc_u32 s1, s1, 0
	s_mul_i32 s0, s40, s0
	s_add_u32 s0, s20, s0
	s_addc_u32 s20, 0, s1
	s_add_u32 s35, s42, s0
	s_cselect_b64 s[0:1], -1, 0
	s_cmp_lg_u64 s[0:1], 0
	v_add_co_u32_e32 v3, vcc, v0, v7
	s_addc_u32 s20, s40, s20
	v_xor_b32_e32 v8, v3, v7
	v_mad_u64_u32 v[3:4], s[0:1], v8, s20, 0
	v_mul_hi_u32 v6, v8, s35
	v_addc_co_u32_e32 v5, vcc, v1, v7, vcc
	v_xor_b32_e32 v9, v5, v7
	v_add_co_u32_e32 v10, vcc, v6, v3
	v_addc_co_u32_e32 v11, vcc, 0, v4, vcc
	v_mad_u64_u32 v[3:4], s[0:1], v9, s35, 0
	v_mad_u64_u32 v[5:6], s[0:1], v9, s20, 0
	v_add_co_u32_e32 v3, vcc, v10, v3
	v_addc_co_u32_e32 v3, vcc, v11, v4, vcc
	v_addc_co_u32_e32 v4, vcc, 0, v6, vcc
	v_add_co_u32_e32 v5, vcc, v3, v5
	v_addc_co_u32_e32 v6, vcc, 0, v4, vcc
	v_mul_lo_u32 v10, s39, v5
	v_mul_lo_u32 v11, s38, v6
	v_mad_u64_u32 v[3:4], s[0:1], s38, v5, 0
	v_add3_u32 v4, v4, v11, v10
	v_sub_u32_e32 v10, v9, v4
	v_mov_b32_e32 v11, s39
	v_sub_co_u32_e32 v3, vcc, v8, v3
	v_subb_co_u32_e64 v8, s[0:1], v10, v11, vcc
	v_subrev_co_u32_e64 v10, s[0:1], s38, v3
	v_subbrev_co_u32_e64 v8, s[0:1], 0, v8, s[0:1]
	v_cmp_le_u32_e64 s[0:1], s39, v8
	v_cndmask_b32_e64 v11, 0, -1, s[0:1]
	v_cmp_le_u32_e64 s[0:1], s38, v10
	v_cndmask_b32_e64 v10, 0, -1, s[0:1]
	v_cmp_eq_u32_e64 s[0:1], s39, v8
	v_cndmask_b32_e64 v8, v11, v10, s[0:1]
	v_add_co_u32_e64 v10, s[0:1], 2, v5
	v_subb_co_u32_e32 v4, vcc, v9, v4, vcc
	v_addc_co_u32_e64 v11, s[0:1], 0, v6, s[0:1]
	v_cmp_le_u32_e32 vcc, s39, v4
	v_add_co_u32_e64 v12, s[0:1], 1, v5
	v_cndmask_b32_e64 v9, 0, -1, vcc
	v_cmp_le_u32_e32 vcc, s38, v3
	v_addc_co_u32_e64 v13, s[0:1], 0, v6, s[0:1]
	v_cndmask_b32_e64 v3, 0, -1, vcc
	v_cmp_eq_u32_e32 vcc, s39, v4
	v_cmp_ne_u32_e64 s[0:1], 0, v8
	v_cndmask_b32_e32 v3, v9, v3, vcc
	v_cmp_ne_u32_e32 vcc, 0, v3
	v_cndmask_b32_e64 v4, v12, v10, s[0:1]
	v_cndmask_b32_e64 v8, v13, v11, s[0:1]
	v_cndmask_b32_e32 v4, v5, v4, vcc
	v_xor_b32_e32 v5, s34, v7
	v_cndmask_b32_e32 v3, v6, v8, vcc
	v_xor_b32_e32 v4, v4, v5
	v_xor_b32_e32 v3, v3, v5
	v_sub_co_u32_e32 v4, vcc, v4, v5
	v_subb_co_u32_e32 v5, vcc, v3, v5, vcc
.LBB93_5:                               ;   in Loop: Header=BB93_3 Depth=1
	s_andn2_saveexec_b64 s[0:1], s[36:37]
	s_cbranch_execz .LBB93_7
; %bb.6:                                ;   in Loop: Header=BB93_3 Depth=1
	v_cvt_f32_u32_e32 v3, s33
	s_sub_i32 s20, 0, s33
	v_rcp_iflag_f32_e32 v3, v3
	v_mul_f32_e32 v3, 0x4f7ffffe, v3
	v_cvt_u32_f32_e32 v3, v3
	v_mul_lo_u32 v4, s20, v3
	v_mul_hi_u32 v4, v3, v4
	v_add_u32_e32 v3, v3, v4
	v_mul_hi_u32 v3, v0, v3
	v_mul_lo_u32 v4, v3, s33
	v_add_u32_e32 v5, 1, v3
	v_sub_u32_e32 v4, v0, v4
	v_subrev_u32_e32 v6, s33, v4
	v_cmp_le_u32_e32 vcc, s33, v4
	v_cndmask_b32_e32 v4, v4, v6, vcc
	v_cndmask_b32_e32 v3, v3, v5, vcc
	v_add_u32_e32 v5, 1, v3
	v_cmp_le_u32_e32 vcc, s33, v4
	v_cndmask_b32_e32 v4, v3, v5, vcc
	v_mov_b32_e32 v5, v2
.LBB93_7:                               ;   in Loop: Header=BB93_3 Depth=1
	s_or_b64 exec, exec, s[0:1]
	v_or_b32_e32 v3, s49, v5
	v_cmp_ne_u64_e32 vcc, 0, v[2:3]
                                        ; implicit-def: $vgpr8_vgpr9
	s_and_saveexec_b64 s[0:1], vcc
	s_xor_b64 s[36:37], exec, s[0:1]
	s_cbranch_execz .LBB93_9
; %bb.8:                                ;   in Loop: Header=BB93_3 Depth=1
	s_ashr_i32 s38, s49, 31
	s_add_u32 s0, s6, s38
	s_mov_b32 s39, s38
	s_addc_u32 s1, s49, s38
	s_xor_b64 s[40:41], s[0:1], s[38:39]
	v_cvt_f32_u32_e32 v3, s40
	v_cvt_f32_u32_e32 v6, s41
	s_sub_u32 s20, 0, s40
	s_subb_u32 s35, 0, s41
	v_mac_f32_e32 v3, 0x4f800000, v6
	v_rcp_f32_e32 v3, v3
	v_mul_f32_e32 v3, 0x5f7ffffc, v3
	v_mul_f32_e32 v6, 0x2f800000, v3
	v_trunc_f32_e32 v6, v6
	v_mac_f32_e32 v3, 0xcf800000, v6
	v_cvt_u32_f32_e32 v6, v6
	v_cvt_u32_f32_e32 v3, v3
	v_readfirstlane_b32 s39, v6
	v_readfirstlane_b32 s0, v3
	s_mul_i32 s1, s20, s39
	s_mul_hi_u32 s43, s20, s0
	s_mul_i32 s42, s35, s0
	s_add_i32 s1, s43, s1
	s_add_i32 s1, s1, s42
	s_mul_i32 s44, s20, s0
	s_mul_i32 s43, s0, s1
	s_mul_hi_u32 s45, s0, s44
	s_mul_hi_u32 s42, s0, s1
	s_add_u32 s43, s45, s43
	s_addc_u32 s42, 0, s42
	s_mul_hi_u32 s53, s39, s44
	s_mul_i32 s44, s39, s44
	s_add_u32 s43, s43, s44
	s_mul_hi_u32 s45, s39, s1
	s_addc_u32 s42, s42, s53
	s_addc_u32 s43, s45, 0
	s_mul_i32 s1, s39, s1
	s_add_u32 s1, s42, s1
	s_addc_u32 s42, 0, s43
	s_add_u32 s43, s0, s1
	s_cselect_b64 s[0:1], -1, 0
	s_cmp_lg_u64 s[0:1], 0
	s_addc_u32 s39, s39, s42
	s_mul_i32 s0, s20, s39
	s_mul_hi_u32 s1, s20, s43
	s_add_i32 s0, s1, s0
	s_mul_i32 s35, s35, s43
	s_add_i32 s0, s0, s35
	s_mul_i32 s20, s20, s43
	s_mul_hi_u32 s35, s39, s20
	s_mul_i32 s42, s39, s20
	s_mul_i32 s45, s43, s0
	s_mul_hi_u32 s20, s43, s20
	s_mul_hi_u32 s44, s43, s0
	s_add_u32 s20, s20, s45
	s_addc_u32 s44, 0, s44
	s_add_u32 s20, s20, s42
	s_mul_hi_u32 s1, s39, s0
	s_addc_u32 s20, s44, s35
	s_addc_u32 s1, s1, 0
	s_mul_i32 s0, s39, s0
	s_add_u32 s0, s20, s0
	s_addc_u32 s20, 0, s1
	s_add_u32 s35, s43, s0
	s_cselect_b64 s[0:1], -1, 0
	v_ashrrev_i32_e32 v3, 31, v5
	s_cmp_lg_u64 s[0:1], 0
	v_add_co_u32_e32 v6, vcc, v4, v3
	s_addc_u32 s20, s39, s20
	v_xor_b32_e32 v9, v6, v3
	v_addc_co_u32_e32 v7, vcc, v5, v3, vcc
	v_mad_u64_u32 v[5:6], s[0:1], v9, s20, 0
	v_mul_hi_u32 v8, v9, s35
	v_xor_b32_e32 v10, v7, v3
	v_xor_b32_e32 v3, s38, v3
	v_add_co_u32_e32 v11, vcc, v8, v5
	v_addc_co_u32_e32 v12, vcc, 0, v6, vcc
	v_mad_u64_u32 v[5:6], s[0:1], v10, s35, 0
	v_mad_u64_u32 v[7:8], s[0:1], v10, s20, 0
	v_add_co_u32_e32 v5, vcc, v11, v5
	v_addc_co_u32_e32 v5, vcc, v12, v6, vcc
	v_addc_co_u32_e32 v6, vcc, 0, v8, vcc
	v_add_co_u32_e32 v7, vcc, v5, v7
	v_addc_co_u32_e32 v8, vcc, 0, v6, vcc
	v_mul_lo_u32 v11, s41, v7
	v_mul_lo_u32 v12, s40, v8
	v_mad_u64_u32 v[5:6], s[0:1], s40, v7, 0
	v_add3_u32 v6, v6, v12, v11
	v_sub_u32_e32 v11, v10, v6
	v_mov_b32_e32 v12, s41
	v_sub_co_u32_e32 v5, vcc, v9, v5
	v_subb_co_u32_e64 v9, s[0:1], v11, v12, vcc
	v_subrev_co_u32_e64 v11, s[0:1], s40, v5
	v_subbrev_co_u32_e64 v9, s[0:1], 0, v9, s[0:1]
	v_cmp_le_u32_e64 s[0:1], s41, v9
	v_cndmask_b32_e64 v12, 0, -1, s[0:1]
	v_cmp_le_u32_e64 s[0:1], s40, v11
	v_cndmask_b32_e64 v11, 0, -1, s[0:1]
	v_cmp_eq_u32_e64 s[0:1], s41, v9
	v_cndmask_b32_e64 v9, v12, v11, s[0:1]
	v_add_co_u32_e64 v11, s[0:1], 2, v7
	v_subb_co_u32_e32 v6, vcc, v10, v6, vcc
	v_addc_co_u32_e64 v12, s[0:1], 0, v8, s[0:1]
	v_cmp_le_u32_e32 vcc, s41, v6
	v_add_co_u32_e64 v13, s[0:1], 1, v7
	v_cndmask_b32_e64 v10, 0, -1, vcc
	v_cmp_le_u32_e32 vcc, s40, v5
	v_addc_co_u32_e64 v14, s[0:1], 0, v8, s[0:1]
	v_cndmask_b32_e64 v5, 0, -1, vcc
	v_cmp_eq_u32_e32 vcc, s41, v6
	v_cmp_ne_u32_e64 s[0:1], 0, v9
	v_cndmask_b32_e32 v5, v10, v5, vcc
	v_cmp_ne_u32_e32 vcc, 0, v5
	v_cndmask_b32_e64 v6, v13, v11, s[0:1]
	v_cndmask_b32_e64 v9, v14, v12, s[0:1]
	v_cndmask_b32_e32 v6, v7, v6, vcc
	v_cndmask_b32_e32 v5, v8, v9, vcc
	v_xor_b32_e32 v6, v6, v3
	v_xor_b32_e32 v5, v5, v3
	v_sub_co_u32_e32 v8, vcc, v6, v3
	v_subb_co_u32_e32 v9, vcc, v5, v3, vcc
.LBB93_9:                               ;   in Loop: Header=BB93_3 Depth=1
	s_andn2_saveexec_b64 s[0:1], s[36:37]
	s_cbranch_execz .LBB93_11
; %bb.10:                               ;   in Loop: Header=BB93_3 Depth=1
	v_cvt_f32_u32_e32 v3, s6
	s_sub_i32 s20, 0, s6
	v_mov_b32_e32 v9, v2
	v_rcp_iflag_f32_e32 v3, v3
	v_mul_f32_e32 v3, 0x4f7ffffe, v3
	v_cvt_u32_f32_e32 v3, v3
	v_mul_lo_u32 v5, s20, v3
	v_mul_hi_u32 v5, v3, v5
	v_add_u32_e32 v3, v3, v5
	v_mul_hi_u32 v3, v4, v3
	v_mul_lo_u32 v5, v3, s6
	v_add_u32_e32 v6, 1, v3
	v_sub_u32_e32 v5, v4, v5
	v_subrev_u32_e32 v7, s6, v5
	v_cmp_le_u32_e32 vcc, s6, v5
	v_cndmask_b32_e32 v5, v5, v7, vcc
	v_cndmask_b32_e32 v3, v3, v6, vcc
	v_add_u32_e32 v6, 1, v3
	v_cmp_le_u32_e32 vcc, s6, v5
	v_cndmask_b32_e32 v8, v3, v6, vcc
.LBB93_11:                              ;   in Loop: Header=BB93_3 Depth=1
	s_or_b64 exec, exec, s[0:1]
	v_mad_u64_u32 v[5:6], s[0:1], v4, s33, 0
	v_mad_u64_u32 v[6:7], s[0:1], v8, s6, 0
	v_sub_co_u32_e32 v18, vcc, v0, v5
	v_mul_lo_u32 v3, s26, v18
	v_sub_co_u32_e32 v19, vcc, v4, v6
	v_mul_lo_u32 v4, s28, v18
	s_andn2_b64 vcc, exec, s[12:13]
	v_mad_u64_u32 v[6:7], s[0:1], s14, v19, v[3:4]
	v_mad_u64_u32 v[4:5], s[0:1], s16, v19, v[4:5]
	s_cbranch_vccnz .LBB93_39
; %bb.12:                               ;   in Loop: Header=BB93_3 Depth=1
	s_mov_b32 s35, 1
	s_andn2_b64 vcc, exec, s[22:23]
	s_mov_b32 s20, s50
	s_mov_b32 s0, s50
	s_cbranch_vccnz .LBB93_20
.LBB93_13:                              ;   Parent Loop BB93_3 Depth=1
                                        ; =>  This Inner Loop Header: Depth=2
	s_lshl_b64 s[36:37], s[20:21], 2
	s_add_u32 s38, s46, s36
	s_addc_u32 s39, s47, s37
	s_load_dword s53, s[38:39], 0x8
                                        ; implicit-def: $vgpr10_vgpr11
	s_waitcnt lgkmcnt(0)
	s_ashr_i32 s0, s53, 31
	v_or_b32_e32 v3, s0, v9
	v_cmp_ne_u64_e32 vcc, 0, v[2:3]
	s_and_saveexec_b64 s[40:41], vcc
	s_xor_b64 s[40:41], exec, s[40:41]
	s_cbranch_execz .LBB93_15
; %bb.14:                               ;   in Loop: Header=BB93_13 Depth=2
	s_ashr_i32 s42, s0, 31
	s_add_u32 s44, s53, s42
	s_mov_b32 s43, s42
	s_addc_u32 s45, s0, s42
	s_xor_b64 s[44:45], s[44:45], s[42:43]
	v_cvt_f32_u32_e32 v3, s44
	v_cvt_f32_u32_e32 v5, s45
	s_sub_u32 s43, 0, s44
	s_subb_u32 s54, 0, s45
	v_mac_f32_e32 v3, 0x4f800000, v5
	v_rcp_f32_e32 v3, v3
	v_mul_f32_e32 v3, 0x5f7ffffc, v3
	v_mul_f32_e32 v5, 0x2f800000, v3
	v_trunc_f32_e32 v5, v5
	v_mac_f32_e32 v3, 0xcf800000, v5
	v_cvt_u32_f32_e32 v5, v5
	v_cvt_u32_f32_e32 v3, v3
	v_readfirstlane_b32 s55, v5
	v_readfirstlane_b32 s0, v3
	s_mul_i32 s1, s43, s55
	s_mul_hi_u32 s57, s43, s0
	s_mul_i32 s56, s54, s0
	s_add_i32 s1, s57, s1
	s_add_i32 s1, s1, s56
	s_mul_i32 s58, s43, s0
	s_mul_i32 s57, s0, s1
	s_mul_hi_u32 s59, s0, s58
	s_mul_hi_u32 s56, s0, s1
	s_add_u32 s57, s59, s57
	s_addc_u32 s56, 0, s56
	s_mul_hi_u32 s60, s55, s58
	s_mul_i32 s58, s55, s58
	s_add_u32 s57, s57, s58
	s_mul_hi_u32 s59, s55, s1
	s_addc_u32 s56, s56, s60
	s_addc_u32 s57, s59, 0
	s_mul_i32 s1, s55, s1
	s_add_u32 s1, s56, s1
	s_addc_u32 s56, 0, s57
	s_add_u32 s57, s0, s1
	s_cselect_b64 s[0:1], -1, 0
	s_cmp_lg_u64 s[0:1], 0
	s_addc_u32 s55, s55, s56
	s_mul_i32 s0, s43, s55
	s_mul_hi_u32 s1, s43, s57
	s_add_i32 s0, s1, s0
	s_mul_i32 s54, s54, s57
	s_add_i32 s0, s0, s54
	s_mul_i32 s43, s43, s57
	s_mul_hi_u32 s54, s55, s43
	s_mul_i32 s56, s55, s43
	s_mul_i32 s59, s57, s0
	s_mul_hi_u32 s43, s57, s43
	s_mul_hi_u32 s58, s57, s0
	s_add_u32 s43, s43, s59
	s_addc_u32 s58, 0, s58
	s_add_u32 s43, s43, s56
	s_mul_hi_u32 s1, s55, s0
	s_addc_u32 s43, s58, s54
	s_addc_u32 s1, s1, 0
	s_mul_i32 s0, s55, s0
	s_add_u32 s0, s43, s0
	s_addc_u32 s43, 0, s1
	s_add_u32 s54, s57, s0
	s_cselect_b64 s[0:1], -1, 0
	v_ashrrev_i32_e32 v3, 31, v9
	s_cmp_lg_u64 s[0:1], 0
	v_add_co_u32_e32 v5, vcc, v8, v3
	s_addc_u32 s43, s55, s43
	v_xor_b32_e32 v5, v5, v3
	v_addc_co_u32_e32 v7, vcc, v9, v3, vcc
	v_mad_u64_u32 v[9:10], s[0:1], v5, s43, 0
	v_mul_hi_u32 v11, v5, s54
	v_xor_b32_e32 v7, v7, v3
	v_xor_b32_e32 v3, s42, v3
	v_add_co_u32_e32 v13, vcc, v11, v9
	v_addc_co_u32_e32 v14, vcc, 0, v10, vcc
	v_mad_u64_u32 v[9:10], s[0:1], v7, s54, 0
	v_mad_u64_u32 v[11:12], s[0:1], v7, s43, 0
	v_add_co_u32_e32 v9, vcc, v13, v9
	v_addc_co_u32_e32 v9, vcc, v14, v10, vcc
	v_addc_co_u32_e32 v10, vcc, 0, v12, vcc
	v_add_co_u32_e32 v11, vcc, v9, v11
	v_addc_co_u32_e32 v12, vcc, 0, v10, vcc
	v_mul_lo_u32 v13, s45, v11
	v_mul_lo_u32 v14, s44, v12
	v_mad_u64_u32 v[9:10], s[0:1], s44, v11, 0
	v_add3_u32 v10, v10, v14, v13
	v_sub_u32_e32 v13, v7, v10
	v_mov_b32_e32 v14, s45
	v_sub_co_u32_e32 v5, vcc, v5, v9
	v_subb_co_u32_e64 v9, s[0:1], v13, v14, vcc
	v_subrev_co_u32_e64 v13, s[0:1], s44, v5
	v_subbrev_co_u32_e64 v9, s[0:1], 0, v9, s[0:1]
	v_cmp_le_u32_e64 s[0:1], s45, v9
	v_cndmask_b32_e64 v14, 0, -1, s[0:1]
	v_cmp_le_u32_e64 s[0:1], s44, v13
	v_cndmask_b32_e64 v13, 0, -1, s[0:1]
	v_cmp_eq_u32_e64 s[0:1], s45, v9
	v_cndmask_b32_e64 v9, v14, v13, s[0:1]
	v_add_co_u32_e64 v13, s[0:1], 2, v11
	v_subb_co_u32_e32 v7, vcc, v7, v10, vcc
	v_addc_co_u32_e64 v14, s[0:1], 0, v12, s[0:1]
	v_cmp_le_u32_e32 vcc, s45, v7
	v_add_co_u32_e64 v15, s[0:1], 1, v11
	v_cndmask_b32_e64 v10, 0, -1, vcc
	v_cmp_le_u32_e32 vcc, s44, v5
	v_addc_co_u32_e64 v16, s[0:1], 0, v12, s[0:1]
	v_cndmask_b32_e64 v5, 0, -1, vcc
	v_cmp_eq_u32_e32 vcc, s45, v7
	v_cmp_ne_u32_e64 s[0:1], 0, v9
	v_cndmask_b32_e32 v5, v10, v5, vcc
	v_cmp_ne_u32_e32 vcc, 0, v5
	v_cndmask_b32_e64 v7, v15, v13, s[0:1]
	v_cndmask_b32_e64 v9, v16, v14, s[0:1]
	v_cndmask_b32_e32 v7, v11, v7, vcc
	v_cndmask_b32_e32 v5, v12, v9, vcc
	v_xor_b32_e32 v7, v7, v3
	v_xor_b32_e32 v5, v5, v3
	v_sub_co_u32_e32 v10, vcc, v7, v3
	v_subb_co_u32_e32 v11, vcc, v5, v3, vcc
.LBB93_15:                              ;   in Loop: Header=BB93_13 Depth=2
	s_andn2_saveexec_b64 s[0:1], s[40:41]
	s_cbranch_execz .LBB93_17
; %bb.16:                               ;   in Loop: Header=BB93_13 Depth=2
	v_cvt_f32_u32_e32 v3, s53
	s_sub_i32 s40, 0, s53
	v_mov_b32_e32 v11, v2
	v_rcp_iflag_f32_e32 v3, v3
	v_mul_f32_e32 v3, 0x4f7ffffe, v3
	v_cvt_u32_f32_e32 v3, v3
	v_mul_lo_u32 v5, s40, v3
	v_mul_hi_u32 v5, v3, v5
	v_add_u32_e32 v3, v3, v5
	v_mul_hi_u32 v3, v8, v3
	v_mul_lo_u32 v5, v3, s53
	v_add_u32_e32 v7, 1, v3
	v_sub_u32_e32 v5, v8, v5
	v_subrev_u32_e32 v9, s53, v5
	v_cmp_le_u32_e32 vcc, s53, v5
	v_cndmask_b32_e32 v5, v5, v9, vcc
	v_cndmask_b32_e32 v3, v3, v7, vcc
	v_add_u32_e32 v7, 1, v3
	v_cmp_le_u32_e32 vcc, s53, v5
	v_cndmask_b32_e32 v10, v3, v7, vcc
.LBB93_17:                              ;   in Loop: Header=BB93_13 Depth=2
	s_or_b64 exec, exec, s[0:1]
	s_add_u32 s0, s4, s36
	s_addc_u32 s1, s5, s37
	v_mul_lo_u32 v3, v10, s53
	s_load_dword s38, s[38:39], 0x6c
	s_add_i32 s20, s20, -1
	s_load_dword s36, s[0:1], 0x6c
	v_sub_u32_e32 v3, v8, v3
	s_waitcnt lgkmcnt(0)
	v_mad_u64_u32 v[6:7], s[0:1], s38, v3, v[6:7]
	v_mad_u64_u32 v[4:5], s[0:1], s36, v3, v[4:5]
	s_xor_b32 s0, s52, s35
	s_add_i32 s35, s35, 1
	s_cmp_lg_u32 s0, 2
	s_cbranch_scc0 .LBB93_19
; %bb.18:                               ;   in Loop: Header=BB93_13 Depth=2
	v_mov_b32_e32 v8, v10
	v_mov_b32_e32 v9, v11
	s_branch .LBB93_13
.LBB93_19:                              ;   in Loop: Header=BB93_3 Depth=1
	v_mov_b32_e32 v8, v10
	s_mov_b32 s0, s20
	v_mov_b32_e32 v9, v11
.LBB93_20:                              ;   in Loop: Header=BB93_3 Depth=1
	s_and_b64 vcc, exec, s[24:25]
	s_mov_b32 s20, s0
	s_cbranch_vccz .LBB93_39
.LBB93_21:                              ;   Parent Loop BB93_3 Depth=1
                                        ; =>  This Inner Loop Header: Depth=2
	s_lshl_b64 s[36:37], s[20:21], 2
	s_add_u32 s38, s46, s36
	s_addc_u32 s39, s47, s37
	s_load_dword s35, s[38:39], 0x8
                                        ; implicit-def: $vgpr10_vgpr11
	s_waitcnt lgkmcnt(0)
	s_ashr_i32 s0, s35, 31
	v_or_b32_e32 v3, s0, v9
	v_cmp_ne_u64_e32 vcc, 0, v[2:3]
	s_and_saveexec_b64 s[40:41], vcc
	s_xor_b64 s[40:41], exec, s[40:41]
	s_cbranch_execz .LBB93_23
; %bb.22:                               ;   in Loop: Header=BB93_21 Depth=2
	s_ashr_i32 s42, s0, 31
	s_add_u32 s44, s35, s42
	s_mov_b32 s43, s42
	s_addc_u32 s45, s0, s42
	s_xor_b64 s[44:45], s[44:45], s[42:43]
	v_cvt_f32_u32_e32 v3, s44
	v_cvt_f32_u32_e32 v5, s45
	s_sub_u32 s43, 0, s44
	s_subb_u32 s53, 0, s45
	v_mac_f32_e32 v3, 0x4f800000, v5
	v_rcp_f32_e32 v3, v3
	v_mul_f32_e32 v3, 0x5f7ffffc, v3
	v_mul_f32_e32 v5, 0x2f800000, v3
	v_trunc_f32_e32 v5, v5
	v_mac_f32_e32 v3, 0xcf800000, v5
	v_cvt_u32_f32_e32 v5, v5
	v_cvt_u32_f32_e32 v3, v3
	v_readfirstlane_b32 s54, v5
	v_readfirstlane_b32 s0, v3
	s_mul_i32 s1, s43, s54
	s_mul_hi_u32 s56, s43, s0
	s_mul_i32 s55, s53, s0
	s_add_i32 s1, s56, s1
	s_add_i32 s1, s1, s55
	s_mul_i32 s57, s43, s0
	s_mul_i32 s56, s0, s1
	s_mul_hi_u32 s58, s0, s57
	s_mul_hi_u32 s55, s0, s1
	s_add_u32 s56, s58, s56
	s_addc_u32 s55, 0, s55
	s_mul_hi_u32 s59, s54, s57
	s_mul_i32 s57, s54, s57
	s_add_u32 s56, s56, s57
	s_mul_hi_u32 s58, s54, s1
	s_addc_u32 s55, s55, s59
	s_addc_u32 s56, s58, 0
	s_mul_i32 s1, s54, s1
	s_add_u32 s1, s55, s1
	s_addc_u32 s55, 0, s56
	s_add_u32 s56, s0, s1
	s_cselect_b64 s[0:1], -1, 0
	s_cmp_lg_u64 s[0:1], 0
	s_addc_u32 s54, s54, s55
	s_mul_i32 s0, s43, s54
	s_mul_hi_u32 s1, s43, s56
	s_add_i32 s0, s1, s0
	s_mul_i32 s53, s53, s56
	s_add_i32 s0, s0, s53
	s_mul_i32 s43, s43, s56
	s_mul_hi_u32 s53, s54, s43
	s_mul_i32 s55, s54, s43
	s_mul_i32 s58, s56, s0
	s_mul_hi_u32 s43, s56, s43
	s_mul_hi_u32 s57, s56, s0
	s_add_u32 s43, s43, s58
	s_addc_u32 s57, 0, s57
	s_add_u32 s43, s43, s55
	s_mul_hi_u32 s1, s54, s0
	s_addc_u32 s43, s57, s53
	s_addc_u32 s1, s1, 0
	s_mul_i32 s0, s54, s0
	s_add_u32 s0, s43, s0
	s_addc_u32 s43, 0, s1
	s_add_u32 s53, s56, s0
	s_cselect_b64 s[0:1], -1, 0
	v_ashrrev_i32_e32 v3, 31, v9
	s_cmp_lg_u64 s[0:1], 0
	v_add_co_u32_e32 v5, vcc, v8, v3
	s_addc_u32 s43, s54, s43
	v_xor_b32_e32 v5, v5, v3
	v_addc_co_u32_e32 v7, vcc, v9, v3, vcc
	v_mad_u64_u32 v[9:10], s[0:1], v5, s43, 0
	v_mul_hi_u32 v11, v5, s53
	v_xor_b32_e32 v7, v7, v3
	v_xor_b32_e32 v3, s42, v3
	v_add_co_u32_e32 v13, vcc, v11, v9
	v_addc_co_u32_e32 v14, vcc, 0, v10, vcc
	v_mad_u64_u32 v[9:10], s[0:1], v7, s53, 0
	v_mad_u64_u32 v[11:12], s[0:1], v7, s43, 0
	v_add_co_u32_e32 v9, vcc, v13, v9
	v_addc_co_u32_e32 v9, vcc, v14, v10, vcc
	v_addc_co_u32_e32 v10, vcc, 0, v12, vcc
	v_add_co_u32_e32 v11, vcc, v9, v11
	v_addc_co_u32_e32 v12, vcc, 0, v10, vcc
	v_mul_lo_u32 v13, s45, v11
	v_mul_lo_u32 v14, s44, v12
	v_mad_u64_u32 v[9:10], s[0:1], s44, v11, 0
	v_add3_u32 v10, v10, v14, v13
	v_sub_u32_e32 v13, v7, v10
	v_mov_b32_e32 v14, s45
	v_sub_co_u32_e32 v5, vcc, v5, v9
	v_subb_co_u32_e64 v9, s[0:1], v13, v14, vcc
	v_subrev_co_u32_e64 v13, s[0:1], s44, v5
	v_subbrev_co_u32_e64 v9, s[0:1], 0, v9, s[0:1]
	v_cmp_le_u32_e64 s[0:1], s45, v9
	v_cndmask_b32_e64 v14, 0, -1, s[0:1]
	v_cmp_le_u32_e64 s[0:1], s44, v13
	v_cndmask_b32_e64 v13, 0, -1, s[0:1]
	v_cmp_eq_u32_e64 s[0:1], s45, v9
	v_cndmask_b32_e64 v9, v14, v13, s[0:1]
	v_add_co_u32_e64 v13, s[0:1], 2, v11
	v_subb_co_u32_e32 v7, vcc, v7, v10, vcc
	v_addc_co_u32_e64 v14, s[0:1], 0, v12, s[0:1]
	v_cmp_le_u32_e32 vcc, s45, v7
	v_add_co_u32_e64 v15, s[0:1], 1, v11
	v_cndmask_b32_e64 v10, 0, -1, vcc
	v_cmp_le_u32_e32 vcc, s44, v5
	v_addc_co_u32_e64 v16, s[0:1], 0, v12, s[0:1]
	v_cndmask_b32_e64 v5, 0, -1, vcc
	v_cmp_eq_u32_e32 vcc, s45, v7
	v_cmp_ne_u32_e64 s[0:1], 0, v9
	v_cndmask_b32_e32 v5, v10, v5, vcc
	v_cmp_ne_u32_e32 vcc, 0, v5
	v_cndmask_b32_e64 v7, v15, v13, s[0:1]
	v_cndmask_b32_e64 v9, v16, v14, s[0:1]
	v_cndmask_b32_e32 v7, v11, v7, vcc
	v_cndmask_b32_e32 v5, v12, v9, vcc
	v_xor_b32_e32 v7, v7, v3
	v_xor_b32_e32 v5, v5, v3
	v_sub_co_u32_e32 v10, vcc, v7, v3
	v_subb_co_u32_e32 v11, vcc, v5, v3, vcc
.LBB93_23:                              ;   in Loop: Header=BB93_21 Depth=2
	s_andn2_saveexec_b64 s[0:1], s[40:41]
	s_cbranch_execz .LBB93_25
; %bb.24:                               ;   in Loop: Header=BB93_21 Depth=2
	v_cvt_f32_u32_e32 v3, s35
	s_sub_i32 s40, 0, s35
	v_mov_b32_e32 v11, v2
	v_rcp_iflag_f32_e32 v3, v3
	v_mul_f32_e32 v3, 0x4f7ffffe, v3
	v_cvt_u32_f32_e32 v3, v3
	v_mul_lo_u32 v5, s40, v3
	v_mul_hi_u32 v5, v3, v5
	v_add_u32_e32 v3, v3, v5
	v_mul_hi_u32 v3, v8, v3
	v_mul_lo_u32 v5, v3, s35
	v_add_u32_e32 v7, 1, v3
	v_sub_u32_e32 v5, v8, v5
	v_subrev_u32_e32 v9, s35, v5
	v_cmp_le_u32_e32 vcc, s35, v5
	v_cndmask_b32_e32 v5, v5, v9, vcc
	v_cndmask_b32_e32 v3, v3, v7, vcc
	v_add_u32_e32 v7, 1, v3
	v_cmp_le_u32_e32 vcc, s35, v5
	v_cndmask_b32_e32 v10, v3, v7, vcc
.LBB93_25:                              ;   in Loop: Header=BB93_21 Depth=2
	s_or_b64 exec, exec, s[0:1]
	s_add_u32 s0, s4, s36
	s_addc_u32 s1, s5, s37
	s_add_i32 s36, s20, -1
	s_mov_b32 s37, s21
	s_lshl_b64 s[40:41], s[36:37], 2
	s_add_u32 s36, s46, s40
	s_addc_u32 s37, s47, s41
	s_load_dword s55, s[36:37], 0x8
	s_load_dword s54, s[38:39], 0x6c
	;; [unrolled: 1-line block ×3, first 2 shown]
                                        ; implicit-def: $vgpr12_vgpr13
	s_waitcnt lgkmcnt(0)
	s_ashr_i32 s0, s55, 31
	v_or_b32_e32 v3, s0, v11
	v_cmp_ne_u64_e32 vcc, 0, v[2:3]
	s_and_saveexec_b64 s[38:39], vcc
	s_xor_b64 s[38:39], exec, s[38:39]
	s_cbranch_execz .LBB93_27
; %bb.26:                               ;   in Loop: Header=BB93_21 Depth=2
	s_ashr_i32 s42, s0, 31
	s_add_u32 s44, s55, s42
	s_mov_b32 s43, s42
	s_addc_u32 s45, s0, s42
	s_xor_b64 s[44:45], s[44:45], s[42:43]
	v_cvt_f32_u32_e32 v3, s44
	v_cvt_f32_u32_e32 v5, s45
	s_sub_u32 s43, 0, s44
	s_subb_u32 s56, 0, s45
	v_mac_f32_e32 v3, 0x4f800000, v5
	v_rcp_f32_e32 v3, v3
	v_mul_f32_e32 v3, 0x5f7ffffc, v3
	v_mul_f32_e32 v5, 0x2f800000, v3
	v_trunc_f32_e32 v5, v5
	v_mac_f32_e32 v3, 0xcf800000, v5
	v_cvt_u32_f32_e32 v5, v5
	v_cvt_u32_f32_e32 v3, v3
	v_readfirstlane_b32 s57, v5
	v_readfirstlane_b32 s0, v3
	s_mul_i32 s1, s43, s57
	s_mul_hi_u32 s59, s43, s0
	s_mul_i32 s58, s56, s0
	s_add_i32 s1, s59, s1
	s_add_i32 s1, s1, s58
	s_mul_i32 s60, s43, s0
	s_mul_i32 s59, s0, s1
	s_mul_hi_u32 s61, s0, s60
	s_mul_hi_u32 s58, s0, s1
	s_add_u32 s59, s61, s59
	s_addc_u32 s58, 0, s58
	s_mul_hi_u32 s62, s57, s60
	s_mul_i32 s60, s57, s60
	s_add_u32 s59, s59, s60
	s_mul_hi_u32 s61, s57, s1
	s_addc_u32 s58, s58, s62
	s_addc_u32 s59, s61, 0
	s_mul_i32 s1, s57, s1
	s_add_u32 s1, s58, s1
	s_addc_u32 s58, 0, s59
	s_add_u32 s59, s0, s1
	s_cselect_b64 s[0:1], -1, 0
	s_cmp_lg_u64 s[0:1], 0
	s_addc_u32 s57, s57, s58
	s_mul_i32 s0, s43, s57
	s_mul_hi_u32 s1, s43, s59
	s_add_i32 s0, s1, s0
	s_mul_i32 s56, s56, s59
	s_add_i32 s0, s0, s56
	s_mul_i32 s43, s43, s59
	s_mul_hi_u32 s56, s57, s43
	s_mul_i32 s58, s57, s43
	s_mul_i32 s61, s59, s0
	s_mul_hi_u32 s43, s59, s43
	s_mul_hi_u32 s60, s59, s0
	s_add_u32 s43, s43, s61
	s_addc_u32 s60, 0, s60
	s_add_u32 s43, s43, s58
	s_mul_hi_u32 s1, s57, s0
	s_addc_u32 s43, s60, s56
	s_addc_u32 s1, s1, 0
	s_mul_i32 s0, s57, s0
	s_add_u32 s0, s43, s0
	s_addc_u32 s43, 0, s1
	s_add_u32 s56, s59, s0
	s_cselect_b64 s[0:1], -1, 0
	v_ashrrev_i32_e32 v3, 31, v11
	s_cmp_lg_u64 s[0:1], 0
	v_add_co_u32_e32 v5, vcc, v10, v3
	s_addc_u32 s43, s57, s43
	v_xor_b32_e32 v5, v5, v3
	v_addc_co_u32_e32 v7, vcc, v11, v3, vcc
	v_mad_u64_u32 v[11:12], s[0:1], v5, s43, 0
	v_mul_hi_u32 v9, v5, s56
	v_xor_b32_e32 v7, v7, v3
	v_mad_u64_u32 v[13:14], s[0:1], v7, s43, 0
	v_add_co_u32_e32 v9, vcc, v9, v11
	v_addc_co_u32_e32 v15, vcc, 0, v12, vcc
	v_mad_u64_u32 v[11:12], s[0:1], v7, s56, 0
	v_xor_b32_e32 v3, s42, v3
	v_add_co_u32_e32 v9, vcc, v9, v11
	v_addc_co_u32_e32 v9, vcc, v15, v12, vcc
	v_addc_co_u32_e32 v11, vcc, 0, v14, vcc
	v_add_co_u32_e32 v9, vcc, v9, v13
	v_addc_co_u32_e32 v13, vcc, 0, v11, vcc
	v_mul_lo_u32 v14, s45, v9
	v_mul_lo_u32 v15, s44, v13
	v_mad_u64_u32 v[11:12], s[0:1], s44, v9, 0
	v_add3_u32 v12, v12, v15, v14
	v_sub_u32_e32 v14, v7, v12
	v_mov_b32_e32 v15, s45
	v_sub_co_u32_e32 v5, vcc, v5, v11
	v_subb_co_u32_e64 v11, s[0:1], v14, v15, vcc
	v_subrev_co_u32_e64 v14, s[0:1], s44, v5
	v_subbrev_co_u32_e64 v11, s[0:1], 0, v11, s[0:1]
	v_cmp_le_u32_e64 s[0:1], s45, v11
	v_cndmask_b32_e64 v15, 0, -1, s[0:1]
	v_cmp_le_u32_e64 s[0:1], s44, v14
	v_cndmask_b32_e64 v14, 0, -1, s[0:1]
	v_cmp_eq_u32_e64 s[0:1], s45, v11
	v_cndmask_b32_e64 v11, v15, v14, s[0:1]
	v_add_co_u32_e64 v14, s[0:1], 2, v9
	v_subb_co_u32_e32 v7, vcc, v7, v12, vcc
	v_addc_co_u32_e64 v15, s[0:1], 0, v13, s[0:1]
	v_cmp_le_u32_e32 vcc, s45, v7
	v_add_co_u32_e64 v16, s[0:1], 1, v9
	v_cndmask_b32_e64 v12, 0, -1, vcc
	v_cmp_le_u32_e32 vcc, s44, v5
	v_addc_co_u32_e64 v17, s[0:1], 0, v13, s[0:1]
	v_cndmask_b32_e64 v5, 0, -1, vcc
	v_cmp_eq_u32_e32 vcc, s45, v7
	v_cmp_ne_u32_e64 s[0:1], 0, v11
	v_cndmask_b32_e32 v5, v12, v5, vcc
	v_cmp_ne_u32_e32 vcc, 0, v5
	v_cndmask_b32_e64 v7, v16, v14, s[0:1]
	v_cndmask_b32_e64 v11, v17, v15, s[0:1]
	v_cndmask_b32_e32 v7, v9, v7, vcc
	v_cndmask_b32_e32 v5, v13, v11, vcc
	v_xor_b32_e32 v7, v7, v3
	v_xor_b32_e32 v5, v5, v3
	v_sub_co_u32_e32 v12, vcc, v7, v3
	v_subb_co_u32_e32 v13, vcc, v5, v3, vcc
.LBB93_27:                              ;   in Loop: Header=BB93_21 Depth=2
	s_andn2_saveexec_b64 s[0:1], s[38:39]
	s_cbranch_execz .LBB93_29
; %bb.28:                               ;   in Loop: Header=BB93_21 Depth=2
	v_cvt_f32_u32_e32 v3, s55
	s_sub_i32 s38, 0, s55
	v_mov_b32_e32 v13, v2
	v_rcp_iflag_f32_e32 v3, v3
	v_mul_f32_e32 v3, 0x4f7ffffe, v3
	v_cvt_u32_f32_e32 v3, v3
	v_mul_lo_u32 v5, s38, v3
	v_mul_hi_u32 v5, v3, v5
	v_add_u32_e32 v3, v3, v5
	v_mul_hi_u32 v3, v10, v3
	v_mul_lo_u32 v5, v3, s55
	v_add_u32_e32 v7, 1, v3
	v_sub_u32_e32 v5, v10, v5
	v_subrev_u32_e32 v9, s55, v5
	v_cmp_le_u32_e32 vcc, s55, v5
	v_cndmask_b32_e32 v5, v5, v9, vcc
	v_cndmask_b32_e32 v3, v3, v7, vcc
	v_add_u32_e32 v7, 1, v3
	v_cmp_le_u32_e32 vcc, s55, v5
	v_cndmask_b32_e32 v12, v3, v7, vcc
.LBB93_29:                              ;   in Loop: Header=BB93_21 Depth=2
	s_or_b64 exec, exec, s[0:1]
	s_add_u32 s0, s4, s40
	s_addc_u32 s1, s5, s41
	s_add_i32 s38, s20, -2
	s_mov_b32 s39, s21
	s_lshl_b64 s[38:39], s[38:39], 2
	s_add_u32 s40, s46, s38
	s_addc_u32 s41, s47, s39
	s_load_dword s57, s[40:41], 0x8
	s_load_dword s58, s[36:37], 0x6c
	;; [unrolled: 1-line block ×3, first 2 shown]
                                        ; implicit-def: $vgpr14_vgpr15
	s_waitcnt lgkmcnt(0)
	s_ashr_i32 s0, s57, 31
	v_or_b32_e32 v3, s0, v13
	v_cmp_ne_u64_e32 vcc, 0, v[2:3]
	s_and_saveexec_b64 s[36:37], vcc
	s_xor_b64 s[36:37], exec, s[36:37]
	s_cbranch_execz .LBB93_31
; %bb.30:                               ;   in Loop: Header=BB93_21 Depth=2
	s_ashr_i32 s42, s0, 31
	s_add_u32 s44, s57, s42
	s_mov_b32 s43, s42
	s_addc_u32 s45, s0, s42
	s_xor_b64 s[44:45], s[44:45], s[42:43]
	v_cvt_f32_u32_e32 v3, s44
	v_cvt_f32_u32_e32 v5, s45
	s_sub_u32 s43, 0, s44
	s_subb_u32 s59, 0, s45
	v_mac_f32_e32 v3, 0x4f800000, v5
	v_rcp_f32_e32 v3, v3
	v_mul_f32_e32 v3, 0x5f7ffffc, v3
	v_mul_f32_e32 v5, 0x2f800000, v3
	v_trunc_f32_e32 v5, v5
	v_mac_f32_e32 v3, 0xcf800000, v5
	v_cvt_u32_f32_e32 v5, v5
	v_cvt_u32_f32_e32 v3, v3
	v_readfirstlane_b32 s60, v5
	v_readfirstlane_b32 s0, v3
	s_mul_i32 s1, s43, s60
	s_mul_hi_u32 s62, s43, s0
	s_mul_i32 s61, s59, s0
	s_add_i32 s1, s62, s1
	s_add_i32 s1, s1, s61
	s_mul_i32 s63, s43, s0
	s_mul_i32 s62, s0, s1
	s_mul_hi_u32 s64, s0, s63
	s_mul_hi_u32 s61, s0, s1
	s_add_u32 s62, s64, s62
	s_addc_u32 s61, 0, s61
	s_mul_hi_u32 s65, s60, s63
	s_mul_i32 s63, s60, s63
	s_add_u32 s62, s62, s63
	s_mul_hi_u32 s64, s60, s1
	s_addc_u32 s61, s61, s65
	s_addc_u32 s62, s64, 0
	s_mul_i32 s1, s60, s1
	s_add_u32 s1, s61, s1
	s_addc_u32 s61, 0, s62
	s_add_u32 s62, s0, s1
	s_cselect_b64 s[0:1], -1, 0
	s_cmp_lg_u64 s[0:1], 0
	s_addc_u32 s60, s60, s61
	s_mul_i32 s0, s43, s60
	s_mul_hi_u32 s1, s43, s62
	s_add_i32 s0, s1, s0
	s_mul_i32 s59, s59, s62
	s_add_i32 s0, s0, s59
	s_mul_i32 s43, s43, s62
	s_mul_hi_u32 s59, s60, s43
	s_mul_i32 s61, s60, s43
	s_mul_i32 s64, s62, s0
	s_mul_hi_u32 s43, s62, s43
	s_mul_hi_u32 s63, s62, s0
	s_add_u32 s43, s43, s64
	s_addc_u32 s63, 0, s63
	s_add_u32 s43, s43, s61
	s_mul_hi_u32 s1, s60, s0
	s_addc_u32 s43, s63, s59
	s_addc_u32 s1, s1, 0
	s_mul_i32 s0, s60, s0
	s_add_u32 s0, s43, s0
	s_addc_u32 s43, 0, s1
	s_add_u32 s59, s62, s0
	s_cselect_b64 s[0:1], -1, 0
	v_ashrrev_i32_e32 v3, 31, v13
	s_cmp_lg_u64 s[0:1], 0
	v_add_co_u32_e32 v5, vcc, v12, v3
	s_addc_u32 s43, s60, s43
	v_xor_b32_e32 v5, v5, v3
	v_addc_co_u32_e32 v7, vcc, v13, v3, vcc
	v_mad_u64_u32 v[13:14], s[0:1], v5, s43, 0
	v_mul_hi_u32 v9, v5, s59
	v_xor_b32_e32 v7, v7, v3
	v_mad_u64_u32 v[15:16], s[0:1], v7, s43, 0
	v_add_co_u32_e32 v9, vcc, v9, v13
	v_addc_co_u32_e32 v11, vcc, 0, v14, vcc
	v_mad_u64_u32 v[13:14], s[0:1], v7, s59, 0
	v_xor_b32_e32 v3, s42, v3
	v_add_co_u32_e32 v9, vcc, v9, v13
	v_addc_co_u32_e32 v9, vcc, v11, v14, vcc
	v_addc_co_u32_e32 v11, vcc, 0, v16, vcc
	v_add_co_u32_e32 v9, vcc, v9, v15
	v_addc_co_u32_e32 v11, vcc, 0, v11, vcc
	v_mul_lo_u32 v15, s45, v9
	v_mul_lo_u32 v16, s44, v11
	v_mad_u64_u32 v[13:14], s[0:1], s44, v9, 0
	v_add3_u32 v14, v14, v16, v15
	v_sub_u32_e32 v15, v7, v14
	v_mov_b32_e32 v16, s45
	v_sub_co_u32_e32 v5, vcc, v5, v13
	v_subb_co_u32_e64 v13, s[0:1], v15, v16, vcc
	v_subrev_co_u32_e64 v15, s[0:1], s44, v5
	v_subbrev_co_u32_e64 v13, s[0:1], 0, v13, s[0:1]
	v_cmp_le_u32_e64 s[0:1], s45, v13
	v_cndmask_b32_e64 v16, 0, -1, s[0:1]
	v_cmp_le_u32_e64 s[0:1], s44, v15
	v_cndmask_b32_e64 v15, 0, -1, s[0:1]
	v_cmp_eq_u32_e64 s[0:1], s45, v13
	v_cndmask_b32_e64 v13, v16, v15, s[0:1]
	v_add_co_u32_e64 v15, s[0:1], 2, v9
	v_subb_co_u32_e32 v7, vcc, v7, v14, vcc
	v_addc_co_u32_e64 v16, s[0:1], 0, v11, s[0:1]
	v_cmp_le_u32_e32 vcc, s45, v7
	v_add_co_u32_e64 v17, s[0:1], 1, v9
	v_cndmask_b32_e64 v14, 0, -1, vcc
	v_cmp_le_u32_e32 vcc, s44, v5
	v_addc_co_u32_e64 v20, s[0:1], 0, v11, s[0:1]
	v_cndmask_b32_e64 v5, 0, -1, vcc
	v_cmp_eq_u32_e32 vcc, s45, v7
	v_cmp_ne_u32_e64 s[0:1], 0, v13
	v_cndmask_b32_e32 v5, v14, v5, vcc
	v_cmp_ne_u32_e32 vcc, 0, v5
	v_cndmask_b32_e64 v7, v17, v15, s[0:1]
	v_cndmask_b32_e64 v13, v20, v16, s[0:1]
	v_cndmask_b32_e32 v7, v9, v7, vcc
	v_cndmask_b32_e32 v5, v11, v13, vcc
	v_xor_b32_e32 v7, v7, v3
	v_xor_b32_e32 v5, v5, v3
	v_sub_co_u32_e32 v14, vcc, v7, v3
	v_subb_co_u32_e32 v15, vcc, v5, v3, vcc
.LBB93_31:                              ;   in Loop: Header=BB93_21 Depth=2
	s_andn2_saveexec_b64 s[0:1], s[36:37]
	s_cbranch_execz .LBB93_33
; %bb.32:                               ;   in Loop: Header=BB93_21 Depth=2
	v_cvt_f32_u32_e32 v3, s57
	s_sub_i32 s36, 0, s57
	v_mov_b32_e32 v15, v2
	v_rcp_iflag_f32_e32 v3, v3
	v_mul_f32_e32 v3, 0x4f7ffffe, v3
	v_cvt_u32_f32_e32 v3, v3
	v_mul_lo_u32 v5, s36, v3
	v_mul_hi_u32 v5, v3, v5
	v_add_u32_e32 v3, v3, v5
	v_mul_hi_u32 v3, v12, v3
	v_mul_lo_u32 v5, v3, s57
	v_add_u32_e32 v7, 1, v3
	v_sub_u32_e32 v5, v12, v5
	v_subrev_u32_e32 v9, s57, v5
	v_cmp_le_u32_e32 vcc, s57, v5
	v_cndmask_b32_e32 v5, v5, v9, vcc
	v_cndmask_b32_e32 v3, v3, v7, vcc
	v_add_u32_e32 v7, 1, v3
	v_cmp_le_u32_e32 vcc, s57, v5
	v_cndmask_b32_e32 v14, v3, v7, vcc
.LBB93_33:                              ;   in Loop: Header=BB93_21 Depth=2
	s_or_b64 exec, exec, s[0:1]
	s_add_u32 s0, s4, s38
	s_addc_u32 s1, s5, s39
	s_add_i32 s36, s20, -3
	s_mov_b32 s37, s21
	s_lshl_b64 s[36:37], s[36:37], 2
	s_add_u32 s38, s46, s36
	s_addc_u32 s39, s47, s37
	s_load_dword s60, s[38:39], 0x8
	s_load_dword s61, s[40:41], 0x6c
	s_load_dword s59, s[0:1], 0x6c
                                        ; implicit-def: $vgpr16_vgpr17
	s_waitcnt lgkmcnt(0)
	s_ashr_i32 s0, s60, 31
	v_or_b32_e32 v3, s0, v15
	v_cmp_ne_u64_e32 vcc, 0, v[2:3]
	s_and_saveexec_b64 s[40:41], vcc
	s_xor_b64 s[40:41], exec, s[40:41]
	s_cbranch_execz .LBB93_35
; %bb.34:                               ;   in Loop: Header=BB93_21 Depth=2
	s_ashr_i32 s42, s0, 31
	s_add_u32 s44, s60, s42
	s_mov_b32 s43, s42
	s_addc_u32 s45, s0, s42
	s_xor_b64 s[44:45], s[44:45], s[42:43]
	v_cvt_f32_u32_e32 v3, s44
	v_cvt_f32_u32_e32 v5, s45
	s_sub_u32 s43, 0, s44
	s_subb_u32 s62, 0, s45
	v_mac_f32_e32 v3, 0x4f800000, v5
	v_rcp_f32_e32 v3, v3
	v_mul_f32_e32 v3, 0x5f7ffffc, v3
	v_mul_f32_e32 v5, 0x2f800000, v3
	v_trunc_f32_e32 v5, v5
	v_mac_f32_e32 v3, 0xcf800000, v5
	v_cvt_u32_f32_e32 v5, v5
	v_cvt_u32_f32_e32 v3, v3
	v_readfirstlane_b32 s63, v5
	v_readfirstlane_b32 s0, v3
	s_mul_i32 s1, s43, s63
	s_mul_hi_u32 s65, s43, s0
	s_mul_i32 s64, s62, s0
	s_add_i32 s1, s65, s1
	s_add_i32 s1, s1, s64
	s_mul_i32 s66, s43, s0
	s_mul_i32 s65, s0, s1
	s_mul_hi_u32 s67, s0, s66
	s_mul_hi_u32 s64, s0, s1
	s_add_u32 s65, s67, s65
	s_addc_u32 s64, 0, s64
	s_mul_hi_u32 s68, s63, s66
	s_mul_i32 s66, s63, s66
	s_add_u32 s65, s65, s66
	s_mul_hi_u32 s67, s63, s1
	s_addc_u32 s64, s64, s68
	s_addc_u32 s65, s67, 0
	s_mul_i32 s1, s63, s1
	s_add_u32 s1, s64, s1
	s_addc_u32 s64, 0, s65
	s_add_u32 s65, s0, s1
	s_cselect_b64 s[0:1], -1, 0
	s_cmp_lg_u64 s[0:1], 0
	s_addc_u32 s63, s63, s64
	s_mul_i32 s0, s43, s63
	s_mul_hi_u32 s1, s43, s65
	s_add_i32 s0, s1, s0
	s_mul_i32 s62, s62, s65
	s_add_i32 s0, s0, s62
	s_mul_i32 s43, s43, s65
	s_mul_hi_u32 s62, s63, s43
	s_mul_i32 s64, s63, s43
	s_mul_i32 s67, s65, s0
	s_mul_hi_u32 s43, s65, s43
	s_mul_hi_u32 s66, s65, s0
	s_add_u32 s43, s43, s67
	s_addc_u32 s66, 0, s66
	s_add_u32 s43, s43, s64
	s_mul_hi_u32 s1, s63, s0
	s_addc_u32 s43, s66, s62
	s_addc_u32 s1, s1, 0
	s_mul_i32 s0, s63, s0
	s_add_u32 s0, s43, s0
	s_addc_u32 s43, 0, s1
	s_add_u32 s62, s65, s0
	s_cselect_b64 s[0:1], -1, 0
	v_ashrrev_i32_e32 v3, 31, v15
	s_cmp_lg_u64 s[0:1], 0
	v_add_co_u32_e32 v5, vcc, v14, v3
	s_addc_u32 s43, s63, s43
	v_xor_b32_e32 v5, v5, v3
	v_addc_co_u32_e32 v7, vcc, v15, v3, vcc
	v_mad_u64_u32 v[15:16], s[0:1], v5, s43, 0
	v_mul_hi_u32 v9, v5, s62
	v_xor_b32_e32 v7, v7, v3
	v_mad_u64_u32 v[20:21], s[0:1], v7, s43, 0
	v_add_co_u32_e32 v9, vcc, v9, v15
	v_addc_co_u32_e32 v11, vcc, 0, v16, vcc
	v_mad_u64_u32 v[15:16], s[0:1], v7, s62, 0
	v_xor_b32_e32 v3, s42, v3
	v_add_co_u32_e32 v9, vcc, v9, v15
	v_addc_co_u32_e32 v9, vcc, v11, v16, vcc
	v_addc_co_u32_e32 v11, vcc, 0, v21, vcc
	v_add_co_u32_e32 v9, vcc, v9, v20
	v_addc_co_u32_e32 v11, vcc, 0, v11, vcc
	v_mul_lo_u32 v13, s45, v9
	v_mul_lo_u32 v17, s44, v11
	v_mad_u64_u32 v[15:16], s[0:1], s44, v9, 0
	v_add3_u32 v13, v16, v17, v13
	v_sub_u32_e32 v16, v7, v13
	v_mov_b32_e32 v17, s45
	v_sub_co_u32_e32 v5, vcc, v5, v15
	v_subb_co_u32_e64 v15, s[0:1], v16, v17, vcc
	v_subrev_co_u32_e64 v16, s[0:1], s44, v5
	v_subbrev_co_u32_e64 v15, s[0:1], 0, v15, s[0:1]
	v_cmp_le_u32_e64 s[0:1], s45, v15
	v_cndmask_b32_e64 v17, 0, -1, s[0:1]
	v_cmp_le_u32_e64 s[0:1], s44, v16
	v_cndmask_b32_e64 v16, 0, -1, s[0:1]
	v_cmp_eq_u32_e64 s[0:1], s45, v15
	v_cndmask_b32_e64 v15, v17, v16, s[0:1]
	v_add_co_u32_e64 v16, s[0:1], 2, v9
	v_subb_co_u32_e32 v7, vcc, v7, v13, vcc
	v_addc_co_u32_e64 v17, s[0:1], 0, v11, s[0:1]
	v_cmp_le_u32_e32 vcc, s45, v7
	v_add_co_u32_e64 v20, s[0:1], 1, v9
	v_cndmask_b32_e64 v13, 0, -1, vcc
	v_cmp_le_u32_e32 vcc, s44, v5
	v_addc_co_u32_e64 v21, s[0:1], 0, v11, s[0:1]
	v_cndmask_b32_e64 v5, 0, -1, vcc
	v_cmp_eq_u32_e32 vcc, s45, v7
	v_cmp_ne_u32_e64 s[0:1], 0, v15
	v_cndmask_b32_e32 v5, v13, v5, vcc
	v_cmp_ne_u32_e32 vcc, 0, v5
	v_cndmask_b32_e64 v7, v20, v16, s[0:1]
	v_cndmask_b32_e64 v15, v21, v17, s[0:1]
	v_cndmask_b32_e32 v7, v9, v7, vcc
	v_cndmask_b32_e32 v5, v11, v15, vcc
	v_xor_b32_e32 v7, v7, v3
	v_xor_b32_e32 v5, v5, v3
	v_sub_co_u32_e32 v16, vcc, v7, v3
	v_subb_co_u32_e32 v17, vcc, v5, v3, vcc
.LBB93_35:                              ;   in Loop: Header=BB93_21 Depth=2
	s_andn2_saveexec_b64 s[0:1], s[40:41]
	s_cbranch_execz .LBB93_37
; %bb.36:                               ;   in Loop: Header=BB93_21 Depth=2
	v_cvt_f32_u32_e32 v3, s60
	s_sub_i32 s40, 0, s60
	v_mov_b32_e32 v17, v2
	v_rcp_iflag_f32_e32 v3, v3
	v_mul_f32_e32 v3, 0x4f7ffffe, v3
	v_cvt_u32_f32_e32 v3, v3
	v_mul_lo_u32 v5, s40, v3
	v_mul_hi_u32 v5, v3, v5
	v_add_u32_e32 v3, v3, v5
	v_mul_hi_u32 v3, v14, v3
	v_mul_lo_u32 v5, v3, s60
	v_add_u32_e32 v7, 1, v3
	v_sub_u32_e32 v5, v14, v5
	v_subrev_u32_e32 v9, s60, v5
	v_cmp_le_u32_e32 vcc, s60, v5
	v_cndmask_b32_e32 v5, v5, v9, vcc
	v_cndmask_b32_e32 v3, v3, v7, vcc
	v_add_u32_e32 v7, 1, v3
	v_cmp_le_u32_e32 vcc, s60, v5
	v_cndmask_b32_e32 v16, v3, v7, vcc
.LBB93_37:                              ;   in Loop: Header=BB93_21 Depth=2
	s_or_b64 exec, exec, s[0:1]
	v_mul_lo_u32 v3, v10, s35
	v_mul_lo_u32 v5, v12, s55
	;; [unrolled: 1-line block ×3, first 2 shown]
	s_add_u32 s0, s4, s36
	v_sub_u32_e32 v3, v8, v3
	v_sub_u32_e32 v5, v10, v5
	v_mul_lo_u32 v7, s54, v3
	v_mul_lo_u32 v8, s58, v5
	s_addc_u32 s1, s5, s37
	s_load_dword s35, s[38:39], 0x6c
	v_mul_lo_u32 v3, s53, v3
	v_add3_u32 v6, v7, v6, v8
	v_sub_u32_e32 v7, v12, v9
	v_mul_lo_u32 v9, v16, s60
	s_load_dword s0, s[0:1], 0x6c
	v_mul_lo_u32 v5, s56, v5
	v_mul_lo_u32 v8, s61, v7
	v_sub_u32_e32 v9, v14, v9
	s_waitcnt lgkmcnt(0)
	v_mul_lo_u32 v10, s35, v9
	v_add3_u32 v3, v3, v4, v5
	v_mul_lo_u32 v4, s59, v7
	v_mul_lo_u32 v5, s0, v9
	s_add_i32 s20, s20, -4
	v_add3_u32 v6, v8, v6, v10
	s_cmp_eq_u32 s20, -1
	v_add3_u32 v4, v4, v3, v5
	s_cbranch_scc1 .LBB93_39
; %bb.38:                               ;   in Loop: Header=BB93_21 Depth=2
	v_mov_b32_e32 v8, v16
	v_mov_b32_e32 v9, v17
	s_branch .LBB93_21
.LBB93_39:                              ;   in Loop: Header=BB93_3 Depth=1
	v_sub_u32_e32 v5, v18, v19
	v_add_u32_e32 v7, 4, v5
	v_ashrrev_i32_e32 v8, 31, v7
	v_cmp_le_i64_e32 vcc, s[8:9], v[7:8]
	v_mov_b32_e32 v12, 0
	v_mov_b32_e32 v3, 0
	;; [unrolled: 1-line block ×4, first 2 shown]
	s_and_saveexec_b64 s[0:1], vcc
	s_cbranch_execz .LBB93_49
; %bb.40:                               ;   in Loop: Header=BB93_3 Depth=1
	v_cmp_gt_i32_e32 vcc, s7, v18
	v_mov_b32_e32 v11, 0
	v_mov_b32_e32 v10, 0
	v_mov_b32_e32 v9, 0
	v_mov_b32_e32 v3, 0
	s_and_saveexec_b64 s[36:37], vcc
	s_cbranch_execz .LBB93_48
; %bb.41:                               ;   in Loop: Header=BB93_3 Depth=1
	v_ashrrev_i32_e32 v7, 31, v6
	v_lshlrev_b64 v[7:8], 1, v[6:7]
	v_mov_b32_e32 v3, s3
	v_add_co_u32_e32 v7, vcc, s2, v7
	v_addc_co_u32_e32 v8, vcc, v3, v8, vcc
	global_load_ushort v3, v[7:8], off
	v_add_u32_e32 v9, 1, v18
	v_cmp_gt_i32_e32 vcc, s7, v9
	v_mov_b32_e32 v9, 0
	v_mov_b32_e32 v10, 0
	;; [unrolled: 1-line block ×3, first 2 shown]
	s_and_saveexec_b64 s[38:39], vcc
	s_xor_b64 s[38:39], exec, s[38:39]
	s_cbranch_execz .LBB93_47
; %bb.42:                               ;   in Loop: Header=BB93_3 Depth=1
	s_lshl_b64 s[40:41], s[26:27], 1
	v_mov_b32_e32 v9, s41
	v_add_co_u32_e32 v7, vcc, s40, v7
	v_addc_co_u32_e32 v8, vcc, v8, v9, vcc
	global_load_ushort v9, v[7:8], off
	v_add_u32_e32 v7, 2, v18
	v_cmp_gt_i32_e32 vcc, s7, v7
	v_mov_b32_e32 v10, 0
	v_mov_b32_e32 v11, 0
	s_and_saveexec_b64 s[40:41], vcc
	s_xor_b64 s[40:41], exec, s[40:41]
	s_cbranch_execz .LBB93_46
; %bb.43:                               ;   in Loop: Header=BB93_3 Depth=1
	v_add_u32_e32 v6, s15, v6
	v_ashrrev_i32_e32 v7, 31, v6
	v_lshlrev_b64 v[7:8], 1, v[6:7]
	v_mov_b32_e32 v10, s3
	v_add_co_u32_e32 v7, vcc, s2, v7
	v_addc_co_u32_e32 v8, vcc, v10, v8, vcc
	global_load_ushort v10, v[7:8], off
	v_add_u32_e32 v7, 3, v18
	v_cmp_gt_i32_e32 vcc, s7, v7
	v_mov_b32_e32 v11, 0
	s_and_saveexec_b64 s[42:43], vcc
	s_xor_b64 s[42:43], exec, s[42:43]
	s_cbranch_execz .LBB93_45
; %bb.44:                               ;   in Loop: Header=BB93_3 Depth=1
	v_add_u32_e32 v6, s26, v6
	v_ashrrev_i32_e32 v7, 31, v6
	v_lshlrev_b64 v[6:7], 1, v[6:7]
	v_mov_b32_e32 v8, s3
	v_add_co_u32_e32 v6, vcc, s2, v6
	v_addc_co_u32_e32 v7, vcc, v8, v7, vcc
	global_load_ushort v11, v[6:7], off
.LBB93_45:                              ;   in Loop: Header=BB93_3 Depth=1
	s_or_b64 exec, exec, s[42:43]
.LBB93_46:                              ;   in Loop: Header=BB93_3 Depth=1
	s_or_b64 exec, exec, s[40:41]
.LBB93_47:                              ;   in Loop: Header=BB93_3 Depth=1
	s_or_b64 exec, exec, s[38:39]
.LBB93_48:                              ;   in Loop: Header=BB93_3 Depth=1
	s_or_b64 exec, exec, s[36:37]
	v_ashrrev_i32_e32 v6, 31, v5
	v_cmp_le_i64_e32 vcc, s[8:9], v[5:6]
	v_add_u32_e32 v6, 1, v5
	v_ashrrev_i32_e32 v7, 31, v6
	s_waitcnt vmcnt(0)
	v_cndmask_b32_e32 v12, 0, v3, vcc
	v_cmp_le_i64_e32 vcc, s[8:9], v[6:7]
	v_add_u32_e32 v6, 2, v5
	v_ashrrev_i32_e32 v7, 31, v6
	v_cndmask_b32_e32 v3, 0, v9, vcc
	v_cmp_le_i64_e32 vcc, s[8:9], v[6:7]
	v_add_u32_e32 v5, 3, v5
	v_ashrrev_i32_e32 v6, 31, v5
	v_cndmask_b32_e32 v8, 0, v10, vcc
	v_cmp_le_i64_e32 vcc, s[8:9], v[5:6]
	v_cndmask_b32_e32 v7, 0, v11, vcc
.LBB93_49:                              ;   in Loop: Header=BB93_3 Depth=1
	s_or_b64 exec, exec, s[0:1]
	v_cmp_gt_i32_e32 vcc, s7, v18
	s_and_saveexec_b64 s[0:1], vcc
	s_cbranch_execz .LBB93_2
; %bb.50:                               ;   in Loop: Header=BB93_3 Depth=1
	v_ashrrev_i32_e32 v5, 31, v4
	v_lshlrev_b64 v[5:6], 1, v[4:5]
	v_mov_b32_e32 v9, s19
	v_add_co_u32_e32 v5, vcc, s18, v5
	v_addc_co_u32_e32 v6, vcc, v9, v6, vcc
	v_add_u32_e32 v9, 1, v18
	v_cmp_gt_i32_e32 vcc, s7, v9
	global_store_short v[5:6], v12, off
	s_and_saveexec_b64 s[36:37], vcc
	s_xor_b64 s[36:37], exec, s[36:37]
	s_cbranch_execz .LBB93_2
; %bb.51:                               ;   in Loop: Header=BB93_3 Depth=1
	s_lshl_b64 s[36:37], s[28:29], 1
	v_mov_b32_e32 v9, s37
	v_add_co_u32_e32 v5, vcc, s36, v5
	v_addc_co_u32_e32 v6, vcc, v6, v9, vcc
	global_store_short v[5:6], v3, off
	v_add_u32_e32 v3, 2, v18
	v_cmp_gt_i32_e32 vcc, s7, v3
	s_and_saveexec_b64 s[36:37], vcc
	s_xor_b64 s[36:37], exec, s[36:37]
	s_cbranch_execz .LBB93_2
; %bb.52:                               ;   in Loop: Header=BB93_3 Depth=1
	v_add_u32_e32 v3, s17, v4
	v_ashrrev_i32_e32 v4, 31, v3
	v_lshlrev_b64 v[4:5], 1, v[3:4]
	v_mov_b32_e32 v6, s19
	v_add_co_u32_e32 v4, vcc, s18, v4
	v_addc_co_u32_e32 v5, vcc, v6, v5, vcc
	global_store_short v[4:5], v8, off
	v_add_u32_e32 v4, 3, v18
	v_cmp_gt_i32_e32 vcc, s7, v4
	s_and_saveexec_b64 s[36:37], vcc
	s_xor_b64 s[36:37], exec, s[36:37]
	s_cbranch_execz .LBB93_2
; %bb.53:                               ;   in Loop: Header=BB93_3 Depth=1
	v_add_u32_e32 v3, s28, v3
	v_ashrrev_i32_e32 v4, 31, v3
	v_lshlrev_b64 v[3:4], 1, v[3:4]
	v_mov_b32_e32 v5, s19
	v_add_co_u32_e32 v3, vcc, s18, v3
	v_addc_co_u32_e32 v4, vcc, v5, v4, vcc
	global_store_short v[3:4], v7, off
	s_branch .LBB93_2
.LBB93_54:
	s_endpgm
	.section	.rodata,"a",@progbits
	.p2align	6, 0x0
	.amdhsa_kernel _ZN2at6native16triu_tril_kernelIN3c104HalfEiLb1ELi4ELb0EEEvNS_4cuda6detail10TensorInfoIT_T0_EENS6_IKS7_S8_EEllS8_
		.amdhsa_group_segment_fixed_size 0
		.amdhsa_private_segment_fixed_size 0
		.amdhsa_kernarg_size 712
		.amdhsa_user_sgpr_count 6
		.amdhsa_user_sgpr_private_segment_buffer 1
		.amdhsa_user_sgpr_dispatch_ptr 0
		.amdhsa_user_sgpr_queue_ptr 0
		.amdhsa_user_sgpr_kernarg_segment_ptr 1
		.amdhsa_user_sgpr_dispatch_id 0
		.amdhsa_user_sgpr_flat_scratch_init 0
		.amdhsa_user_sgpr_private_segment_size 0
		.amdhsa_uses_dynamic_stack 0
		.amdhsa_system_sgpr_private_segment_wavefront_offset 0
		.amdhsa_system_sgpr_workgroup_id_x 1
		.amdhsa_system_sgpr_workgroup_id_y 0
		.amdhsa_system_sgpr_workgroup_id_z 0
		.amdhsa_system_sgpr_workgroup_info 0
		.amdhsa_system_vgpr_workitem_id 0
		.amdhsa_next_free_vgpr 22
		.amdhsa_next_free_sgpr 69
		.amdhsa_reserve_vcc 1
		.amdhsa_reserve_flat_scratch 0
		.amdhsa_float_round_mode_32 0
		.amdhsa_float_round_mode_16_64 0
		.amdhsa_float_denorm_mode_32 3
		.amdhsa_float_denorm_mode_16_64 3
		.amdhsa_dx10_clamp 1
		.amdhsa_ieee_mode 1
		.amdhsa_fp16_overflow 0
		.amdhsa_exception_fp_ieee_invalid_op 0
		.amdhsa_exception_fp_denorm_src 0
		.amdhsa_exception_fp_ieee_div_zero 0
		.amdhsa_exception_fp_ieee_overflow 0
		.amdhsa_exception_fp_ieee_underflow 0
		.amdhsa_exception_fp_ieee_inexact 0
		.amdhsa_exception_int_div_zero 0
	.end_amdhsa_kernel
	.section	.text._ZN2at6native16triu_tril_kernelIN3c104HalfEiLb1ELi4ELb0EEEvNS_4cuda6detail10TensorInfoIT_T0_EENS6_IKS7_S8_EEllS8_,"axG",@progbits,_ZN2at6native16triu_tril_kernelIN3c104HalfEiLb1ELi4ELb0EEEvNS_4cuda6detail10TensorInfoIT_T0_EENS6_IKS7_S8_EEllS8_,comdat
.Lfunc_end93:
	.size	_ZN2at6native16triu_tril_kernelIN3c104HalfEiLb1ELi4ELb0EEEvNS_4cuda6detail10TensorInfoIT_T0_EENS6_IKS7_S8_EEllS8_, .Lfunc_end93-_ZN2at6native16triu_tril_kernelIN3c104HalfEiLb1ELi4ELb0EEEvNS_4cuda6detail10TensorInfoIT_T0_EENS6_IKS7_S8_EEllS8_
                                        ; -- End function
	.set _ZN2at6native16triu_tril_kernelIN3c104HalfEiLb1ELi4ELb0EEEvNS_4cuda6detail10TensorInfoIT_T0_EENS6_IKS7_S8_EEllS8_.num_vgpr, 22
	.set _ZN2at6native16triu_tril_kernelIN3c104HalfEiLb1ELi4ELb0EEEvNS_4cuda6detail10TensorInfoIT_T0_EENS6_IKS7_S8_EEllS8_.num_agpr, 0
	.set _ZN2at6native16triu_tril_kernelIN3c104HalfEiLb1ELi4ELb0EEEvNS_4cuda6detail10TensorInfoIT_T0_EENS6_IKS7_S8_EEllS8_.numbered_sgpr, 69
	.set _ZN2at6native16triu_tril_kernelIN3c104HalfEiLb1ELi4ELb0EEEvNS_4cuda6detail10TensorInfoIT_T0_EENS6_IKS7_S8_EEllS8_.num_named_barrier, 0
	.set _ZN2at6native16triu_tril_kernelIN3c104HalfEiLb1ELi4ELb0EEEvNS_4cuda6detail10TensorInfoIT_T0_EENS6_IKS7_S8_EEllS8_.private_seg_size, 0
	.set _ZN2at6native16triu_tril_kernelIN3c104HalfEiLb1ELi4ELb0EEEvNS_4cuda6detail10TensorInfoIT_T0_EENS6_IKS7_S8_EEllS8_.uses_vcc, 1
	.set _ZN2at6native16triu_tril_kernelIN3c104HalfEiLb1ELi4ELb0EEEvNS_4cuda6detail10TensorInfoIT_T0_EENS6_IKS7_S8_EEllS8_.uses_flat_scratch, 0
	.set _ZN2at6native16triu_tril_kernelIN3c104HalfEiLb1ELi4ELb0EEEvNS_4cuda6detail10TensorInfoIT_T0_EENS6_IKS7_S8_EEllS8_.has_dyn_sized_stack, 0
	.set _ZN2at6native16triu_tril_kernelIN3c104HalfEiLb1ELi4ELb0EEEvNS_4cuda6detail10TensorInfoIT_T0_EENS6_IKS7_S8_EEllS8_.has_recursion, 0
	.set _ZN2at6native16triu_tril_kernelIN3c104HalfEiLb1ELi4ELb0EEEvNS_4cuda6detail10TensorInfoIT_T0_EENS6_IKS7_S8_EEllS8_.has_indirect_call, 0
	.section	.AMDGPU.csdata,"",@progbits
; Kernel info:
; codeLenInByte = 6656
; TotalNumSgprs: 73
; NumVgprs: 22
; ScratchSize: 0
; MemoryBound: 0
; FloatMode: 240
; IeeeMode: 1
; LDSByteSize: 0 bytes/workgroup (compile time only)
; SGPRBlocks: 9
; VGPRBlocks: 5
; NumSGPRsForWavesPerEU: 73
; NumVGPRsForWavesPerEU: 22
; Occupancy: 10
; WaveLimiterHint : 1
; COMPUTE_PGM_RSRC2:SCRATCH_EN: 0
; COMPUTE_PGM_RSRC2:USER_SGPR: 6
; COMPUTE_PGM_RSRC2:TRAP_HANDLER: 0
; COMPUTE_PGM_RSRC2:TGID_X_EN: 1
; COMPUTE_PGM_RSRC2:TGID_Y_EN: 0
; COMPUTE_PGM_RSRC2:TGID_Z_EN: 0
; COMPUTE_PGM_RSRC2:TIDIG_COMP_CNT: 0
	.section	.text._ZN2at6native16triu_tril_kernelIN3c104HalfElLb1ELi4ELb1EEEvNS_4cuda6detail10TensorInfoIT_T0_EENS6_IKS7_S8_EEllS8_,"axG",@progbits,_ZN2at6native16triu_tril_kernelIN3c104HalfElLb1ELi4ELb1EEEvNS_4cuda6detail10TensorInfoIT_T0_EENS6_IKS7_S8_EEllS8_,comdat
	.protected	_ZN2at6native16triu_tril_kernelIN3c104HalfElLb1ELi4ELb1EEEvNS_4cuda6detail10TensorInfoIT_T0_EENS6_IKS7_S8_EEllS8_ ; -- Begin function _ZN2at6native16triu_tril_kernelIN3c104HalfElLb1ELi4ELb1EEEvNS_4cuda6detail10TensorInfoIT_T0_EENS6_IKS7_S8_EEllS8_
	.globl	_ZN2at6native16triu_tril_kernelIN3c104HalfElLb1ELi4ELb1EEEvNS_4cuda6detail10TensorInfoIT_T0_EENS6_IKS7_S8_EEllS8_
	.p2align	8
	.type	_ZN2at6native16triu_tril_kernelIN3c104HalfElLb1ELi4ELb1EEEvNS_4cuda6detail10TensorInfoIT_T0_EENS6_IKS7_S8_EEllS8_,@function
_ZN2at6native16triu_tril_kernelIN3c104HalfElLb1ELi4ELb1EEEvNS_4cuda6detail10TensorInfoIT_T0_EENS6_IKS7_S8_EEllS8_: ; @_ZN2at6native16triu_tril_kernelIN3c104HalfElLb1ELi4ELb1EEEvNS_4cuda6detail10TensorInfoIT_T0_EENS6_IKS7_S8_EEllS8_
; %bb.0:
	s_load_dword s2, s[4:5], 0x364
	s_load_dwordx4 s[8:11], s[4:5], 0x340
	s_add_u32 s0, s4, 0x358
	v_mov_b32_e32 v2, 0
	s_addc_u32 s1, s5, 0
	s_waitcnt lgkmcnt(0)
	s_and_b32 s2, s2, 0xffff
	v_mov_b32_e32 v1, v2
	v_mov_b32_e32 v3, s6
	v_mad_u64_u32 v[0:1], s[6:7], s2, v3, v[0:1]
	v_lshlrev_b64 v[0:1], 2, v[0:1]
	v_cmp_gt_i64_e32 vcc, s[10:11], v[0:1]
	s_and_saveexec_b64 s[6:7], vcc
	s_cbranch_execz .LBB94_47
; %bb.1:
	s_load_dword s1, s[0:1], 0x0
	s_add_u32 s34, s4, 0x1a0
	s_load_dword s0, s[4:5], 0x338
	s_addc_u32 s35, s5, 0
	s_load_dwordx2 s[6:7], s[4:5], 0x350
	s_load_dwordx2 s[12:13], s[4:5], 0x0
	s_waitcnt lgkmcnt(0)
	s_mul_i32 s24, s1, s2
	s_mov_b32 s25, 0
	s_add_i32 s2, s0, -2
	s_ashr_i32 s3, s2, 31
	s_ashr_i32 s1, s0, 31
	s_lshl_b64 s[16:17], s[2:3], 3
	s_add_u32 s16, s34, s16
	s_addc_u32 s17, s35, s17
	s_lshl_b64 s[22:23], s[0:1], 3
	s_add_u32 s18, s4, s22
	s_addc_u32 s19, s5, s23
	s_add_i32 s20, s0, -3
	s_ashr_i32 s21, s20, 31
	s_add_u32 s22, s34, s22
	v_cmp_gt_i64_e64 s[14:15], s[0:1], 2
	s_addc_u32 s23, s35, s23
	s_lshl_b32 s33, s24, 2
	s_and_b32 s24, s2, 3
	s_and_b32 s0, s20, 3
	s_cmp_lg_u32 s0, 3
	s_cselect_b64 s[26:27], -1, 0
	s_cmp_gt_u32 s20, 2
	s_cselect_b64 s[28:29], -1, 0
	s_lshl_b64 s[0:1], s[20:21], 3
	s_add_u32 s2, s4, s0
	s_addc_u32 s3, s5, s1
	s_add_u32 s30, s2, 0xd0
	s_addc_u32 s31, s3, 0
	;; [unrolled: 2-line block ×3, first 2 shown]
	s_add_u32 s34, s0, 8
	s_load_dwordx2 s[16:17], s[16:17], 0x8
	s_addc_u32 s35, s1, 0
	s_add_u32 s64, s4, 0xb8
	s_addc_u32 s65, s5, 0
	s_add_u32 s66, s4, 0x190
	s_addc_u32 s67, s5, 0
	s_mov_b64 s[4:5], 0
	s_branch .LBB94_3
.LBB94_2:                               ;   in Loop: Header=BB94_3 Depth=1
	s_or_b64 exec, exec, s[36:37]
	v_add_co_u32_e32 v0, vcc, s33, v0
	v_addc_co_u32_e32 v1, vcc, 0, v1, vcc
	v_cmp_le_i64_e32 vcc, s[10:11], v[0:1]
	s_or_b64 s[4:5], vcc, s[4:5]
	s_andn2_b64 exec, exec, s[4:5]
	s_cbranch_execz .LBB94_47
.LBB94_3:                               ; =>This Loop Header: Depth=1
                                        ;     Child Loop BB94_17 Depth 2
                                        ;     Child Loop BB94_22 Depth 2
	v_or_b32_e32 v3, s7, v1
	v_cmp_ne_u64_e32 vcc, 0, v[2:3]
                                        ; implicit-def: $vgpr6_vgpr7
	s_and_saveexec_b64 s[0:1], vcc
	s_xor_b64 s[2:3], exec, s[0:1]
	s_cbranch_execz .LBB94_5
; %bb.4:                                ;   in Loop: Header=BB94_3 Depth=1
	s_ashr_i32 s36, s7, 31
	s_add_u32 s0, s6, s36
	s_mov_b32 s37, s36
	s_addc_u32 s1, s7, s36
	s_xor_b64 s[38:39], s[0:1], s[36:37]
	v_cvt_f32_u32_e32 v3, s38
	v_cvt_f32_u32_e32 v4, s39
	s_sub_u32 s37, 0, s38
	s_subb_u32 s40, 0, s39
	v_ashrrev_i32_e32 v7, 31, v1
	v_mac_f32_e32 v3, 0x4f800000, v4
	v_rcp_f32_e32 v3, v3
	v_mul_f32_e32 v3, 0x5f7ffffc, v3
	v_mul_f32_e32 v4, 0x2f800000, v3
	v_trunc_f32_e32 v4, v4
	v_mac_f32_e32 v3, 0xcf800000, v4
	v_cvt_u32_f32_e32 v4, v4
	v_cvt_u32_f32_e32 v3, v3
	v_readfirstlane_b32 s41, v4
	v_readfirstlane_b32 s0, v3
	s_mul_i32 s1, s37, s41
	s_mul_hi_u32 s43, s37, s0
	s_mul_i32 s42, s40, s0
	s_add_i32 s1, s43, s1
	s_add_i32 s1, s1, s42
	s_mul_i32 s44, s37, s0
	s_mul_i32 s43, s0, s1
	s_mul_hi_u32 s45, s0, s44
	s_mul_hi_u32 s42, s0, s1
	s_add_u32 s43, s45, s43
	s_addc_u32 s42, 0, s42
	s_mul_hi_u32 s46, s41, s44
	s_mul_i32 s44, s41, s44
	s_add_u32 s43, s43, s44
	s_mul_hi_u32 s45, s41, s1
	s_addc_u32 s42, s42, s46
	s_addc_u32 s43, s45, 0
	s_mul_i32 s1, s41, s1
	s_add_u32 s1, s42, s1
	s_addc_u32 s42, 0, s43
	s_add_u32 s43, s0, s1
	s_cselect_b64 s[0:1], -1, 0
	s_cmp_lg_u64 s[0:1], 0
	s_addc_u32 s41, s41, s42
	s_mul_i32 s0, s37, s41
	s_mul_hi_u32 s1, s37, s43
	s_add_i32 s0, s1, s0
	s_mul_i32 s40, s40, s43
	s_add_i32 s0, s0, s40
	s_mul_i32 s37, s37, s43
	s_mul_hi_u32 s40, s41, s37
	s_mul_i32 s42, s41, s37
	s_mul_i32 s45, s43, s0
	s_mul_hi_u32 s37, s43, s37
	s_mul_hi_u32 s44, s43, s0
	s_add_u32 s37, s37, s45
	s_addc_u32 s44, 0, s44
	s_add_u32 s37, s37, s42
	s_mul_hi_u32 s1, s41, s0
	s_addc_u32 s37, s44, s40
	s_addc_u32 s1, s1, 0
	s_mul_i32 s0, s41, s0
	s_add_u32 s0, s37, s0
	s_addc_u32 s37, 0, s1
	s_add_u32 s40, s43, s0
	s_cselect_b64 s[0:1], -1, 0
	s_cmp_lg_u64 s[0:1], 0
	v_add_co_u32_e32 v3, vcc, v0, v7
	s_addc_u32 s37, s41, s37
	v_xor_b32_e32 v8, v3, v7
	v_mad_u64_u32 v[3:4], s[0:1], v8, s37, 0
	v_mul_hi_u32 v6, v8, s40
	v_addc_co_u32_e32 v5, vcc, v1, v7, vcc
	v_xor_b32_e32 v9, v5, v7
	v_add_co_u32_e32 v10, vcc, v6, v3
	v_addc_co_u32_e32 v11, vcc, 0, v4, vcc
	v_mad_u64_u32 v[3:4], s[0:1], v9, s40, 0
	v_mad_u64_u32 v[5:6], s[0:1], v9, s37, 0
	v_add_co_u32_e32 v3, vcc, v10, v3
	v_addc_co_u32_e32 v3, vcc, v11, v4, vcc
	v_addc_co_u32_e32 v4, vcc, 0, v6, vcc
	v_add_co_u32_e32 v5, vcc, v3, v5
	v_addc_co_u32_e32 v6, vcc, 0, v4, vcc
	v_mul_lo_u32 v10, s39, v5
	v_mul_lo_u32 v11, s38, v6
	v_mad_u64_u32 v[3:4], s[0:1], s38, v5, 0
	v_add3_u32 v4, v4, v11, v10
	v_sub_u32_e32 v10, v9, v4
	v_mov_b32_e32 v11, s39
	v_sub_co_u32_e32 v3, vcc, v8, v3
	v_subb_co_u32_e64 v8, s[0:1], v10, v11, vcc
	v_subrev_co_u32_e64 v10, s[0:1], s38, v3
	v_subbrev_co_u32_e64 v8, s[0:1], 0, v8, s[0:1]
	v_cmp_le_u32_e64 s[0:1], s39, v8
	v_cndmask_b32_e64 v11, 0, -1, s[0:1]
	v_cmp_le_u32_e64 s[0:1], s38, v10
	v_cndmask_b32_e64 v10, 0, -1, s[0:1]
	v_cmp_eq_u32_e64 s[0:1], s39, v8
	v_cndmask_b32_e64 v8, v11, v10, s[0:1]
	v_add_co_u32_e64 v10, s[0:1], 2, v5
	v_subb_co_u32_e32 v4, vcc, v9, v4, vcc
	v_addc_co_u32_e64 v11, s[0:1], 0, v6, s[0:1]
	v_cmp_le_u32_e32 vcc, s39, v4
	v_add_co_u32_e64 v12, s[0:1], 1, v5
	v_cndmask_b32_e64 v9, 0, -1, vcc
	v_cmp_le_u32_e32 vcc, s38, v3
	v_addc_co_u32_e64 v13, s[0:1], 0, v6, s[0:1]
	v_cndmask_b32_e64 v3, 0, -1, vcc
	v_cmp_eq_u32_e32 vcc, s39, v4
	v_cmp_ne_u32_e64 s[0:1], 0, v8
	v_cndmask_b32_e32 v3, v9, v3, vcc
	v_cmp_ne_u32_e32 vcc, 0, v3
	v_cndmask_b32_e64 v4, v12, v10, s[0:1]
	v_cndmask_b32_e64 v8, v13, v11, s[0:1]
	v_cndmask_b32_e32 v4, v5, v4, vcc
	v_xor_b32_e32 v5, s36, v7
	v_cndmask_b32_e32 v3, v6, v8, vcc
	v_xor_b32_e32 v4, v4, v5
	v_xor_b32_e32 v3, v3, v5
	v_sub_co_u32_e32 v6, vcc, v4, v5
	v_subb_co_u32_e32 v7, vcc, v3, v5, vcc
.LBB94_5:                               ;   in Loop: Header=BB94_3 Depth=1
	s_andn2_saveexec_b64 s[0:1], s[2:3]
	s_cbranch_execz .LBB94_7
; %bb.6:                                ;   in Loop: Header=BB94_3 Depth=1
	v_cvt_f32_u32_e32 v3, s6
	s_sub_i32 s2, 0, s6
	v_mov_b32_e32 v7, v2
	v_rcp_iflag_f32_e32 v3, v3
	v_mul_f32_e32 v3, 0x4f7ffffe, v3
	v_cvt_u32_f32_e32 v3, v3
	v_mul_lo_u32 v4, s2, v3
	v_mul_hi_u32 v4, v3, v4
	v_add_u32_e32 v3, v3, v4
	v_mul_hi_u32 v3, v0, v3
	v_mul_lo_u32 v4, v3, s6
	v_add_u32_e32 v5, 1, v3
	v_sub_u32_e32 v4, v0, v4
	v_subrev_u32_e32 v6, s6, v4
	v_cmp_le_u32_e32 vcc, s6, v4
	v_cndmask_b32_e32 v4, v4, v6, vcc
	v_cndmask_b32_e32 v3, v3, v5, vcc
	v_add_u32_e32 v5, 1, v3
	v_cmp_le_u32_e32 vcc, s6, v4
	v_cndmask_b32_e32 v6, v3, v5, vcc
.LBB94_7:                               ;   in Loop: Header=BB94_3 Depth=1
	s_or_b64 exec, exec, s[0:1]
	s_waitcnt lgkmcnt(0)
	v_or_b32_e32 v3, s17, v7
	v_cmp_ne_u64_e32 vcc, 0, v[2:3]
                                        ; implicit-def: $vgpr8_vgpr9
	s_and_saveexec_b64 s[0:1], vcc
	s_xor_b64 s[2:3], exec, s[0:1]
	s_cbranch_execz .LBB94_9
; %bb.8:                                ;   in Loop: Header=BB94_3 Depth=1
	s_ashr_i32 s36, s17, 31
	s_add_u32 s0, s16, s36
	s_mov_b32 s37, s36
	s_addc_u32 s1, s17, s36
	s_xor_b64 s[38:39], s[0:1], s[36:37]
	v_cvt_f32_u32_e32 v3, s38
	v_cvt_f32_u32_e32 v4, s39
	s_sub_u32 s37, 0, s38
	s_subb_u32 s40, 0, s39
	v_ashrrev_i32_e32 v5, 31, v7
	v_mac_f32_e32 v3, 0x4f800000, v4
	v_rcp_f32_e32 v3, v3
	v_mul_f32_e32 v3, 0x5f7ffffc, v3
	v_mul_f32_e32 v4, 0x2f800000, v3
	v_trunc_f32_e32 v4, v4
	v_mac_f32_e32 v3, 0xcf800000, v4
	v_cvt_u32_f32_e32 v4, v4
	v_cvt_u32_f32_e32 v3, v3
	v_readfirstlane_b32 s41, v4
	v_readfirstlane_b32 s0, v3
	s_mul_i32 s1, s37, s41
	s_mul_hi_u32 s43, s37, s0
	s_mul_i32 s42, s40, s0
	s_add_i32 s1, s43, s1
	s_add_i32 s1, s1, s42
	s_mul_i32 s44, s37, s0
	s_mul_i32 s43, s0, s1
	s_mul_hi_u32 s45, s0, s44
	s_mul_hi_u32 s42, s0, s1
	s_add_u32 s43, s45, s43
	s_addc_u32 s42, 0, s42
	s_mul_hi_u32 s46, s41, s44
	s_mul_i32 s44, s41, s44
	s_add_u32 s43, s43, s44
	s_mul_hi_u32 s45, s41, s1
	s_addc_u32 s42, s42, s46
	s_addc_u32 s43, s45, 0
	s_mul_i32 s1, s41, s1
	s_add_u32 s1, s42, s1
	s_addc_u32 s42, 0, s43
	s_add_u32 s43, s0, s1
	s_cselect_b64 s[0:1], -1, 0
	s_cmp_lg_u64 s[0:1], 0
	s_addc_u32 s41, s41, s42
	s_mul_i32 s0, s37, s41
	s_mul_hi_u32 s1, s37, s43
	s_add_i32 s0, s1, s0
	s_mul_i32 s40, s40, s43
	s_add_i32 s0, s0, s40
	s_mul_i32 s37, s37, s43
	s_mul_hi_u32 s40, s41, s37
	s_mul_i32 s42, s41, s37
	s_mul_i32 s45, s43, s0
	s_mul_hi_u32 s37, s43, s37
	s_mul_hi_u32 s44, s43, s0
	s_add_u32 s37, s37, s45
	s_addc_u32 s44, 0, s44
	s_add_u32 s37, s37, s42
	s_mul_hi_u32 s1, s41, s0
	s_addc_u32 s37, s44, s40
	s_addc_u32 s1, s1, 0
	s_mul_i32 s0, s41, s0
	s_add_u32 s0, s37, s0
	s_addc_u32 s37, 0, s1
	s_add_u32 s40, s43, s0
	s_cselect_b64 s[0:1], -1, 0
	s_cmp_lg_u64 s[0:1], 0
	v_add_co_u32_e32 v3, vcc, v6, v5
	s_addc_u32 s37, s41, s37
	v_xor_b32_e32 v10, v3, v5
	v_mad_u64_u32 v[3:4], s[0:1], v10, s37, 0
	v_mul_hi_u32 v9, v10, s40
	v_addc_co_u32_e32 v8, vcc, v7, v5, vcc
	v_xor_b32_e32 v11, v8, v5
	v_add_co_u32_e32 v12, vcc, v9, v3
	v_addc_co_u32_e32 v13, vcc, 0, v4, vcc
	v_mad_u64_u32 v[3:4], s[0:1], v11, s40, 0
	v_mad_u64_u32 v[8:9], s[0:1], v11, s37, 0
	v_add_co_u32_e32 v3, vcc, v12, v3
	v_addc_co_u32_e32 v3, vcc, v13, v4, vcc
	v_addc_co_u32_e32 v4, vcc, 0, v9, vcc
	v_add_co_u32_e32 v8, vcc, v3, v8
	v_addc_co_u32_e32 v9, vcc, 0, v4, vcc
	v_mul_lo_u32 v12, s39, v8
	v_mul_lo_u32 v13, s38, v9
	v_mad_u64_u32 v[3:4], s[0:1], s38, v8, 0
	v_xor_b32_e32 v5, s36, v5
	v_add3_u32 v4, v4, v13, v12
	v_sub_u32_e32 v12, v11, v4
	v_mov_b32_e32 v13, s39
	v_sub_co_u32_e32 v3, vcc, v10, v3
	v_subb_co_u32_e64 v10, s[0:1], v12, v13, vcc
	v_subrev_co_u32_e64 v12, s[0:1], s38, v3
	v_subbrev_co_u32_e64 v10, s[0:1], 0, v10, s[0:1]
	v_cmp_le_u32_e64 s[0:1], s39, v10
	v_cndmask_b32_e64 v13, 0, -1, s[0:1]
	v_cmp_le_u32_e64 s[0:1], s38, v12
	v_cndmask_b32_e64 v12, 0, -1, s[0:1]
	v_cmp_eq_u32_e64 s[0:1], s39, v10
	v_cndmask_b32_e64 v10, v13, v12, s[0:1]
	v_add_co_u32_e64 v12, s[0:1], 2, v8
	v_subb_co_u32_e32 v4, vcc, v11, v4, vcc
	v_addc_co_u32_e64 v13, s[0:1], 0, v9, s[0:1]
	v_cmp_le_u32_e32 vcc, s39, v4
	v_add_co_u32_e64 v14, s[0:1], 1, v8
	v_cndmask_b32_e64 v11, 0, -1, vcc
	v_cmp_le_u32_e32 vcc, s38, v3
	v_addc_co_u32_e64 v15, s[0:1], 0, v9, s[0:1]
	v_cndmask_b32_e64 v3, 0, -1, vcc
	v_cmp_eq_u32_e32 vcc, s39, v4
	v_cmp_ne_u32_e64 s[0:1], 0, v10
	v_cndmask_b32_e32 v3, v11, v3, vcc
	v_cmp_ne_u32_e32 vcc, 0, v3
	v_cndmask_b32_e64 v4, v14, v12, s[0:1]
	v_cndmask_b32_e64 v10, v15, v13, s[0:1]
	v_cndmask_b32_e32 v4, v8, v4, vcc
	v_cndmask_b32_e32 v3, v9, v10, vcc
	v_xor_b32_e32 v4, v4, v5
	v_xor_b32_e32 v3, v3, v5
	v_sub_co_u32_e32 v8, vcc, v4, v5
	v_subb_co_u32_e32 v9, vcc, v3, v5, vcc
.LBB94_9:                               ;   in Loop: Header=BB94_3 Depth=1
	s_andn2_saveexec_b64 s[0:1], s[2:3]
	s_cbranch_execz .LBB94_11
; %bb.10:                               ;   in Loop: Header=BB94_3 Depth=1
	v_cvt_f32_u32_e32 v3, s16
	s_sub_i32 s2, 0, s16
	v_mov_b32_e32 v9, v2
	v_rcp_iflag_f32_e32 v3, v3
	v_mul_f32_e32 v3, 0x4f7ffffe, v3
	v_cvt_u32_f32_e32 v3, v3
	v_mul_lo_u32 v4, s2, v3
	v_mul_hi_u32 v4, v3, v4
	v_add_u32_e32 v3, v3, v4
	v_mul_hi_u32 v3, v6, v3
	v_mul_lo_u32 v4, v3, s16
	v_add_u32_e32 v5, 1, v3
	v_sub_u32_e32 v4, v6, v4
	v_subrev_u32_e32 v8, s16, v4
	v_cmp_le_u32_e32 vcc, s16, v4
	v_cndmask_b32_e32 v4, v4, v8, vcc
	v_cndmask_b32_e32 v3, v3, v5, vcc
	v_add_u32_e32 v5, 1, v3
	v_cmp_le_u32_e32 vcc, s16, v4
	v_cndmask_b32_e32 v8, v3, v5, vcc
.LBB94_11:                              ;   in Loop: Header=BB94_3 Depth=1
	s_or_b64 exec, exec, s[0:1]
	v_mul_lo_u32 v5, v7, s6
	v_mul_lo_u32 v10, v6, s7
	v_mad_u64_u32 v[3:4], s[0:1], v6, s6, 0
	v_mul_lo_u32 v12, v9, s16
	v_mul_lo_u32 v13, v8, s17
	v_add3_u32 v5, v4, v10, v5
	v_mad_u64_u32 v[10:11], s[0:1], v8, s16, 0
	v_sub_co_u32_e32 v4, vcc, v0, v3
	v_subb_co_u32_e32 v5, vcc, v1, v5, vcc
	v_add3_u32 v3, v11, v13, v12
	v_sub_co_u32_e32 v18, vcc, v6, v10
	v_subb_co_u32_e32 v19, vcc, v7, v3, vcc
	v_sub_co_u32_e32 v6, vcc, v4, v18
	v_subb_co_u32_e32 v7, vcc, v5, v19, vcc
	v_cmp_gt_i64_e32 vcc, s[8:9], v[6:7]
	s_and_saveexec_b64 s[36:37], vcc
	s_cbranch_execz .LBB94_2
; %bb.12:                               ;   in Loop: Header=BB94_3 Depth=1
	s_load_dwordx4 s[0:3], s[18:19], 0xc0
	s_andn2_b64 vcc, exec, s[14:15]
	s_waitcnt lgkmcnt(0)
	v_mul_lo_u32 v3, s3, v4
	v_mul_lo_u32 v10, s2, v5
	v_mad_u64_u32 v[6:7], s[38:39], s2, v4, 0
	v_mul_lo_u32 v11, s0, v19
	v_add3_u32 v7, v7, v10, v3
	v_mad_u64_u32 v[6:7], s[38:39], s0, v18, v[6:7]
	v_mul_lo_u32 v3, s1, v18
	v_add3_u32 v7, v3, v7, v11
	s_cbranch_vccnz .LBB94_38
; %bb.13:                               ;   in Loop: Header=BB94_3 Depth=1
	s_andn2_b64 vcc, exec, s[26:27]
	s_mov_b64 s[38:39], s[24:25]
	s_mov_b64 s[40:41], s[34:35]
	;; [unrolled: 1-line block ×4, first 2 shown]
	s_cbranch_vccz .LBB94_17
.LBB94_14:                              ;   in Loop: Header=BB94_3 Depth=1
	s_andn2_b64 vcc, exec, s[28:29]
	s_cbranch_vccnz .LBB94_38
; %bb.15:                               ;   in Loop: Header=BB94_3 Depth=1
	s_lshl_b64 s[0:1], s[42:43], 3
	s_add_u32 s38, s64, s0
	s_addc_u32 s39, s65, s1
	s_add_u32 s40, s66, s0
	s_addc_u32 s41, s67, s1
	s_add_u32 s42, s42, 1
	s_addc_u32 s43, s43, 0
	s_branch .LBB94_22
.LBB94_16:                              ;   in Loop: Header=BB94_17 Depth=2
	s_or_b64 exec, exec, s[0:1]
	v_mul_lo_u32 v3, v11, s46
	v_mul_lo_u32 v14, v10, s47
	v_mad_u64_u32 v[12:13], s[0:1], v10, s46, 0
	s_load_dwordx2 s[0:1], s[44:45], 0x0
	s_add_u32 s42, s42, -1
	v_add3_u32 v3, v13, v14, v3
	v_sub_co_u32_e32 v8, vcc, v8, v12
	s_addc_u32 s43, s43, -1
	v_subb_co_u32_e32 v3, vcc, v9, v3, vcc
	s_add_u32 s44, s44, -8
	s_waitcnt lgkmcnt(0)
	v_mul_lo_u32 v3, s0, v3
	v_mul_lo_u32 v9, s1, v8
	v_mad_u64_u32 v[6:7], s[0:1], s0, v8, v[6:7]
	s_addc_u32 s45, s45, -1
	s_add_u32 s40, s40, -8
	s_addc_u32 s41, s41, -1
	s_add_u32 s38, s38, -1
	s_addc_u32 s39, s39, -1
	v_add3_u32 v7, v9, v7, v3
	v_mov_b32_e32 v8, v10
	s_cmp_lg_u64 s[38:39], 0
	v_mov_b32_e32 v9, v11
	s_cbranch_scc0 .LBB94_14
.LBB94_17:                              ;   Parent Loop BB94_3 Depth=1
                                        ; =>  This Inner Loop Header: Depth=2
	s_load_dwordx2 s[46:47], s[40:41], 0x0
                                        ; implicit-def: $vgpr10_vgpr11
	s_waitcnt lgkmcnt(0)
	v_or_b32_e32 v3, s47, v9
	v_cmp_ne_u64_e32 vcc, 0, v[2:3]
	s_and_saveexec_b64 s[0:1], vcc
	s_xor_b64 s[48:49], exec, s[0:1]
	s_cbranch_execz .LBB94_19
; %bb.18:                               ;   in Loop: Header=BB94_17 Depth=2
	s_ashr_i32 s50, s47, 31
	s_add_u32 s0, s46, s50
	s_mov_b32 s51, s50
	s_addc_u32 s1, s47, s50
	s_xor_b64 s[52:53], s[0:1], s[50:51]
	v_cvt_f32_u32_e32 v3, s52
	v_cvt_f32_u32_e32 v10, s53
	s_sub_u32 s51, 0, s52
	s_subb_u32 s54, 0, s53
	v_mac_f32_e32 v3, 0x4f800000, v10
	v_rcp_f32_e32 v3, v3
	v_mul_f32_e32 v3, 0x5f7ffffc, v3
	v_mul_f32_e32 v10, 0x2f800000, v3
	v_trunc_f32_e32 v10, v10
	v_mac_f32_e32 v3, 0xcf800000, v10
	v_cvt_u32_f32_e32 v10, v10
	v_cvt_u32_f32_e32 v3, v3
	v_readfirstlane_b32 s55, v10
	v_readfirstlane_b32 s0, v3
	s_mul_i32 s1, s51, s55
	s_mul_hi_u32 s57, s51, s0
	s_mul_i32 s56, s54, s0
	s_add_i32 s1, s57, s1
	s_add_i32 s1, s1, s56
	s_mul_i32 s58, s51, s0
	s_mul_i32 s57, s0, s1
	s_mul_hi_u32 s59, s0, s58
	s_mul_hi_u32 s56, s0, s1
	s_add_u32 s57, s59, s57
	s_addc_u32 s56, 0, s56
	s_mul_hi_u32 s60, s55, s58
	s_mul_i32 s58, s55, s58
	s_add_u32 s57, s57, s58
	s_mul_hi_u32 s59, s55, s1
	s_addc_u32 s56, s56, s60
	s_addc_u32 s57, s59, 0
	s_mul_i32 s1, s55, s1
	s_add_u32 s1, s56, s1
	s_addc_u32 s56, 0, s57
	s_add_u32 s57, s0, s1
	s_cselect_b64 s[0:1], -1, 0
	s_cmp_lg_u64 s[0:1], 0
	s_addc_u32 s55, s55, s56
	s_mul_i32 s0, s51, s55
	s_mul_hi_u32 s1, s51, s57
	s_add_i32 s0, s1, s0
	s_mul_i32 s54, s54, s57
	s_add_i32 s0, s0, s54
	s_mul_i32 s51, s51, s57
	s_mul_hi_u32 s54, s55, s51
	s_mul_i32 s56, s55, s51
	s_mul_i32 s59, s57, s0
	s_mul_hi_u32 s51, s57, s51
	s_mul_hi_u32 s58, s57, s0
	s_add_u32 s51, s51, s59
	s_addc_u32 s58, 0, s58
	s_add_u32 s51, s51, s56
	s_mul_hi_u32 s1, s55, s0
	s_addc_u32 s51, s58, s54
	s_addc_u32 s1, s1, 0
	s_mul_i32 s0, s55, s0
	s_add_u32 s0, s51, s0
	s_addc_u32 s51, 0, s1
	s_add_u32 s54, s57, s0
	s_cselect_b64 s[0:1], -1, 0
	v_ashrrev_i32_e32 v3, 31, v9
	s_cmp_lg_u64 s[0:1], 0
	v_add_co_u32_e32 v10, vcc, v8, v3
	s_addc_u32 s51, s55, s51
	v_xor_b32_e32 v14, v10, v3
	v_mad_u64_u32 v[10:11], s[0:1], v14, s51, 0
	v_mul_hi_u32 v13, v14, s54
	v_addc_co_u32_e32 v12, vcc, v9, v3, vcc
	v_xor_b32_e32 v15, v12, v3
	v_add_co_u32_e32 v16, vcc, v13, v10
	v_addc_co_u32_e32 v17, vcc, 0, v11, vcc
	v_mad_u64_u32 v[10:11], s[0:1], v15, s54, 0
	v_mad_u64_u32 v[12:13], s[0:1], v15, s51, 0
	v_add_co_u32_e32 v10, vcc, v16, v10
	v_addc_co_u32_e32 v10, vcc, v17, v11, vcc
	v_addc_co_u32_e32 v11, vcc, 0, v13, vcc
	v_add_co_u32_e32 v12, vcc, v10, v12
	v_addc_co_u32_e32 v13, vcc, 0, v11, vcc
	v_mul_lo_u32 v16, s53, v12
	v_mul_lo_u32 v17, s52, v13
	v_mad_u64_u32 v[10:11], s[0:1], s52, v12, 0
	v_xor_b32_e32 v3, s50, v3
	v_add3_u32 v11, v11, v17, v16
	v_sub_u32_e32 v16, v15, v11
	v_mov_b32_e32 v17, s53
	v_sub_co_u32_e32 v10, vcc, v14, v10
	v_subb_co_u32_e64 v14, s[0:1], v16, v17, vcc
	v_subrev_co_u32_e64 v16, s[0:1], s52, v10
	v_subbrev_co_u32_e64 v14, s[0:1], 0, v14, s[0:1]
	v_cmp_le_u32_e64 s[0:1], s53, v14
	v_cndmask_b32_e64 v17, 0, -1, s[0:1]
	v_cmp_le_u32_e64 s[0:1], s52, v16
	v_cndmask_b32_e64 v16, 0, -1, s[0:1]
	v_cmp_eq_u32_e64 s[0:1], s53, v14
	v_cndmask_b32_e64 v14, v17, v16, s[0:1]
	v_add_co_u32_e64 v16, s[0:1], 2, v12
	v_subb_co_u32_e32 v11, vcc, v15, v11, vcc
	v_addc_co_u32_e64 v17, s[0:1], 0, v13, s[0:1]
	v_cmp_le_u32_e32 vcc, s53, v11
	v_add_co_u32_e64 v20, s[0:1], 1, v12
	v_cndmask_b32_e64 v15, 0, -1, vcc
	v_cmp_le_u32_e32 vcc, s52, v10
	v_addc_co_u32_e64 v21, s[0:1], 0, v13, s[0:1]
	v_cndmask_b32_e64 v10, 0, -1, vcc
	v_cmp_eq_u32_e32 vcc, s53, v11
	v_cmp_ne_u32_e64 s[0:1], 0, v14
	v_cndmask_b32_e32 v10, v15, v10, vcc
	v_cndmask_b32_e64 v14, v21, v17, s[0:1]
	v_cmp_ne_u32_e32 vcc, 0, v10
	v_cndmask_b32_e64 v11, v20, v16, s[0:1]
	v_cndmask_b32_e32 v10, v13, v14, vcc
	v_cndmask_b32_e32 v11, v12, v11, vcc
	v_xor_b32_e32 v12, v10, v3
	v_xor_b32_e32 v10, v11, v3
	v_sub_co_u32_e32 v10, vcc, v10, v3
	v_subb_co_u32_e32 v11, vcc, v12, v3, vcc
.LBB94_19:                              ;   in Loop: Header=BB94_17 Depth=2
	s_andn2_saveexec_b64 s[0:1], s[48:49]
	s_cbranch_execz .LBB94_16
; %bb.20:                               ;   in Loop: Header=BB94_17 Depth=2
	v_cvt_f32_u32_e32 v3, s46
	s_sub_i32 s48, 0, s46
	v_rcp_iflag_f32_e32 v3, v3
	v_mul_f32_e32 v3, 0x4f7ffffe, v3
	v_cvt_u32_f32_e32 v3, v3
	v_mul_lo_u32 v10, s48, v3
	v_mul_hi_u32 v10, v3, v10
	v_add_u32_e32 v3, v3, v10
	v_mul_hi_u32 v3, v8, v3
	v_mul_lo_u32 v10, v3, s46
	v_add_u32_e32 v11, 1, v3
	v_sub_u32_e32 v10, v8, v10
	v_subrev_u32_e32 v12, s46, v10
	v_cmp_le_u32_e32 vcc, s46, v10
	v_cndmask_b32_e32 v10, v10, v12, vcc
	v_cndmask_b32_e32 v3, v3, v11, vcc
	v_add_u32_e32 v11, 1, v3
	v_cmp_le_u32_e32 vcc, s46, v10
	v_cndmask_b32_e32 v10, v3, v11, vcc
	v_mov_b32_e32 v11, v2
	s_branch .LBB94_16
.LBB94_21:                              ;   in Loop: Header=BB94_22 Depth=2
	s_or_b64 exec, exec, s[0:1]
	v_mul_lo_u32 v3, v11, s44
	v_mul_lo_u32 v22, v10, s45
	v_mad_u64_u32 v[20:21], s[0:1], v10, s44, 0
	v_add3_u32 v3, v21, v22, v3
	v_sub_co_u32_e32 v8, vcc, v8, v20
	v_subb_co_u32_e32 v3, vcc, v9, v3, vcc
	v_mul_lo_u32 v3, s48, v3
	v_mul_lo_u32 v20, s49, v8
	v_mad_u64_u32 v[6:7], s[0:1], s48, v8, v[6:7]
	v_mul_lo_u32 v21, v13, s46
	v_mul_lo_u32 v22, v12, s47
	v_mad_u64_u32 v[8:9], s[0:1], v12, s46, 0
	v_add3_u32 v7, v20, v7, v3
	v_mul_lo_u32 v20, v14, s51
	v_add3_u32 v3, v9, v22, v21
	v_sub_co_u32_e32 v8, vcc, v10, v8
	v_subb_co_u32_e32 v3, vcc, v11, v3, vcc
	v_mad_u64_u32 v[6:7], s[0:1], s52, v8, v[6:7]
	v_mul_lo_u32 v3, s52, v3
	v_mul_lo_u32 v10, s53, v8
	;; [unrolled: 1-line block ×3, first 2 shown]
	v_mad_u64_u32 v[8:9], s[0:1], v14, s50, 0
	v_add3_u32 v7, v10, v7, v3
	v_add3_u32 v3, v9, v20, v11
	v_sub_co_u32_e32 v8, vcc, v12, v8
	v_subb_co_u32_e32 v3, vcc, v13, v3, vcc
	v_mad_u64_u32 v[6:7], s[0:1], s56, v8, v[6:7]
	v_mul_lo_u32 v3, s56, v3
	v_mul_lo_u32 v10, s57, v8
	;; [unrolled: 1-line block ×4, first 2 shown]
	v_mad_u64_u32 v[8:9], s[0:1], v16, s54, 0
	s_load_dwordx2 s[0:1], s[38:39], 0x0
	v_add3_u32 v7, v10, v7, v3
	v_add3_u32 v3, v9, v12, v11
	v_sub_co_u32_e32 v8, vcc, v14, v8
	v_subb_co_u32_e32 v3, vcc, v15, v3, vcc
	s_add_u32 s38, s38, 0xffffffe0
	s_waitcnt lgkmcnt(0)
	v_mad_u64_u32 v[6:7], s[44:45], s0, v8, v[6:7]
	v_mul_lo_u32 v3, s0, v3
	v_mul_lo_u32 v8, s1, v8
	s_addc_u32 s39, s39, -1
	s_add_u32 s40, s40, 0xffffffe0
	s_addc_u32 s41, s41, -1
	s_add_u32 s42, s42, -4
	v_add3_u32 v7, v8, v7, v3
	s_addc_u32 s43, s43, -1
	v_mov_b32_e32 v8, v16
	s_cmp_eq_u64 s[42:43], 0
	v_mov_b32_e32 v9, v17
	s_cbranch_scc1 .LBB94_38
.LBB94_22:                              ;   Parent Loop BB94_3 Depth=1
                                        ; =>  This Inner Loop Header: Depth=2
	s_load_dwordx2 s[44:45], s[40:41], 0x18
                                        ; implicit-def: $vgpr10_vgpr11
	s_waitcnt lgkmcnt(0)
	v_or_b32_e32 v3, s45, v9
	v_cmp_ne_u64_e32 vcc, 0, v[2:3]
	s_and_saveexec_b64 s[0:1], vcc
	s_xor_b64 s[46:47], exec, s[0:1]
	s_cbranch_execz .LBB94_24
; %bb.23:                               ;   in Loop: Header=BB94_22 Depth=2
	s_ashr_i32 s48, s45, 31
	s_add_u32 s0, s44, s48
	s_mov_b32 s49, s48
	s_addc_u32 s1, s45, s48
	s_xor_b64 s[50:51], s[0:1], s[48:49]
	v_cvt_f32_u32_e32 v3, s50
	v_cvt_f32_u32_e32 v10, s51
	s_sub_u32 s49, 0, s50
	s_subb_u32 s52, 0, s51
	v_mac_f32_e32 v3, 0x4f800000, v10
	v_rcp_f32_e32 v3, v3
	v_mul_f32_e32 v3, 0x5f7ffffc, v3
	v_mul_f32_e32 v10, 0x2f800000, v3
	v_trunc_f32_e32 v10, v10
	v_mac_f32_e32 v3, 0xcf800000, v10
	v_cvt_u32_f32_e32 v10, v10
	v_cvt_u32_f32_e32 v3, v3
	v_readfirstlane_b32 s53, v10
	v_readfirstlane_b32 s0, v3
	s_mul_i32 s1, s49, s53
	s_mul_hi_u32 s55, s49, s0
	s_mul_i32 s54, s52, s0
	s_add_i32 s1, s55, s1
	s_add_i32 s1, s1, s54
	s_mul_i32 s56, s49, s0
	s_mul_i32 s55, s0, s1
	s_mul_hi_u32 s57, s0, s56
	s_mul_hi_u32 s54, s0, s1
	s_add_u32 s55, s57, s55
	s_addc_u32 s54, 0, s54
	s_mul_hi_u32 s58, s53, s56
	s_mul_i32 s56, s53, s56
	s_add_u32 s55, s55, s56
	s_mul_hi_u32 s57, s53, s1
	s_addc_u32 s54, s54, s58
	s_addc_u32 s55, s57, 0
	s_mul_i32 s1, s53, s1
	s_add_u32 s1, s54, s1
	s_addc_u32 s54, 0, s55
	s_add_u32 s55, s0, s1
	s_cselect_b64 s[0:1], -1, 0
	s_cmp_lg_u64 s[0:1], 0
	s_addc_u32 s53, s53, s54
	s_mul_i32 s0, s49, s53
	s_mul_hi_u32 s1, s49, s55
	s_add_i32 s0, s1, s0
	s_mul_i32 s52, s52, s55
	s_add_i32 s0, s0, s52
	s_mul_i32 s49, s49, s55
	s_mul_hi_u32 s52, s53, s49
	s_mul_i32 s54, s53, s49
	s_mul_i32 s57, s55, s0
	s_mul_hi_u32 s49, s55, s49
	s_mul_hi_u32 s56, s55, s0
	s_add_u32 s49, s49, s57
	s_addc_u32 s56, 0, s56
	s_add_u32 s49, s49, s54
	s_mul_hi_u32 s1, s53, s0
	s_addc_u32 s49, s56, s52
	s_addc_u32 s1, s1, 0
	s_mul_i32 s0, s53, s0
	s_add_u32 s0, s49, s0
	s_addc_u32 s49, 0, s1
	s_add_u32 s52, s55, s0
	s_cselect_b64 s[0:1], -1, 0
	v_ashrrev_i32_e32 v3, 31, v9
	s_cmp_lg_u64 s[0:1], 0
	v_add_co_u32_e32 v10, vcc, v8, v3
	s_addc_u32 s49, s53, s49
	v_xor_b32_e32 v14, v10, v3
	v_mad_u64_u32 v[10:11], s[0:1], v14, s49, 0
	v_mul_hi_u32 v13, v14, s52
	v_addc_co_u32_e32 v12, vcc, v9, v3, vcc
	v_xor_b32_e32 v15, v12, v3
	v_add_co_u32_e32 v16, vcc, v13, v10
	v_addc_co_u32_e32 v17, vcc, 0, v11, vcc
	v_mad_u64_u32 v[10:11], s[0:1], v15, s52, 0
	v_mad_u64_u32 v[12:13], s[0:1], v15, s49, 0
	v_add_co_u32_e32 v10, vcc, v16, v10
	v_addc_co_u32_e32 v10, vcc, v17, v11, vcc
	v_addc_co_u32_e32 v11, vcc, 0, v13, vcc
	v_add_co_u32_e32 v12, vcc, v10, v12
	v_addc_co_u32_e32 v13, vcc, 0, v11, vcc
	v_mul_lo_u32 v16, s51, v12
	v_mul_lo_u32 v17, s50, v13
	v_mad_u64_u32 v[10:11], s[0:1], s50, v12, 0
	v_xor_b32_e32 v3, s48, v3
	v_add3_u32 v11, v11, v17, v16
	v_sub_u32_e32 v16, v15, v11
	v_mov_b32_e32 v17, s51
	v_sub_co_u32_e32 v10, vcc, v14, v10
	v_subb_co_u32_e64 v14, s[0:1], v16, v17, vcc
	v_subrev_co_u32_e64 v16, s[0:1], s50, v10
	v_subbrev_co_u32_e64 v14, s[0:1], 0, v14, s[0:1]
	v_cmp_le_u32_e64 s[0:1], s51, v14
	v_cndmask_b32_e64 v17, 0, -1, s[0:1]
	v_cmp_le_u32_e64 s[0:1], s50, v16
	v_cndmask_b32_e64 v16, 0, -1, s[0:1]
	v_cmp_eq_u32_e64 s[0:1], s51, v14
	v_cndmask_b32_e64 v14, v17, v16, s[0:1]
	v_add_co_u32_e64 v16, s[0:1], 2, v12
	v_subb_co_u32_e32 v11, vcc, v15, v11, vcc
	v_addc_co_u32_e64 v17, s[0:1], 0, v13, s[0:1]
	v_cmp_le_u32_e32 vcc, s51, v11
	v_add_co_u32_e64 v20, s[0:1], 1, v12
	v_cndmask_b32_e64 v15, 0, -1, vcc
	v_cmp_le_u32_e32 vcc, s50, v10
	v_addc_co_u32_e64 v21, s[0:1], 0, v13, s[0:1]
	v_cndmask_b32_e64 v10, 0, -1, vcc
	v_cmp_eq_u32_e32 vcc, s51, v11
	v_cmp_ne_u32_e64 s[0:1], 0, v14
	v_cndmask_b32_e32 v10, v15, v10, vcc
	v_cndmask_b32_e64 v14, v21, v17, s[0:1]
	v_cmp_ne_u32_e32 vcc, 0, v10
	v_cndmask_b32_e64 v11, v20, v16, s[0:1]
	v_cndmask_b32_e32 v10, v13, v14, vcc
	v_cndmask_b32_e32 v11, v12, v11, vcc
	v_xor_b32_e32 v12, v10, v3
	v_xor_b32_e32 v10, v11, v3
	v_sub_co_u32_e32 v10, vcc, v10, v3
	v_subb_co_u32_e32 v11, vcc, v12, v3, vcc
.LBB94_24:                              ;   in Loop: Header=BB94_22 Depth=2
	s_andn2_saveexec_b64 s[0:1], s[46:47]
	s_cbranch_execz .LBB94_26
; %bb.25:                               ;   in Loop: Header=BB94_22 Depth=2
	v_cvt_f32_u32_e32 v3, s44
	s_sub_i32 s46, 0, s44
	v_rcp_iflag_f32_e32 v3, v3
	v_mul_f32_e32 v3, 0x4f7ffffe, v3
	v_cvt_u32_f32_e32 v3, v3
	v_mul_lo_u32 v10, s46, v3
	v_mul_hi_u32 v10, v3, v10
	v_add_u32_e32 v3, v3, v10
	v_mul_hi_u32 v3, v8, v3
	v_mul_lo_u32 v10, v3, s44
	v_add_u32_e32 v11, 1, v3
	v_sub_u32_e32 v10, v8, v10
	v_subrev_u32_e32 v12, s44, v10
	v_cmp_le_u32_e32 vcc, s44, v10
	v_cndmask_b32_e32 v10, v10, v12, vcc
	v_cndmask_b32_e32 v3, v3, v11, vcc
	v_add_u32_e32 v11, 1, v3
	v_cmp_le_u32_e32 vcc, s44, v10
	v_cndmask_b32_e32 v10, v3, v11, vcc
	v_mov_b32_e32 v11, v2
.LBB94_26:                              ;   in Loop: Header=BB94_22 Depth=2
	s_or_b64 exec, exec, s[0:1]
	s_load_dwordx2 s[46:47], s[40:41], 0x10
	s_load_dwordx2 s[48:49], s[38:39], 0x18
                                        ; implicit-def: $vgpr12_vgpr13
	s_waitcnt lgkmcnt(0)
	v_or_b32_e32 v3, s47, v11
	v_cmp_ne_u64_e32 vcc, 0, v[2:3]
	s_and_saveexec_b64 s[0:1], vcc
	s_xor_b64 s[50:51], exec, s[0:1]
	s_cbranch_execz .LBB94_28
; %bb.27:                               ;   in Loop: Header=BB94_22 Depth=2
	s_ashr_i32 s52, s47, 31
	s_add_u32 s0, s46, s52
	s_mov_b32 s53, s52
	s_addc_u32 s1, s47, s52
	s_xor_b64 s[54:55], s[0:1], s[52:53]
	v_cvt_f32_u32_e32 v3, s54
	v_cvt_f32_u32_e32 v12, s55
	s_sub_u32 s53, 0, s54
	s_subb_u32 s56, 0, s55
	v_mac_f32_e32 v3, 0x4f800000, v12
	v_rcp_f32_e32 v3, v3
	v_mul_f32_e32 v3, 0x5f7ffffc, v3
	v_mul_f32_e32 v12, 0x2f800000, v3
	v_trunc_f32_e32 v12, v12
	v_mac_f32_e32 v3, 0xcf800000, v12
	v_cvt_u32_f32_e32 v12, v12
	v_cvt_u32_f32_e32 v3, v3
	v_readfirstlane_b32 s57, v12
	v_readfirstlane_b32 s0, v3
	s_mul_i32 s1, s53, s57
	s_mul_hi_u32 s59, s53, s0
	s_mul_i32 s58, s56, s0
	s_add_i32 s1, s59, s1
	s_add_i32 s1, s1, s58
	s_mul_i32 s60, s53, s0
	s_mul_i32 s59, s0, s1
	s_mul_hi_u32 s61, s0, s60
	s_mul_hi_u32 s58, s0, s1
	s_add_u32 s59, s61, s59
	s_addc_u32 s58, 0, s58
	s_mul_hi_u32 s62, s57, s60
	s_mul_i32 s60, s57, s60
	s_add_u32 s59, s59, s60
	s_mul_hi_u32 s61, s57, s1
	s_addc_u32 s58, s58, s62
	s_addc_u32 s59, s61, 0
	s_mul_i32 s1, s57, s1
	s_add_u32 s1, s58, s1
	s_addc_u32 s58, 0, s59
	s_add_u32 s59, s0, s1
	s_cselect_b64 s[0:1], -1, 0
	s_cmp_lg_u64 s[0:1], 0
	s_addc_u32 s57, s57, s58
	s_mul_i32 s0, s53, s57
	s_mul_hi_u32 s1, s53, s59
	s_add_i32 s0, s1, s0
	s_mul_i32 s56, s56, s59
	s_add_i32 s0, s0, s56
	s_mul_i32 s53, s53, s59
	s_mul_hi_u32 s56, s57, s53
	s_mul_i32 s58, s57, s53
	s_mul_i32 s61, s59, s0
	s_mul_hi_u32 s53, s59, s53
	s_mul_hi_u32 s60, s59, s0
	s_add_u32 s53, s53, s61
	s_addc_u32 s60, 0, s60
	s_add_u32 s53, s53, s58
	s_mul_hi_u32 s1, s57, s0
	s_addc_u32 s53, s60, s56
	s_addc_u32 s1, s1, 0
	s_mul_i32 s0, s57, s0
	s_add_u32 s0, s53, s0
	s_addc_u32 s53, 0, s1
	s_add_u32 s56, s59, s0
	s_cselect_b64 s[0:1], -1, 0
	v_ashrrev_i32_e32 v3, 31, v11
	s_cmp_lg_u64 s[0:1], 0
	v_add_co_u32_e32 v12, vcc, v10, v3
	s_addc_u32 s53, s57, s53
	v_xor_b32_e32 v16, v12, v3
	v_mad_u64_u32 v[12:13], s[0:1], v16, s53, 0
	v_mul_hi_u32 v15, v16, s56
	v_addc_co_u32_e32 v14, vcc, v11, v3, vcc
	v_xor_b32_e32 v17, v14, v3
	v_add_co_u32_e32 v20, vcc, v15, v12
	v_addc_co_u32_e32 v21, vcc, 0, v13, vcc
	v_mad_u64_u32 v[12:13], s[0:1], v17, s56, 0
	v_mad_u64_u32 v[14:15], s[0:1], v17, s53, 0
	v_add_co_u32_e32 v12, vcc, v20, v12
	v_addc_co_u32_e32 v12, vcc, v21, v13, vcc
	v_addc_co_u32_e32 v13, vcc, 0, v15, vcc
	v_add_co_u32_e32 v14, vcc, v12, v14
	v_addc_co_u32_e32 v15, vcc, 0, v13, vcc
	v_mul_lo_u32 v20, s55, v14
	v_mul_lo_u32 v21, s54, v15
	v_mad_u64_u32 v[12:13], s[0:1], s54, v14, 0
	v_xor_b32_e32 v3, s52, v3
	v_add3_u32 v13, v13, v21, v20
	v_sub_u32_e32 v20, v17, v13
	v_mov_b32_e32 v21, s55
	v_sub_co_u32_e32 v12, vcc, v16, v12
	v_subb_co_u32_e64 v16, s[0:1], v20, v21, vcc
	v_subrev_co_u32_e64 v20, s[0:1], s54, v12
	v_subbrev_co_u32_e64 v16, s[0:1], 0, v16, s[0:1]
	v_cmp_le_u32_e64 s[0:1], s55, v16
	v_cndmask_b32_e64 v21, 0, -1, s[0:1]
	v_cmp_le_u32_e64 s[0:1], s54, v20
	v_cndmask_b32_e64 v20, 0, -1, s[0:1]
	v_cmp_eq_u32_e64 s[0:1], s55, v16
	v_cndmask_b32_e64 v16, v21, v20, s[0:1]
	v_add_co_u32_e64 v20, s[0:1], 2, v14
	v_subb_co_u32_e32 v13, vcc, v17, v13, vcc
	v_addc_co_u32_e64 v21, s[0:1], 0, v15, s[0:1]
	v_cmp_le_u32_e32 vcc, s55, v13
	v_add_co_u32_e64 v22, s[0:1], 1, v14
	v_cndmask_b32_e64 v17, 0, -1, vcc
	v_cmp_le_u32_e32 vcc, s54, v12
	v_addc_co_u32_e64 v23, s[0:1], 0, v15, s[0:1]
	v_cndmask_b32_e64 v12, 0, -1, vcc
	v_cmp_eq_u32_e32 vcc, s55, v13
	v_cmp_ne_u32_e64 s[0:1], 0, v16
	v_cndmask_b32_e32 v12, v17, v12, vcc
	v_cndmask_b32_e64 v16, v23, v21, s[0:1]
	v_cmp_ne_u32_e32 vcc, 0, v12
	v_cndmask_b32_e64 v13, v22, v20, s[0:1]
	v_cndmask_b32_e32 v12, v15, v16, vcc
	v_cndmask_b32_e32 v13, v14, v13, vcc
	v_xor_b32_e32 v14, v12, v3
	v_xor_b32_e32 v12, v13, v3
	v_sub_co_u32_e32 v12, vcc, v12, v3
	v_subb_co_u32_e32 v13, vcc, v14, v3, vcc
.LBB94_28:                              ;   in Loop: Header=BB94_22 Depth=2
	s_andn2_saveexec_b64 s[0:1], s[50:51]
	s_cbranch_execz .LBB94_30
; %bb.29:                               ;   in Loop: Header=BB94_22 Depth=2
	v_cvt_f32_u32_e32 v3, s46
	s_sub_i32 s50, 0, s46
	v_rcp_iflag_f32_e32 v3, v3
	v_mul_f32_e32 v3, 0x4f7ffffe, v3
	v_cvt_u32_f32_e32 v3, v3
	v_mul_lo_u32 v12, s50, v3
	v_mul_hi_u32 v12, v3, v12
	v_add_u32_e32 v3, v3, v12
	v_mul_hi_u32 v3, v10, v3
	v_mul_lo_u32 v12, v3, s46
	v_add_u32_e32 v13, 1, v3
	v_sub_u32_e32 v12, v10, v12
	v_subrev_u32_e32 v14, s46, v12
	v_cmp_le_u32_e32 vcc, s46, v12
	v_cndmask_b32_e32 v12, v12, v14, vcc
	v_cndmask_b32_e32 v3, v3, v13, vcc
	v_add_u32_e32 v13, 1, v3
	v_cmp_le_u32_e32 vcc, s46, v12
	v_cndmask_b32_e32 v12, v3, v13, vcc
	v_mov_b32_e32 v13, v2
.LBB94_30:                              ;   in Loop: Header=BB94_22 Depth=2
	s_or_b64 exec, exec, s[0:1]
	s_load_dwordx2 s[50:51], s[40:41], 0x8
	s_load_dwordx2 s[52:53], s[38:39], 0x10
                                        ; implicit-def: $vgpr14_vgpr15
	s_waitcnt lgkmcnt(0)
	v_or_b32_e32 v3, s51, v13
	v_cmp_ne_u64_e32 vcc, 0, v[2:3]
	s_and_saveexec_b64 s[0:1], vcc
	s_xor_b64 s[54:55], exec, s[0:1]
	s_cbranch_execz .LBB94_32
; %bb.31:                               ;   in Loop: Header=BB94_22 Depth=2
	s_ashr_i32 s56, s51, 31
	s_add_u32 s0, s50, s56
	s_mov_b32 s57, s56
	s_addc_u32 s1, s51, s56
	s_xor_b64 s[58:59], s[0:1], s[56:57]
	v_cvt_f32_u32_e32 v3, s58
	v_cvt_f32_u32_e32 v14, s59
	s_sub_u32 s57, 0, s58
	s_subb_u32 s60, 0, s59
	v_mac_f32_e32 v3, 0x4f800000, v14
	v_rcp_f32_e32 v3, v3
	v_mul_f32_e32 v3, 0x5f7ffffc, v3
	v_mul_f32_e32 v14, 0x2f800000, v3
	v_trunc_f32_e32 v14, v14
	v_mac_f32_e32 v3, 0xcf800000, v14
	v_cvt_u32_f32_e32 v14, v14
	v_cvt_u32_f32_e32 v3, v3
	v_readfirstlane_b32 s61, v14
	v_readfirstlane_b32 s0, v3
	s_mul_i32 s1, s57, s61
	s_mul_hi_u32 s63, s57, s0
	s_mul_i32 s62, s60, s0
	s_add_i32 s1, s63, s1
	s_add_i32 s1, s1, s62
	s_mul_i32 s68, s57, s0
	s_mul_i32 s63, s0, s1
	s_mul_hi_u32 s69, s0, s68
	s_mul_hi_u32 s62, s0, s1
	s_add_u32 s63, s69, s63
	s_addc_u32 s62, 0, s62
	s_mul_hi_u32 s70, s61, s68
	s_mul_i32 s68, s61, s68
	s_add_u32 s63, s63, s68
	s_mul_hi_u32 s69, s61, s1
	s_addc_u32 s62, s62, s70
	s_addc_u32 s63, s69, 0
	s_mul_i32 s1, s61, s1
	s_add_u32 s1, s62, s1
	s_addc_u32 s62, 0, s63
	s_add_u32 s63, s0, s1
	s_cselect_b64 s[0:1], -1, 0
	s_cmp_lg_u64 s[0:1], 0
	s_addc_u32 s61, s61, s62
	s_mul_i32 s0, s57, s61
	s_mul_hi_u32 s1, s57, s63
	s_add_i32 s0, s1, s0
	s_mul_i32 s60, s60, s63
	s_add_i32 s0, s0, s60
	s_mul_i32 s57, s57, s63
	s_mul_hi_u32 s60, s61, s57
	s_mul_i32 s62, s61, s57
	s_mul_i32 s69, s63, s0
	s_mul_hi_u32 s57, s63, s57
	s_mul_hi_u32 s68, s63, s0
	s_add_u32 s57, s57, s69
	s_addc_u32 s68, 0, s68
	s_add_u32 s57, s57, s62
	s_mul_hi_u32 s1, s61, s0
	s_addc_u32 s57, s68, s60
	s_addc_u32 s1, s1, 0
	s_mul_i32 s0, s61, s0
	s_add_u32 s0, s57, s0
	s_addc_u32 s57, 0, s1
	s_add_u32 s60, s63, s0
	s_cselect_b64 s[0:1], -1, 0
	v_ashrrev_i32_e32 v3, 31, v13
	s_cmp_lg_u64 s[0:1], 0
	v_add_co_u32_e32 v14, vcc, v12, v3
	s_addc_u32 s57, s61, s57
	v_xor_b32_e32 v20, v14, v3
	v_mad_u64_u32 v[14:15], s[0:1], v20, s57, 0
	v_mul_hi_u32 v17, v20, s60
	v_addc_co_u32_e32 v16, vcc, v13, v3, vcc
	v_xor_b32_e32 v21, v16, v3
	v_add_co_u32_e32 v22, vcc, v17, v14
	v_addc_co_u32_e32 v23, vcc, 0, v15, vcc
	v_mad_u64_u32 v[14:15], s[0:1], v21, s60, 0
	v_mad_u64_u32 v[16:17], s[0:1], v21, s57, 0
	v_add_co_u32_e32 v14, vcc, v22, v14
	v_addc_co_u32_e32 v14, vcc, v23, v15, vcc
	v_addc_co_u32_e32 v15, vcc, 0, v17, vcc
	v_add_co_u32_e32 v16, vcc, v14, v16
	v_addc_co_u32_e32 v17, vcc, 0, v15, vcc
	v_mul_lo_u32 v22, s59, v16
	v_mul_lo_u32 v23, s58, v17
	v_mad_u64_u32 v[14:15], s[0:1], s58, v16, 0
	v_xor_b32_e32 v3, s56, v3
	v_add3_u32 v15, v15, v23, v22
	v_sub_u32_e32 v22, v21, v15
	v_mov_b32_e32 v23, s59
	v_sub_co_u32_e32 v14, vcc, v20, v14
	v_subb_co_u32_e64 v20, s[0:1], v22, v23, vcc
	v_subrev_co_u32_e64 v22, s[0:1], s58, v14
	v_subbrev_co_u32_e64 v20, s[0:1], 0, v20, s[0:1]
	v_cmp_le_u32_e64 s[0:1], s59, v20
	v_cndmask_b32_e64 v23, 0, -1, s[0:1]
	v_cmp_le_u32_e64 s[0:1], s58, v22
	v_cndmask_b32_e64 v22, 0, -1, s[0:1]
	v_cmp_eq_u32_e64 s[0:1], s59, v20
	v_cndmask_b32_e64 v20, v23, v22, s[0:1]
	v_add_co_u32_e64 v22, s[0:1], 2, v16
	v_subb_co_u32_e32 v15, vcc, v21, v15, vcc
	v_addc_co_u32_e64 v23, s[0:1], 0, v17, s[0:1]
	v_cmp_le_u32_e32 vcc, s59, v15
	v_add_co_u32_e64 v24, s[0:1], 1, v16
	v_cndmask_b32_e64 v21, 0, -1, vcc
	v_cmp_le_u32_e32 vcc, s58, v14
	v_addc_co_u32_e64 v25, s[0:1], 0, v17, s[0:1]
	v_cndmask_b32_e64 v14, 0, -1, vcc
	v_cmp_eq_u32_e32 vcc, s59, v15
	v_cmp_ne_u32_e64 s[0:1], 0, v20
	v_cndmask_b32_e32 v14, v21, v14, vcc
	v_cndmask_b32_e64 v20, v25, v23, s[0:1]
	v_cmp_ne_u32_e32 vcc, 0, v14
	v_cndmask_b32_e64 v15, v24, v22, s[0:1]
	v_cndmask_b32_e32 v14, v17, v20, vcc
	v_cndmask_b32_e32 v15, v16, v15, vcc
	v_xor_b32_e32 v16, v14, v3
	v_xor_b32_e32 v14, v15, v3
	v_sub_co_u32_e32 v14, vcc, v14, v3
	v_subb_co_u32_e32 v15, vcc, v16, v3, vcc
.LBB94_32:                              ;   in Loop: Header=BB94_22 Depth=2
	s_andn2_saveexec_b64 s[0:1], s[54:55]
	s_cbranch_execz .LBB94_34
; %bb.33:                               ;   in Loop: Header=BB94_22 Depth=2
	v_cvt_f32_u32_e32 v3, s50
	s_sub_i32 s54, 0, s50
	v_rcp_iflag_f32_e32 v3, v3
	v_mul_f32_e32 v3, 0x4f7ffffe, v3
	v_cvt_u32_f32_e32 v3, v3
	v_mul_lo_u32 v14, s54, v3
	v_mul_hi_u32 v14, v3, v14
	v_add_u32_e32 v3, v3, v14
	v_mul_hi_u32 v3, v12, v3
	v_mul_lo_u32 v14, v3, s50
	v_add_u32_e32 v15, 1, v3
	v_sub_u32_e32 v14, v12, v14
	v_subrev_u32_e32 v16, s50, v14
	v_cmp_le_u32_e32 vcc, s50, v14
	v_cndmask_b32_e32 v14, v14, v16, vcc
	v_cndmask_b32_e32 v3, v3, v15, vcc
	v_add_u32_e32 v15, 1, v3
	v_cmp_le_u32_e32 vcc, s50, v14
	v_cndmask_b32_e32 v14, v3, v15, vcc
	v_mov_b32_e32 v15, v2
.LBB94_34:                              ;   in Loop: Header=BB94_22 Depth=2
	s_or_b64 exec, exec, s[0:1]
	s_load_dwordx2 s[54:55], s[40:41], 0x0
	s_load_dwordx2 s[56:57], s[38:39], 0x8
                                        ; implicit-def: $vgpr16_vgpr17
	s_waitcnt lgkmcnt(0)
	v_or_b32_e32 v3, s55, v15
	v_cmp_ne_u64_e32 vcc, 0, v[2:3]
	s_and_saveexec_b64 s[0:1], vcc
	s_xor_b64 s[58:59], exec, s[0:1]
	s_cbranch_execz .LBB94_36
; %bb.35:                               ;   in Loop: Header=BB94_22 Depth=2
	s_ashr_i32 s60, s55, 31
	s_add_u32 s0, s54, s60
	s_mov_b32 s61, s60
	s_addc_u32 s1, s55, s60
	s_xor_b64 s[62:63], s[0:1], s[60:61]
	v_cvt_f32_u32_e32 v3, s62
	v_cvt_f32_u32_e32 v16, s63
	s_sub_u32 s61, 0, s62
	s_subb_u32 s68, 0, s63
	v_mac_f32_e32 v3, 0x4f800000, v16
	v_rcp_f32_e32 v3, v3
	v_mul_f32_e32 v3, 0x5f7ffffc, v3
	v_mul_f32_e32 v16, 0x2f800000, v3
	v_trunc_f32_e32 v16, v16
	v_mac_f32_e32 v3, 0xcf800000, v16
	v_cvt_u32_f32_e32 v16, v16
	v_cvt_u32_f32_e32 v3, v3
	v_readfirstlane_b32 s69, v16
	v_readfirstlane_b32 s0, v3
	s_mul_i32 s1, s61, s69
	s_mul_hi_u32 s71, s61, s0
	s_mul_i32 s70, s68, s0
	s_add_i32 s1, s71, s1
	s_add_i32 s1, s1, s70
	s_mul_i32 s72, s61, s0
	s_mul_i32 s71, s0, s1
	s_mul_hi_u32 s73, s0, s72
	s_mul_hi_u32 s70, s0, s1
	s_add_u32 s71, s73, s71
	s_addc_u32 s70, 0, s70
	s_mul_hi_u32 s74, s69, s72
	s_mul_i32 s72, s69, s72
	s_add_u32 s71, s71, s72
	s_mul_hi_u32 s73, s69, s1
	s_addc_u32 s70, s70, s74
	s_addc_u32 s71, s73, 0
	s_mul_i32 s1, s69, s1
	s_add_u32 s1, s70, s1
	s_addc_u32 s70, 0, s71
	s_add_u32 s71, s0, s1
	s_cselect_b64 s[0:1], -1, 0
	s_cmp_lg_u64 s[0:1], 0
	s_addc_u32 s69, s69, s70
	s_mul_i32 s0, s61, s69
	s_mul_hi_u32 s1, s61, s71
	s_add_i32 s0, s1, s0
	s_mul_i32 s68, s68, s71
	s_add_i32 s0, s0, s68
	s_mul_i32 s61, s61, s71
	s_mul_hi_u32 s68, s69, s61
	s_mul_i32 s70, s69, s61
	s_mul_i32 s73, s71, s0
	s_mul_hi_u32 s61, s71, s61
	s_mul_hi_u32 s72, s71, s0
	s_add_u32 s61, s61, s73
	s_addc_u32 s72, 0, s72
	s_add_u32 s61, s61, s70
	s_mul_hi_u32 s1, s69, s0
	s_addc_u32 s61, s72, s68
	s_addc_u32 s1, s1, 0
	s_mul_i32 s0, s69, s0
	s_add_u32 s0, s61, s0
	s_addc_u32 s61, 0, s1
	s_add_u32 s68, s71, s0
	s_cselect_b64 s[0:1], -1, 0
	v_ashrrev_i32_e32 v3, 31, v15
	s_cmp_lg_u64 s[0:1], 0
	v_add_co_u32_e32 v16, vcc, v14, v3
	s_addc_u32 s61, s69, s61
	v_xor_b32_e32 v22, v16, v3
	v_mad_u64_u32 v[16:17], s[0:1], v22, s61, 0
	v_mul_hi_u32 v21, v22, s68
	v_addc_co_u32_e32 v20, vcc, v15, v3, vcc
	v_xor_b32_e32 v23, v20, v3
	v_add_co_u32_e32 v24, vcc, v21, v16
	v_addc_co_u32_e32 v25, vcc, 0, v17, vcc
	v_mad_u64_u32 v[16:17], s[0:1], v23, s68, 0
	v_mad_u64_u32 v[20:21], s[0:1], v23, s61, 0
	v_add_co_u32_e32 v16, vcc, v24, v16
	v_addc_co_u32_e32 v16, vcc, v25, v17, vcc
	v_addc_co_u32_e32 v17, vcc, 0, v21, vcc
	v_add_co_u32_e32 v20, vcc, v16, v20
	v_addc_co_u32_e32 v21, vcc, 0, v17, vcc
	v_mul_lo_u32 v24, s63, v20
	v_mul_lo_u32 v25, s62, v21
	v_mad_u64_u32 v[16:17], s[0:1], s62, v20, 0
	v_xor_b32_e32 v3, s60, v3
	v_add3_u32 v17, v17, v25, v24
	v_sub_u32_e32 v24, v23, v17
	v_mov_b32_e32 v25, s63
	v_sub_co_u32_e32 v16, vcc, v22, v16
	v_subb_co_u32_e64 v22, s[0:1], v24, v25, vcc
	v_subrev_co_u32_e64 v24, s[0:1], s62, v16
	v_subbrev_co_u32_e64 v22, s[0:1], 0, v22, s[0:1]
	v_cmp_le_u32_e64 s[0:1], s63, v22
	v_cndmask_b32_e64 v25, 0, -1, s[0:1]
	v_cmp_le_u32_e64 s[0:1], s62, v24
	v_cndmask_b32_e64 v24, 0, -1, s[0:1]
	v_cmp_eq_u32_e64 s[0:1], s63, v22
	v_cndmask_b32_e64 v22, v25, v24, s[0:1]
	v_add_co_u32_e64 v24, s[0:1], 2, v20
	v_subb_co_u32_e32 v17, vcc, v23, v17, vcc
	v_addc_co_u32_e64 v25, s[0:1], 0, v21, s[0:1]
	v_cmp_le_u32_e32 vcc, s63, v17
	v_add_co_u32_e64 v26, s[0:1], 1, v20
	v_cndmask_b32_e64 v23, 0, -1, vcc
	v_cmp_le_u32_e32 vcc, s62, v16
	v_addc_co_u32_e64 v27, s[0:1], 0, v21, s[0:1]
	v_cndmask_b32_e64 v16, 0, -1, vcc
	v_cmp_eq_u32_e32 vcc, s63, v17
	v_cmp_ne_u32_e64 s[0:1], 0, v22
	v_cndmask_b32_e32 v16, v23, v16, vcc
	v_cndmask_b32_e64 v22, v27, v25, s[0:1]
	v_cmp_ne_u32_e32 vcc, 0, v16
	v_cndmask_b32_e64 v17, v26, v24, s[0:1]
	v_cndmask_b32_e32 v16, v21, v22, vcc
	v_cndmask_b32_e32 v17, v20, v17, vcc
	v_xor_b32_e32 v20, v16, v3
	v_xor_b32_e32 v16, v17, v3
	v_sub_co_u32_e32 v16, vcc, v16, v3
	v_subb_co_u32_e32 v17, vcc, v20, v3, vcc
.LBB94_36:                              ;   in Loop: Header=BB94_22 Depth=2
	s_andn2_saveexec_b64 s[0:1], s[58:59]
	s_cbranch_execz .LBB94_21
; %bb.37:                               ;   in Loop: Header=BB94_22 Depth=2
	v_cvt_f32_u32_e32 v3, s54
	s_sub_i32 s58, 0, s54
	v_rcp_iflag_f32_e32 v3, v3
	v_mul_f32_e32 v3, 0x4f7ffffe, v3
	v_cvt_u32_f32_e32 v3, v3
	v_mul_lo_u32 v16, s58, v3
	v_mul_hi_u32 v16, v3, v16
	v_add_u32_e32 v3, v3, v16
	v_mul_hi_u32 v3, v14, v3
	v_mul_lo_u32 v16, v3, s54
	v_add_u32_e32 v17, 1, v3
	v_sub_u32_e32 v16, v14, v16
	v_subrev_u32_e32 v20, s54, v16
	v_cmp_le_u32_e32 vcc, s54, v16
	v_cndmask_b32_e32 v16, v16, v20, vcc
	v_cndmask_b32_e32 v3, v3, v17, vcc
	v_add_u32_e32 v17, 1, v3
	v_cmp_le_u32_e32 vcc, s54, v16
	v_cndmask_b32_e32 v16, v3, v17, vcc
	v_mov_b32_e32 v17, v2
	s_branch .LBB94_21
.LBB94_38:                              ;   in Loop: Header=BB94_3 Depth=1
	s_load_dwordx2 s[0:1], s[22:23], 0x0
	s_waitcnt lgkmcnt(0)
	v_cmp_gt_i64_e32 vcc, s[0:1], v[4:5]
	s_and_b64 exec, exec, vcc
	s_cbranch_execz .LBB94_2
; %bb.39:                               ;   in Loop: Header=BB94_3 Depth=1
	v_lshlrev_b64 v[6:7], 1, v[6:7]
	v_mov_b32_e32 v3, s13
	v_add_co_u32_e32 v6, vcc, s12, v6
	v_addc_co_u32_e32 v7, vcc, v3, v7, vcc
	v_add_co_u32_e32 v8, vcc, 1, v4
	v_addc_co_u32_e32 v9, vcc, 0, v5, vcc
	v_cmp_gt_i64_e32 vcc, s[0:1], v[8:9]
	global_store_short v[6:7], v2, off
	s_and_b64 exec, exec, vcc
	s_cbranch_execz .LBB94_2
; %bb.40:                               ;   in Loop: Header=BB94_3 Depth=1
	v_sub_co_u32_e32 v8, vcc, v8, v18
	v_subb_co_u32_e32 v9, vcc, v9, v19, vcc
	v_cmp_gt_i64_e32 vcc, s[8:9], v[8:9]
	s_and_saveexec_b64 s[38:39], vcc
	s_cbranch_execz .LBB94_42
; %bb.41:                               ;   in Loop: Header=BB94_3 Depth=1
	s_lshl_b64 s[40:41], s[2:3], 1
	v_mov_b32_e32 v3, s41
	v_add_co_u32_e32 v8, vcc, s40, v6
	v_addc_co_u32_e32 v9, vcc, v7, v3, vcc
	global_store_short v[8:9], v2, off
.LBB94_42:                              ;   in Loop: Header=BB94_3 Depth=1
	s_or_b64 exec, exec, s[38:39]
	v_add_co_u32_e32 v8, vcc, 2, v4
	v_addc_co_u32_e32 v9, vcc, 0, v5, vcc
	v_cmp_gt_i64_e32 vcc, s[0:1], v[8:9]
	s_and_b64 exec, exec, vcc
	s_cbranch_execz .LBB94_2
; %bb.43:                               ;   in Loop: Header=BB94_3 Depth=1
	v_sub_co_u32_e32 v8, vcc, v8, v18
	v_subb_co_u32_e32 v9, vcc, v9, v19, vcc
	v_cmp_gt_i64_e32 vcc, s[8:9], v[8:9]
	s_and_saveexec_b64 s[38:39], vcc
	s_cbranch_execz .LBB94_45
; %bb.44:                               ;   in Loop: Header=BB94_3 Depth=1
	s_lshl_b64 s[40:41], s[2:3], 2
	v_mov_b32_e32 v3, s41
	v_add_co_u32_e32 v8, vcc, s40, v6
	v_addc_co_u32_e32 v9, vcc, v7, v3, vcc
	global_store_short v[8:9], v2, off
.LBB94_45:                              ;   in Loop: Header=BB94_3 Depth=1
	s_or_b64 exec, exec, s[38:39]
	v_add_co_u32_e32 v3, vcc, 3, v4
	v_addc_co_u32_e32 v4, vcc, 0, v5, vcc
	v_cmp_gt_i64_e32 vcc, s[0:1], v[3:4]
	v_sub_co_u32_e64 v3, s[0:1], v3, v18
	v_subb_co_u32_e64 v4, s[0:1], v4, v19, s[0:1]
	v_cmp_gt_i64_e64 s[0:1], s[8:9], v[3:4]
	s_and_b64 s[0:1], vcc, s[0:1]
	s_and_b64 exec, exec, s[0:1]
	s_cbranch_execz .LBB94_2
; %bb.46:                               ;   in Loop: Header=BB94_3 Depth=1
	v_mad_u64_u32 v[3:4], s[0:1], s2, 6, v[6:7]
	v_mad_u64_u32 v[4:5], s[0:1], s3, 6, v[4:5]
	global_store_short v[3:4], v2, off
	s_branch .LBB94_2
.LBB94_47:
	s_endpgm
	.section	.rodata,"a",@progbits
	.p2align	6, 0x0
	.amdhsa_kernel _ZN2at6native16triu_tril_kernelIN3c104HalfElLb1ELi4ELb1EEEvNS_4cuda6detail10TensorInfoIT_T0_EENS6_IKS7_S8_EEllS8_
		.amdhsa_group_segment_fixed_size 0
		.amdhsa_private_segment_fixed_size 0
		.amdhsa_kernarg_size 1112
		.amdhsa_user_sgpr_count 6
		.amdhsa_user_sgpr_private_segment_buffer 1
		.amdhsa_user_sgpr_dispatch_ptr 0
		.amdhsa_user_sgpr_queue_ptr 0
		.amdhsa_user_sgpr_kernarg_segment_ptr 1
		.amdhsa_user_sgpr_dispatch_id 0
		.amdhsa_user_sgpr_flat_scratch_init 0
		.amdhsa_user_sgpr_private_segment_size 0
		.amdhsa_uses_dynamic_stack 0
		.amdhsa_system_sgpr_private_segment_wavefront_offset 0
		.amdhsa_system_sgpr_workgroup_id_x 1
		.amdhsa_system_sgpr_workgroup_id_y 0
		.amdhsa_system_sgpr_workgroup_id_z 0
		.amdhsa_system_sgpr_workgroup_info 0
		.amdhsa_system_vgpr_workitem_id 0
		.amdhsa_next_free_vgpr 28
		.amdhsa_next_free_sgpr 75
		.amdhsa_reserve_vcc 1
		.amdhsa_reserve_flat_scratch 0
		.amdhsa_float_round_mode_32 0
		.amdhsa_float_round_mode_16_64 0
		.amdhsa_float_denorm_mode_32 3
		.amdhsa_float_denorm_mode_16_64 3
		.amdhsa_dx10_clamp 1
		.amdhsa_ieee_mode 1
		.amdhsa_fp16_overflow 0
		.amdhsa_exception_fp_ieee_invalid_op 0
		.amdhsa_exception_fp_denorm_src 0
		.amdhsa_exception_fp_ieee_div_zero 0
		.amdhsa_exception_fp_ieee_overflow 0
		.amdhsa_exception_fp_ieee_underflow 0
		.amdhsa_exception_fp_ieee_inexact 0
		.amdhsa_exception_int_div_zero 0
	.end_amdhsa_kernel
	.section	.text._ZN2at6native16triu_tril_kernelIN3c104HalfElLb1ELi4ELb1EEEvNS_4cuda6detail10TensorInfoIT_T0_EENS6_IKS7_S8_EEllS8_,"axG",@progbits,_ZN2at6native16triu_tril_kernelIN3c104HalfElLb1ELi4ELb1EEEvNS_4cuda6detail10TensorInfoIT_T0_EENS6_IKS7_S8_EEllS8_,comdat
.Lfunc_end94:
	.size	_ZN2at6native16triu_tril_kernelIN3c104HalfElLb1ELi4ELb1EEEvNS_4cuda6detail10TensorInfoIT_T0_EENS6_IKS7_S8_EEllS8_, .Lfunc_end94-_ZN2at6native16triu_tril_kernelIN3c104HalfElLb1ELi4ELb1EEEvNS_4cuda6detail10TensorInfoIT_T0_EENS6_IKS7_S8_EEllS8_
                                        ; -- End function
	.set _ZN2at6native16triu_tril_kernelIN3c104HalfElLb1ELi4ELb1EEEvNS_4cuda6detail10TensorInfoIT_T0_EENS6_IKS7_S8_EEllS8_.num_vgpr, 28
	.set _ZN2at6native16triu_tril_kernelIN3c104HalfElLb1ELi4ELb1EEEvNS_4cuda6detail10TensorInfoIT_T0_EENS6_IKS7_S8_EEllS8_.num_agpr, 0
	.set _ZN2at6native16triu_tril_kernelIN3c104HalfElLb1ELi4ELb1EEEvNS_4cuda6detail10TensorInfoIT_T0_EENS6_IKS7_S8_EEllS8_.numbered_sgpr, 75
	.set _ZN2at6native16triu_tril_kernelIN3c104HalfElLb1ELi4ELb1EEEvNS_4cuda6detail10TensorInfoIT_T0_EENS6_IKS7_S8_EEllS8_.num_named_barrier, 0
	.set _ZN2at6native16triu_tril_kernelIN3c104HalfElLb1ELi4ELb1EEEvNS_4cuda6detail10TensorInfoIT_T0_EENS6_IKS7_S8_EEllS8_.private_seg_size, 0
	.set _ZN2at6native16triu_tril_kernelIN3c104HalfElLb1ELi4ELb1EEEvNS_4cuda6detail10TensorInfoIT_T0_EENS6_IKS7_S8_EEllS8_.uses_vcc, 1
	.set _ZN2at6native16triu_tril_kernelIN3c104HalfElLb1ELi4ELb1EEEvNS_4cuda6detail10TensorInfoIT_T0_EENS6_IKS7_S8_EEllS8_.uses_flat_scratch, 0
	.set _ZN2at6native16triu_tril_kernelIN3c104HalfElLb1ELi4ELb1EEEvNS_4cuda6detail10TensorInfoIT_T0_EENS6_IKS7_S8_EEllS8_.has_dyn_sized_stack, 0
	.set _ZN2at6native16triu_tril_kernelIN3c104HalfElLb1ELi4ELb1EEEvNS_4cuda6detail10TensorInfoIT_T0_EENS6_IKS7_S8_EEllS8_.has_recursion, 0
	.set _ZN2at6native16triu_tril_kernelIN3c104HalfElLb1ELi4ELb1EEEvNS_4cuda6detail10TensorInfoIT_T0_EENS6_IKS7_S8_EEllS8_.has_indirect_call, 0
	.section	.AMDGPU.csdata,"",@progbits
; Kernel info:
; codeLenInByte = 6576
; TotalNumSgprs: 79
; NumVgprs: 28
; ScratchSize: 0
; MemoryBound: 0
; FloatMode: 240
; IeeeMode: 1
; LDSByteSize: 0 bytes/workgroup (compile time only)
; SGPRBlocks: 9
; VGPRBlocks: 6
; NumSGPRsForWavesPerEU: 79
; NumVGPRsForWavesPerEU: 28
; Occupancy: 9
; WaveLimiterHint : 0
; COMPUTE_PGM_RSRC2:SCRATCH_EN: 0
; COMPUTE_PGM_RSRC2:USER_SGPR: 6
; COMPUTE_PGM_RSRC2:TRAP_HANDLER: 0
; COMPUTE_PGM_RSRC2:TGID_X_EN: 1
; COMPUTE_PGM_RSRC2:TGID_Y_EN: 0
; COMPUTE_PGM_RSRC2:TGID_Z_EN: 0
; COMPUTE_PGM_RSRC2:TIDIG_COMP_CNT: 0
	.section	.text._ZN2at6native16triu_tril_kernelIN3c104HalfElLb1ELi4ELb0EEEvNS_4cuda6detail10TensorInfoIT_T0_EENS6_IKS7_S8_EEllS8_,"axG",@progbits,_ZN2at6native16triu_tril_kernelIN3c104HalfElLb1ELi4ELb0EEEvNS_4cuda6detail10TensorInfoIT_T0_EENS6_IKS7_S8_EEllS8_,comdat
	.protected	_ZN2at6native16triu_tril_kernelIN3c104HalfElLb1ELi4ELb0EEEvNS_4cuda6detail10TensorInfoIT_T0_EENS6_IKS7_S8_EEllS8_ ; -- Begin function _ZN2at6native16triu_tril_kernelIN3c104HalfElLb1ELi4ELb0EEEvNS_4cuda6detail10TensorInfoIT_T0_EENS6_IKS7_S8_EEllS8_
	.globl	_ZN2at6native16triu_tril_kernelIN3c104HalfElLb1ELi4ELb0EEEvNS_4cuda6detail10TensorInfoIT_T0_EENS6_IKS7_S8_EEllS8_
	.p2align	8
	.type	_ZN2at6native16triu_tril_kernelIN3c104HalfElLb1ELi4ELb0EEEvNS_4cuda6detail10TensorInfoIT_T0_EENS6_IKS7_S8_EEllS8_,@function
_ZN2at6native16triu_tril_kernelIN3c104HalfElLb1ELi4ELb0EEEvNS_4cuda6detail10TensorInfoIT_T0_EENS6_IKS7_S8_EEllS8_: ; @_ZN2at6native16triu_tril_kernelIN3c104HalfElLb1ELi4ELb0EEEvNS_4cuda6detail10TensorInfoIT_T0_EENS6_IKS7_S8_EEllS8_
; %bb.0:
	s_load_dword s2, s[4:5], 0x364
	s_load_dwordx4 s[8:11], s[4:5], 0x340
	s_add_u32 s0, s4, 0x358
	v_mov_b32_e32 v2, 0
	s_addc_u32 s1, s5, 0
	s_waitcnt lgkmcnt(0)
	s_and_b32 s7, s2, 0xffff
	v_mov_b32_e32 v1, v2
	v_mov_b32_e32 v3, s6
	v_mad_u64_u32 v[0:1], s[2:3], s7, v3, v[0:1]
	v_lshlrev_b64 v[0:1], 2, v[0:1]
	v_cmp_gt_i64_e32 vcc, s[10:11], v[0:1]
	s_and_saveexec_b64 s[2:3], vcc
	s_cbranch_execz .LBB95_44
; %bb.1:
	s_load_dword s6, s[0:1], 0x0
	s_load_dword s24, s[4:5], 0x338
	s_add_u32 s33, s4, 0x1a0
	s_addc_u32 s66, s5, 0
	s_load_dwordx2 s[2:3], s[4:5], 0x1a0
	s_waitcnt lgkmcnt(0)
	s_mul_i32 s30, s6, s7
	s_ashr_i32 s25, s24, 31
	s_lshl_b64 s[0:1], s[24:25], 3
	s_add_u32 s20, s33, s0
	s_addc_u32 s21, s66, s1
	s_add_u32 s22, s20, -8
	s_addc_u32 s23, s21, -1
	s_add_u32 s0, s4, s0
	s_load_dwordx4 s[12:15], s[22:23], 0x0
	s_load_dwordx4 s[16:19], s[20:21], 0xc0
	s_addc_u32 s1, s5, s1
	s_load_dwordx4 s[20:23], s[0:1], 0xc0
	v_cmp_gt_i64_e64 s[6:7], s[24:25], 2
	s_add_i32 s24, s24, -3
	s_waitcnt lgkmcnt(0)
	s_mul_i32 s0, s19, 6
	s_mul_hi_u32 s1, s18, 6
	s_add_i32 s68, s1, s0
	s_mul_i32 s0, s23, 6
	s_mul_hi_u32 s1, s22, 6
	s_ashr_i32 s25, s24, 31
	s_lshl_b32 s67, s30, 2
	s_lshl_b64 s[30:31], s[18:19], 2
	s_lshl_b64 s[34:35], s[22:23], 2
	s_add_i32 s70, s1, s0
	s_bitcmp0_b32 s24, 0
	s_cselect_b64 s[36:37], -1, 0
	s_lshl_b64 s[0:1], s[24:25], 3
	s_add_u32 s38, s33, s0
	s_addc_u32 s39, s66, s1
	s_add_u32 s40, s4, s0
	s_addc_u32 s41, s5, s1
	s_load_dwordx2 s[26:27], s[4:5], 0x350
	s_load_dwordx2 s[28:29], s[4:5], 0x0
	s_add_u32 s42, s24, -1
	s_addc_u32 s43, s25, -1
	s_cmp_lg_u32 s24, 0
	s_cselect_b64 s[44:45], -1, 0
	s_add_u32 s72, s4, 0xc8
	s_mul_i32 s69, s18, 6
	s_mul_i32 s71, s22, 6
	s_addc_u32 s73, s5, 0
	s_mov_b64 s[4:5], 0
	s_branch .LBB95_3
.LBB95_2:                               ;   in Loop: Header=BB95_3 Depth=1
	s_or_b64 exec, exec, s[0:1]
	v_add_co_u32_e32 v0, vcc, s67, v0
	v_addc_co_u32_e32 v1, vcc, 0, v1, vcc
	v_cmp_le_i64_e32 vcc, s[10:11], v[0:1]
	s_or_b64 s[4:5], vcc, s[4:5]
	s_andn2_b64 exec, exec, s[4:5]
	s_cbranch_execz .LBB95_44
.LBB95_3:                               ; =>This Loop Header: Depth=1
                                        ;     Child Loop BB95_21 Depth 2
	s_waitcnt lgkmcnt(0)
	v_or_b32_e32 v3, s27, v1
	v_cmp_ne_u64_e32 vcc, 0, v[2:3]
                                        ; implicit-def: $vgpr6_vgpr7
	s_and_saveexec_b64 s[0:1], vcc
	s_xor_b64 s[46:47], exec, s[0:1]
	s_cbranch_execz .LBB95_5
; %bb.4:                                ;   in Loop: Header=BB95_3 Depth=1
	s_ashr_i32 s48, s27, 31
	s_add_u32 s0, s26, s48
	s_mov_b32 s49, s48
	s_addc_u32 s1, s27, s48
	s_xor_b64 s[50:51], s[0:1], s[48:49]
	v_cvt_f32_u32_e32 v3, s50
	v_cvt_f32_u32_e32 v4, s51
	s_sub_u32 s49, 0, s50
	s_subb_u32 s52, 0, s51
	v_ashrrev_i32_e32 v7, 31, v1
	v_mac_f32_e32 v3, 0x4f800000, v4
	v_rcp_f32_e32 v3, v3
	v_mul_f32_e32 v3, 0x5f7ffffc, v3
	v_mul_f32_e32 v4, 0x2f800000, v3
	v_trunc_f32_e32 v4, v4
	v_mac_f32_e32 v3, 0xcf800000, v4
	v_cvt_u32_f32_e32 v4, v4
	v_cvt_u32_f32_e32 v3, v3
	v_readfirstlane_b32 s53, v4
	v_readfirstlane_b32 s0, v3
	s_mul_i32 s1, s49, s53
	s_mul_hi_u32 s55, s49, s0
	s_mul_i32 s54, s52, s0
	s_add_i32 s1, s55, s1
	s_add_i32 s1, s1, s54
	s_mul_i32 s56, s49, s0
	s_mul_i32 s55, s0, s1
	s_mul_hi_u32 s57, s0, s56
	s_mul_hi_u32 s54, s0, s1
	s_add_u32 s55, s57, s55
	s_addc_u32 s54, 0, s54
	s_mul_hi_u32 s58, s53, s56
	s_mul_i32 s56, s53, s56
	s_add_u32 s55, s55, s56
	s_mul_hi_u32 s57, s53, s1
	s_addc_u32 s54, s54, s58
	s_addc_u32 s55, s57, 0
	s_mul_i32 s1, s53, s1
	s_add_u32 s1, s54, s1
	s_addc_u32 s54, 0, s55
	s_add_u32 s55, s0, s1
	s_cselect_b64 s[0:1], -1, 0
	s_cmp_lg_u64 s[0:1], 0
	s_addc_u32 s53, s53, s54
	s_mul_i32 s0, s49, s53
	s_mul_hi_u32 s1, s49, s55
	s_add_i32 s0, s1, s0
	s_mul_i32 s52, s52, s55
	s_add_i32 s0, s0, s52
	s_mul_i32 s49, s49, s55
	s_mul_hi_u32 s52, s53, s49
	s_mul_i32 s54, s53, s49
	s_mul_i32 s57, s55, s0
	s_mul_hi_u32 s49, s55, s49
	s_mul_hi_u32 s56, s55, s0
	s_add_u32 s49, s49, s57
	s_addc_u32 s56, 0, s56
	s_add_u32 s49, s49, s54
	s_mul_hi_u32 s1, s53, s0
	s_addc_u32 s49, s56, s52
	s_addc_u32 s1, s1, 0
	s_mul_i32 s0, s53, s0
	s_add_u32 s0, s49, s0
	s_addc_u32 s49, 0, s1
	s_add_u32 s52, s55, s0
	s_cselect_b64 s[0:1], -1, 0
	s_cmp_lg_u64 s[0:1], 0
	v_add_co_u32_e32 v3, vcc, v0, v7
	s_addc_u32 s49, s53, s49
	v_xor_b32_e32 v8, v3, v7
	v_mad_u64_u32 v[3:4], s[0:1], v8, s49, 0
	v_mul_hi_u32 v6, v8, s52
	v_addc_co_u32_e32 v5, vcc, v1, v7, vcc
	v_xor_b32_e32 v9, v5, v7
	v_add_co_u32_e32 v10, vcc, v6, v3
	v_addc_co_u32_e32 v11, vcc, 0, v4, vcc
	v_mad_u64_u32 v[3:4], s[0:1], v9, s52, 0
	v_mad_u64_u32 v[5:6], s[0:1], v9, s49, 0
	v_add_co_u32_e32 v3, vcc, v10, v3
	v_addc_co_u32_e32 v3, vcc, v11, v4, vcc
	v_addc_co_u32_e32 v4, vcc, 0, v6, vcc
	v_add_co_u32_e32 v5, vcc, v3, v5
	v_addc_co_u32_e32 v6, vcc, 0, v4, vcc
	v_mul_lo_u32 v10, s51, v5
	v_mul_lo_u32 v11, s50, v6
	v_mad_u64_u32 v[3:4], s[0:1], s50, v5, 0
	v_add3_u32 v4, v4, v11, v10
	v_sub_u32_e32 v10, v9, v4
	v_mov_b32_e32 v11, s51
	v_sub_co_u32_e32 v3, vcc, v8, v3
	v_subb_co_u32_e64 v8, s[0:1], v10, v11, vcc
	v_subrev_co_u32_e64 v10, s[0:1], s50, v3
	v_subbrev_co_u32_e64 v8, s[0:1], 0, v8, s[0:1]
	v_cmp_le_u32_e64 s[0:1], s51, v8
	v_cndmask_b32_e64 v11, 0, -1, s[0:1]
	v_cmp_le_u32_e64 s[0:1], s50, v10
	v_cndmask_b32_e64 v10, 0, -1, s[0:1]
	v_cmp_eq_u32_e64 s[0:1], s51, v8
	v_cndmask_b32_e64 v8, v11, v10, s[0:1]
	v_add_co_u32_e64 v10, s[0:1], 2, v5
	v_subb_co_u32_e32 v4, vcc, v9, v4, vcc
	v_addc_co_u32_e64 v11, s[0:1], 0, v6, s[0:1]
	v_cmp_le_u32_e32 vcc, s51, v4
	v_add_co_u32_e64 v12, s[0:1], 1, v5
	v_cndmask_b32_e64 v9, 0, -1, vcc
	v_cmp_le_u32_e32 vcc, s50, v3
	v_addc_co_u32_e64 v13, s[0:1], 0, v6, s[0:1]
	v_cndmask_b32_e64 v3, 0, -1, vcc
	v_cmp_eq_u32_e32 vcc, s51, v4
	v_cmp_ne_u32_e64 s[0:1], 0, v8
	v_cndmask_b32_e32 v3, v9, v3, vcc
	v_cmp_ne_u32_e32 vcc, 0, v3
	v_cndmask_b32_e64 v4, v12, v10, s[0:1]
	v_cndmask_b32_e64 v8, v13, v11, s[0:1]
	v_cndmask_b32_e32 v4, v5, v4, vcc
	v_xor_b32_e32 v5, s48, v7
	v_cndmask_b32_e32 v3, v6, v8, vcc
	v_xor_b32_e32 v4, v4, v5
	v_xor_b32_e32 v3, v3, v5
	v_sub_co_u32_e32 v6, vcc, v4, v5
	v_subb_co_u32_e32 v7, vcc, v3, v5, vcc
.LBB95_5:                               ;   in Loop: Header=BB95_3 Depth=1
	s_andn2_saveexec_b64 s[0:1], s[46:47]
	s_cbranch_execz .LBB95_7
; %bb.6:                                ;   in Loop: Header=BB95_3 Depth=1
	v_cvt_f32_u32_e32 v3, s26
	s_sub_i32 s46, 0, s26
	v_mov_b32_e32 v7, v2
	v_rcp_iflag_f32_e32 v3, v3
	v_mul_f32_e32 v3, 0x4f7ffffe, v3
	v_cvt_u32_f32_e32 v3, v3
	v_mul_lo_u32 v4, s46, v3
	v_mul_hi_u32 v4, v3, v4
	v_add_u32_e32 v3, v3, v4
	v_mul_hi_u32 v3, v0, v3
	v_mul_lo_u32 v4, v3, s26
	v_add_u32_e32 v5, 1, v3
	v_sub_u32_e32 v4, v0, v4
	v_subrev_u32_e32 v6, s26, v4
	v_cmp_le_u32_e32 vcc, s26, v4
	v_cndmask_b32_e32 v4, v4, v6, vcc
	v_cndmask_b32_e32 v3, v3, v5, vcc
	v_add_u32_e32 v5, 1, v3
	v_cmp_le_u32_e32 vcc, s26, v4
	v_cndmask_b32_e32 v6, v3, v5, vcc
.LBB95_7:                               ;   in Loop: Header=BB95_3 Depth=1
	s_or_b64 exec, exec, s[0:1]
	v_or_b32_e32 v3, s13, v7
	v_cmp_ne_u64_e32 vcc, 0, v[2:3]
                                        ; implicit-def: $vgpr10_vgpr11
	s_and_saveexec_b64 s[0:1], vcc
	s_xor_b64 s[46:47], exec, s[0:1]
	s_cbranch_execz .LBB95_9
; %bb.8:                                ;   in Loop: Header=BB95_3 Depth=1
	s_ashr_i32 s48, s13, 31
	s_add_u32 s0, s12, s48
	s_mov_b32 s49, s48
	s_addc_u32 s1, s13, s48
	s_xor_b64 s[50:51], s[0:1], s[48:49]
	v_cvt_f32_u32_e32 v3, s50
	v_cvt_f32_u32_e32 v4, s51
	s_sub_u32 s49, 0, s50
	s_subb_u32 s52, 0, s51
	v_ashrrev_i32_e32 v5, 31, v7
	v_mac_f32_e32 v3, 0x4f800000, v4
	v_rcp_f32_e32 v3, v3
	v_mul_f32_e32 v3, 0x5f7ffffc, v3
	v_mul_f32_e32 v4, 0x2f800000, v3
	v_trunc_f32_e32 v4, v4
	v_mac_f32_e32 v3, 0xcf800000, v4
	v_cvt_u32_f32_e32 v4, v4
	v_cvt_u32_f32_e32 v3, v3
	v_readfirstlane_b32 s53, v4
	v_readfirstlane_b32 s0, v3
	s_mul_i32 s1, s49, s53
	s_mul_hi_u32 s55, s49, s0
	s_mul_i32 s54, s52, s0
	s_add_i32 s1, s55, s1
	s_add_i32 s1, s1, s54
	s_mul_i32 s56, s49, s0
	s_mul_i32 s55, s0, s1
	s_mul_hi_u32 s57, s0, s56
	s_mul_hi_u32 s54, s0, s1
	s_add_u32 s55, s57, s55
	s_addc_u32 s54, 0, s54
	s_mul_hi_u32 s58, s53, s56
	s_mul_i32 s56, s53, s56
	s_add_u32 s55, s55, s56
	s_mul_hi_u32 s57, s53, s1
	s_addc_u32 s54, s54, s58
	s_addc_u32 s55, s57, 0
	s_mul_i32 s1, s53, s1
	s_add_u32 s1, s54, s1
	s_addc_u32 s54, 0, s55
	s_add_u32 s55, s0, s1
	s_cselect_b64 s[0:1], -1, 0
	s_cmp_lg_u64 s[0:1], 0
	s_addc_u32 s53, s53, s54
	s_mul_i32 s0, s49, s53
	s_mul_hi_u32 s1, s49, s55
	s_add_i32 s0, s1, s0
	s_mul_i32 s52, s52, s55
	s_add_i32 s0, s0, s52
	s_mul_i32 s49, s49, s55
	s_mul_hi_u32 s52, s53, s49
	s_mul_i32 s54, s53, s49
	s_mul_i32 s57, s55, s0
	s_mul_hi_u32 s49, s55, s49
	s_mul_hi_u32 s56, s55, s0
	s_add_u32 s49, s49, s57
	s_addc_u32 s56, 0, s56
	s_add_u32 s49, s49, s54
	s_mul_hi_u32 s1, s53, s0
	s_addc_u32 s49, s56, s52
	s_addc_u32 s1, s1, 0
	s_mul_i32 s0, s53, s0
	s_add_u32 s0, s49, s0
	s_addc_u32 s49, 0, s1
	s_add_u32 s52, s55, s0
	s_cselect_b64 s[0:1], -1, 0
	s_cmp_lg_u64 s[0:1], 0
	v_add_co_u32_e32 v3, vcc, v6, v5
	s_addc_u32 s49, s53, s49
	v_xor_b32_e32 v10, v3, v5
	v_mad_u64_u32 v[3:4], s[0:1], v10, s49, 0
	v_mul_hi_u32 v9, v10, s52
	v_addc_co_u32_e32 v8, vcc, v7, v5, vcc
	v_xor_b32_e32 v11, v8, v5
	v_add_co_u32_e32 v12, vcc, v9, v3
	v_addc_co_u32_e32 v13, vcc, 0, v4, vcc
	v_mad_u64_u32 v[3:4], s[0:1], v11, s52, 0
	v_mad_u64_u32 v[8:9], s[0:1], v11, s49, 0
	v_add_co_u32_e32 v3, vcc, v12, v3
	v_addc_co_u32_e32 v3, vcc, v13, v4, vcc
	v_addc_co_u32_e32 v4, vcc, 0, v9, vcc
	v_add_co_u32_e32 v8, vcc, v3, v8
	v_addc_co_u32_e32 v9, vcc, 0, v4, vcc
	v_mul_lo_u32 v12, s51, v8
	v_mul_lo_u32 v13, s50, v9
	v_mad_u64_u32 v[3:4], s[0:1], s50, v8, 0
	v_xor_b32_e32 v5, s48, v5
	v_add3_u32 v4, v4, v13, v12
	v_sub_u32_e32 v12, v11, v4
	v_mov_b32_e32 v13, s51
	v_sub_co_u32_e32 v3, vcc, v10, v3
	v_subb_co_u32_e64 v10, s[0:1], v12, v13, vcc
	v_subrev_co_u32_e64 v12, s[0:1], s50, v3
	v_subbrev_co_u32_e64 v10, s[0:1], 0, v10, s[0:1]
	v_cmp_le_u32_e64 s[0:1], s51, v10
	v_cndmask_b32_e64 v13, 0, -1, s[0:1]
	v_cmp_le_u32_e64 s[0:1], s50, v12
	v_cndmask_b32_e64 v12, 0, -1, s[0:1]
	v_cmp_eq_u32_e64 s[0:1], s51, v10
	v_cndmask_b32_e64 v10, v13, v12, s[0:1]
	v_add_co_u32_e64 v12, s[0:1], 2, v8
	v_subb_co_u32_e32 v4, vcc, v11, v4, vcc
	v_addc_co_u32_e64 v13, s[0:1], 0, v9, s[0:1]
	v_cmp_le_u32_e32 vcc, s51, v4
	v_add_co_u32_e64 v14, s[0:1], 1, v8
	v_cndmask_b32_e64 v11, 0, -1, vcc
	v_cmp_le_u32_e32 vcc, s50, v3
	v_addc_co_u32_e64 v15, s[0:1], 0, v9, s[0:1]
	v_cndmask_b32_e64 v3, 0, -1, vcc
	v_cmp_eq_u32_e32 vcc, s51, v4
	v_cmp_ne_u32_e64 s[0:1], 0, v10
	v_cndmask_b32_e32 v3, v11, v3, vcc
	v_cmp_ne_u32_e32 vcc, 0, v3
	v_cndmask_b32_e64 v4, v14, v12, s[0:1]
	v_cndmask_b32_e64 v10, v15, v13, s[0:1]
	v_cndmask_b32_e32 v4, v8, v4, vcc
	v_cndmask_b32_e32 v3, v9, v10, vcc
	v_xor_b32_e32 v4, v4, v5
	v_xor_b32_e32 v3, v3, v5
	v_sub_co_u32_e32 v10, vcc, v4, v5
	v_subb_co_u32_e32 v11, vcc, v3, v5, vcc
.LBB95_9:                               ;   in Loop: Header=BB95_3 Depth=1
	s_andn2_saveexec_b64 s[0:1], s[46:47]
	s_cbranch_execz .LBB95_11
; %bb.10:                               ;   in Loop: Header=BB95_3 Depth=1
	v_cvt_f32_u32_e32 v3, s12
	s_sub_i32 s46, 0, s12
	v_mov_b32_e32 v11, v2
	v_rcp_iflag_f32_e32 v3, v3
	v_mul_f32_e32 v3, 0x4f7ffffe, v3
	v_cvt_u32_f32_e32 v3, v3
	v_mul_lo_u32 v4, s46, v3
	v_mul_hi_u32 v4, v3, v4
	v_add_u32_e32 v3, v3, v4
	v_mul_hi_u32 v3, v6, v3
	v_mul_lo_u32 v4, v3, s12
	v_add_u32_e32 v5, 1, v3
	v_sub_u32_e32 v4, v6, v4
	v_subrev_u32_e32 v8, s12, v4
	v_cmp_le_u32_e32 vcc, s12, v4
	v_cndmask_b32_e32 v4, v4, v8, vcc
	v_cndmask_b32_e32 v3, v3, v5, vcc
	v_add_u32_e32 v5, 1, v3
	v_cmp_le_u32_e32 vcc, s12, v4
	v_cndmask_b32_e32 v10, v3, v5, vcc
.LBB95_11:                              ;   in Loop: Header=BB95_3 Depth=1
	s_or_b64 exec, exec, s[0:1]
	v_mul_lo_u32 v5, v7, s26
	v_mul_lo_u32 v8, v6, s27
	v_mad_u64_u32 v[3:4], s[0:1], v6, s26, 0
	v_mul_lo_u32 v12, v11, s12
	v_mul_lo_u32 v13, v10, s13
	v_add3_u32 v5, v4, v8, v5
	v_mad_u64_u32 v[8:9], s[0:1], v10, s12, 0
	v_sub_co_u32_e32 v4, vcc, v0, v3
	v_subb_co_u32_e32 v5, vcc, v1, v5, vcc
	v_add3_u32 v3, v9, v13, v12
	v_mul_lo_u32 v9, s19, v4
	v_mul_lo_u32 v14, s18, v5
	v_mad_u64_u32 v[12:13], s[0:1], s18, v4, 0
	v_sub_co_u32_e32 v16, vcc, v6, v8
	v_subb_co_u32_e32 v17, vcc, v7, v3, vcc
	v_add3_u32 v13, v13, v14, v9
	v_mul_lo_u32 v3, s23, v4
	v_mul_lo_u32 v14, s22, v5
	v_mad_u64_u32 v[6:7], s[0:1], s22, v4, 0
	v_mad_u64_u32 v[8:9], s[0:1], s16, v16, v[12:13]
	v_mul_lo_u32 v12, s16, v17
	v_mul_lo_u32 v13, s17, v16
	v_add3_u32 v7, v7, v14, v3
	v_mad_u64_u32 v[6:7], s[0:1], s20, v16, v[6:7]
	v_add3_u32 v9, v13, v9, v12
	v_mul_lo_u32 v3, s20, v17
	v_mul_lo_u32 v12, s21, v16
	s_andn2_b64 vcc, exec, s[6:7]
	v_add3_u32 v7, v12, v7, v3
	s_cbranch_vccnz .LBB95_29
; %bb.12:                               ;   in Loop: Header=BB95_3 Depth=1
	s_andn2_b64 vcc, exec, s[36:37]
	s_cbranch_vccnz .LBB95_18
; %bb.13:                               ;   in Loop: Header=BB95_3 Depth=1
	s_load_dwordx2 s[46:47], s[38:39], 0x8
                                        ; implicit-def: $vgpr12_vgpr13
	s_waitcnt lgkmcnt(0)
	v_or_b32_e32 v3, s47, v11
	v_cmp_ne_u64_e32 vcc, 0, v[2:3]
	s_and_saveexec_b64 s[0:1], vcc
	s_xor_b64 s[48:49], exec, s[0:1]
	s_cbranch_execz .LBB95_15
; %bb.14:                               ;   in Loop: Header=BB95_3 Depth=1
	s_ashr_i32 s50, s47, 31
	s_add_u32 s0, s46, s50
	s_mov_b32 s51, s50
	s_addc_u32 s1, s47, s50
	s_xor_b64 s[52:53], s[0:1], s[50:51]
	v_cvt_f32_u32_e32 v3, s52
	v_cvt_f32_u32_e32 v12, s53
	s_sub_u32 s51, 0, s52
	s_subb_u32 s54, 0, s53
	v_mac_f32_e32 v3, 0x4f800000, v12
	v_rcp_f32_e32 v3, v3
	v_mul_f32_e32 v3, 0x5f7ffffc, v3
	v_mul_f32_e32 v12, 0x2f800000, v3
	v_trunc_f32_e32 v12, v12
	v_mac_f32_e32 v3, 0xcf800000, v12
	v_cvt_u32_f32_e32 v12, v12
	v_cvt_u32_f32_e32 v3, v3
	v_readfirstlane_b32 s55, v12
	v_readfirstlane_b32 s0, v3
	s_mul_i32 s1, s51, s55
	s_mul_hi_u32 s57, s51, s0
	s_mul_i32 s56, s54, s0
	s_add_i32 s1, s57, s1
	s_add_i32 s1, s1, s56
	s_mul_i32 s58, s51, s0
	s_mul_i32 s57, s0, s1
	s_mul_hi_u32 s59, s0, s58
	s_mul_hi_u32 s56, s0, s1
	s_add_u32 s57, s59, s57
	s_addc_u32 s56, 0, s56
	s_mul_hi_u32 s60, s55, s58
	s_mul_i32 s58, s55, s58
	s_add_u32 s57, s57, s58
	s_mul_hi_u32 s59, s55, s1
	s_addc_u32 s56, s56, s60
	s_addc_u32 s57, s59, 0
	s_mul_i32 s1, s55, s1
	s_add_u32 s1, s56, s1
	s_addc_u32 s56, 0, s57
	s_add_u32 s57, s0, s1
	s_cselect_b64 s[0:1], -1, 0
	s_cmp_lg_u64 s[0:1], 0
	s_addc_u32 s55, s55, s56
	s_mul_i32 s0, s51, s55
	s_mul_hi_u32 s1, s51, s57
	s_add_i32 s0, s1, s0
	s_mul_i32 s54, s54, s57
	s_add_i32 s0, s0, s54
	s_mul_i32 s51, s51, s57
	s_mul_hi_u32 s54, s55, s51
	s_mul_i32 s56, s55, s51
	s_mul_i32 s59, s57, s0
	s_mul_hi_u32 s51, s57, s51
	s_mul_hi_u32 s58, s57, s0
	s_add_u32 s51, s51, s59
	s_addc_u32 s58, 0, s58
	s_add_u32 s51, s51, s56
	s_mul_hi_u32 s1, s55, s0
	s_addc_u32 s51, s58, s54
	s_addc_u32 s1, s1, 0
	s_mul_i32 s0, s55, s0
	s_add_u32 s0, s51, s0
	s_addc_u32 s51, 0, s1
	s_add_u32 s54, s57, s0
	s_cselect_b64 s[0:1], -1, 0
	v_ashrrev_i32_e32 v3, 31, v11
	s_cmp_lg_u64 s[0:1], 0
	v_add_co_u32_e32 v12, vcc, v10, v3
	s_addc_u32 s51, s55, s51
	v_xor_b32_e32 v18, v12, v3
	v_mad_u64_u32 v[12:13], s[0:1], v18, s51, 0
	v_mul_hi_u32 v15, v18, s54
	v_addc_co_u32_e32 v14, vcc, v11, v3, vcc
	v_xor_b32_e32 v19, v14, v3
	v_add_co_u32_e32 v20, vcc, v15, v12
	v_addc_co_u32_e32 v21, vcc, 0, v13, vcc
	v_mad_u64_u32 v[12:13], s[0:1], v19, s54, 0
	v_mad_u64_u32 v[14:15], s[0:1], v19, s51, 0
	v_add_co_u32_e32 v12, vcc, v20, v12
	v_addc_co_u32_e32 v12, vcc, v21, v13, vcc
	v_addc_co_u32_e32 v13, vcc, 0, v15, vcc
	v_add_co_u32_e32 v14, vcc, v12, v14
	v_addc_co_u32_e32 v15, vcc, 0, v13, vcc
	v_mul_lo_u32 v20, s53, v14
	v_mul_lo_u32 v21, s52, v15
	v_mad_u64_u32 v[12:13], s[0:1], s52, v14, 0
	v_xor_b32_e32 v3, s50, v3
	v_add3_u32 v13, v13, v21, v20
	v_sub_u32_e32 v20, v19, v13
	v_mov_b32_e32 v21, s53
	v_sub_co_u32_e32 v12, vcc, v18, v12
	v_subb_co_u32_e64 v18, s[0:1], v20, v21, vcc
	v_subrev_co_u32_e64 v20, s[0:1], s52, v12
	v_subbrev_co_u32_e64 v18, s[0:1], 0, v18, s[0:1]
	v_cmp_le_u32_e64 s[0:1], s53, v18
	v_cndmask_b32_e64 v21, 0, -1, s[0:1]
	v_cmp_le_u32_e64 s[0:1], s52, v20
	v_cndmask_b32_e64 v20, 0, -1, s[0:1]
	v_cmp_eq_u32_e64 s[0:1], s53, v18
	v_cndmask_b32_e64 v18, v21, v20, s[0:1]
	v_add_co_u32_e64 v20, s[0:1], 2, v14
	v_subb_co_u32_e32 v13, vcc, v19, v13, vcc
	v_addc_co_u32_e64 v21, s[0:1], 0, v15, s[0:1]
	v_cmp_le_u32_e32 vcc, s53, v13
	v_add_co_u32_e64 v22, s[0:1], 1, v14
	v_cndmask_b32_e64 v19, 0, -1, vcc
	v_cmp_le_u32_e32 vcc, s52, v12
	v_addc_co_u32_e64 v23, s[0:1], 0, v15, s[0:1]
	v_cndmask_b32_e64 v12, 0, -1, vcc
	v_cmp_eq_u32_e32 vcc, s53, v13
	v_cmp_ne_u32_e64 s[0:1], 0, v18
	v_cndmask_b32_e32 v12, v19, v12, vcc
	v_cndmask_b32_e64 v18, v23, v21, s[0:1]
	v_cmp_ne_u32_e32 vcc, 0, v12
	v_cndmask_b32_e64 v13, v22, v20, s[0:1]
	v_cndmask_b32_e32 v12, v15, v18, vcc
	v_cndmask_b32_e32 v13, v14, v13, vcc
	v_xor_b32_e32 v14, v12, v3
	v_xor_b32_e32 v12, v13, v3
	v_sub_co_u32_e32 v12, vcc, v12, v3
	v_subb_co_u32_e32 v13, vcc, v14, v3, vcc
.LBB95_15:                              ;   in Loop: Header=BB95_3 Depth=1
	s_andn2_saveexec_b64 s[0:1], s[48:49]
	s_cbranch_execz .LBB95_17
; %bb.16:                               ;   in Loop: Header=BB95_3 Depth=1
	v_cvt_f32_u32_e32 v3, s46
	s_sub_i32 s48, 0, s46
	v_rcp_iflag_f32_e32 v3, v3
	v_mul_f32_e32 v3, 0x4f7ffffe, v3
	v_cvt_u32_f32_e32 v3, v3
	v_mul_lo_u32 v12, s48, v3
	v_mul_hi_u32 v12, v3, v12
	v_add_u32_e32 v3, v3, v12
	v_mul_hi_u32 v3, v10, v3
	v_mul_lo_u32 v12, v3, s46
	v_add_u32_e32 v13, 1, v3
	v_sub_u32_e32 v12, v10, v12
	v_subrev_u32_e32 v14, s46, v12
	v_cmp_le_u32_e32 vcc, s46, v12
	v_cndmask_b32_e32 v12, v12, v14, vcc
	v_cndmask_b32_e32 v3, v3, v13, vcc
	v_add_u32_e32 v13, 1, v3
	v_cmp_le_u32_e32 vcc, s46, v12
	v_cndmask_b32_e32 v12, v3, v13, vcc
	v_mov_b32_e32 v13, v2
.LBB95_17:                              ;   in Loop: Header=BB95_3 Depth=1
	s_or_b64 exec, exec, s[0:1]
	v_mul_lo_u32 v3, v13, s46
	v_mul_lo_u32 v18, v12, s47
	v_mad_u64_u32 v[14:15], s[0:1], v12, s46, 0
	s_load_dwordx2 s[0:1], s[38:39], 0xd0
	s_load_dwordx2 s[46:47], s[40:41], 0xd0
	v_add3_u32 v3, v15, v18, v3
	v_sub_co_u32_e32 v10, vcc, v10, v14
	v_subb_co_u32_e32 v3, vcc, v11, v3, vcc
	s_waitcnt lgkmcnt(0)
	v_mul_lo_u32 v11, s0, v3
	v_mul_lo_u32 v14, s1, v10
	v_mad_u64_u32 v[8:9], s[0:1], s0, v10, v[8:9]
	v_mul_lo_u32 v3, s46, v3
	v_mul_lo_u32 v15, s47, v10
	v_mad_u64_u32 v[6:7], s[0:1], s46, v10, v[6:7]
	v_add3_u32 v9, v14, v9, v11
	v_mov_b32_e32 v10, v12
	v_add3_u32 v7, v15, v7, v3
	v_mov_b32_e32 v11, v13
	s_mov_b64 s[0:1], s[42:43]
	s_andn2_b64 vcc, exec, s[44:45]
	s_cbranch_vccz .LBB95_19
	s_branch .LBB95_29
.LBB95_18:                              ;   in Loop: Header=BB95_3 Depth=1
	s_mov_b64 s[0:1], s[24:25]
	s_andn2_b64 vcc, exec, s[44:45]
	s_cbranch_vccnz .LBB95_29
.LBB95_19:                              ;   in Loop: Header=BB95_3 Depth=1
	s_lshl_b64 s[48:49], s[0:1], 3
	s_add_u32 s46, s72, s48
	s_addc_u32 s47, s73, s49
	s_add_u32 s48, s33, s48
	s_addc_u32 s49, s66, s49
	;; [unrolled: 2-line block ×3, first 2 shown]
	s_branch .LBB95_21
.LBB95_20:                              ;   in Loop: Header=BB95_21 Depth=2
	s_or_b64 exec, exec, s[0:1]
	v_mul_lo_u32 v3, v13, s52
	v_mul_lo_u32 v20, v12, s53
	v_mad_u64_u32 v[18:19], s[0:1], v12, s52, 0
	v_mul_lo_u32 v21, v15, s54
	v_mul_lo_u32 v22, v14, s55
	v_add3_u32 v3, v19, v20, v3
	v_sub_co_u32_e32 v10, vcc, v10, v18
	v_subb_co_u32_e32 v3, vcc, v11, v3, vcc
	v_mul_lo_u32 v18, s58, v3
	v_mul_lo_u32 v19, s59, v10
	v_mad_u64_u32 v[8:9], s[0:1], s58, v10, v[8:9]
	v_mul_lo_u32 v3, s56, v3
	v_mul_lo_u32 v20, s57, v10
	v_mad_u64_u32 v[6:7], s[0:1], s56, v10, v[6:7]
	v_mad_u64_u32 v[10:11], s[0:1], v14, s54, 0
	s_load_dwordx2 s[0:1], s[48:49], 0xc8
	s_load_dwordx2 s[52:53], s[46:47], 0x0
	v_add3_u32 v7, v20, v7, v3
	v_add3_u32 v3, v11, v22, v21
	v_sub_co_u32_e32 v10, vcc, v12, v10
	v_add3_u32 v9, v19, v9, v18
	v_subb_co_u32_e32 v3, vcc, v13, v3, vcc
	s_add_u32 s46, s46, -16
	s_waitcnt lgkmcnt(0)
	v_mad_u64_u32 v[8:9], s[54:55], s0, v10, v[8:9]
	v_mul_lo_u32 v11, s0, v3
	v_mul_lo_u32 v12, s1, v10
	v_mad_u64_u32 v[6:7], s[0:1], s52, v10, v[6:7]
	v_mul_lo_u32 v3, s52, v3
	v_mul_lo_u32 v10, s53, v10
	s_addc_u32 s47, s47, -1
	s_add_u32 s48, s48, -16
	s_addc_u32 s49, s49, -1
	s_add_u32 s50, s50, -2
	v_add3_u32 v9, v12, v9, v11
	v_add3_u32 v7, v10, v7, v3
	s_addc_u32 s51, s51, -1
	v_mov_b32_e32 v10, v14
	s_cmp_eq_u64 s[50:51], 0
	v_mov_b32_e32 v11, v15
	s_cbranch_scc1 .LBB95_29
.LBB95_21:                              ;   Parent Loop BB95_3 Depth=1
                                        ; =>  This Inner Loop Header: Depth=2
	s_load_dwordx2 s[52:53], s[48:49], 0x8
                                        ; implicit-def: $vgpr12_vgpr13
	s_waitcnt lgkmcnt(0)
	v_or_b32_e32 v3, s53, v11
	v_cmp_ne_u64_e32 vcc, 0, v[2:3]
	s_and_saveexec_b64 s[0:1], vcc
	s_xor_b64 s[54:55], exec, s[0:1]
	s_cbranch_execz .LBB95_23
; %bb.22:                               ;   in Loop: Header=BB95_21 Depth=2
	s_ashr_i32 s56, s53, 31
	s_add_u32 s0, s52, s56
	s_mov_b32 s57, s56
	s_addc_u32 s1, s53, s56
	s_xor_b64 s[58:59], s[0:1], s[56:57]
	v_cvt_f32_u32_e32 v3, s58
	v_cvt_f32_u32_e32 v12, s59
	s_sub_u32 s57, 0, s58
	s_subb_u32 s60, 0, s59
	v_mac_f32_e32 v3, 0x4f800000, v12
	v_rcp_f32_e32 v3, v3
	v_mul_f32_e32 v3, 0x5f7ffffc, v3
	v_mul_f32_e32 v12, 0x2f800000, v3
	v_trunc_f32_e32 v12, v12
	v_mac_f32_e32 v3, 0xcf800000, v12
	v_cvt_u32_f32_e32 v12, v12
	v_cvt_u32_f32_e32 v3, v3
	v_readfirstlane_b32 s61, v12
	v_readfirstlane_b32 s0, v3
	s_mul_i32 s1, s57, s61
	s_mul_hi_u32 s63, s57, s0
	s_mul_i32 s62, s60, s0
	s_add_i32 s1, s63, s1
	s_add_i32 s1, s1, s62
	s_mul_i32 s64, s57, s0
	s_mul_i32 s63, s0, s1
	s_mul_hi_u32 s65, s0, s64
	s_mul_hi_u32 s62, s0, s1
	s_add_u32 s63, s65, s63
	s_addc_u32 s62, 0, s62
	s_mul_hi_u32 s74, s61, s64
	s_mul_i32 s64, s61, s64
	s_add_u32 s63, s63, s64
	s_mul_hi_u32 s65, s61, s1
	s_addc_u32 s62, s62, s74
	s_addc_u32 s63, s65, 0
	s_mul_i32 s1, s61, s1
	s_add_u32 s1, s62, s1
	s_addc_u32 s62, 0, s63
	s_add_u32 s63, s0, s1
	s_cselect_b64 s[0:1], -1, 0
	s_cmp_lg_u64 s[0:1], 0
	s_addc_u32 s61, s61, s62
	s_mul_i32 s0, s57, s61
	s_mul_hi_u32 s1, s57, s63
	s_add_i32 s0, s1, s0
	s_mul_i32 s60, s60, s63
	s_add_i32 s0, s0, s60
	s_mul_i32 s57, s57, s63
	s_mul_hi_u32 s60, s61, s57
	s_mul_i32 s62, s61, s57
	s_mul_i32 s65, s63, s0
	s_mul_hi_u32 s57, s63, s57
	s_mul_hi_u32 s64, s63, s0
	s_add_u32 s57, s57, s65
	s_addc_u32 s64, 0, s64
	s_add_u32 s57, s57, s62
	s_mul_hi_u32 s1, s61, s0
	s_addc_u32 s57, s64, s60
	s_addc_u32 s1, s1, 0
	s_mul_i32 s0, s61, s0
	s_add_u32 s0, s57, s0
	s_addc_u32 s57, 0, s1
	s_add_u32 s60, s63, s0
	s_cselect_b64 s[0:1], -1, 0
	v_ashrrev_i32_e32 v3, 31, v11
	s_cmp_lg_u64 s[0:1], 0
	v_add_co_u32_e32 v12, vcc, v10, v3
	s_addc_u32 s57, s61, s57
	v_xor_b32_e32 v18, v12, v3
	v_mad_u64_u32 v[12:13], s[0:1], v18, s57, 0
	v_mul_hi_u32 v15, v18, s60
	v_addc_co_u32_e32 v14, vcc, v11, v3, vcc
	v_xor_b32_e32 v19, v14, v3
	v_add_co_u32_e32 v20, vcc, v15, v12
	v_addc_co_u32_e32 v21, vcc, 0, v13, vcc
	v_mad_u64_u32 v[12:13], s[0:1], v19, s60, 0
	v_mad_u64_u32 v[14:15], s[0:1], v19, s57, 0
	v_add_co_u32_e32 v12, vcc, v20, v12
	v_addc_co_u32_e32 v12, vcc, v21, v13, vcc
	v_addc_co_u32_e32 v13, vcc, 0, v15, vcc
	v_add_co_u32_e32 v14, vcc, v12, v14
	v_addc_co_u32_e32 v15, vcc, 0, v13, vcc
	v_mul_lo_u32 v20, s59, v14
	v_mul_lo_u32 v21, s58, v15
	v_mad_u64_u32 v[12:13], s[0:1], s58, v14, 0
	v_xor_b32_e32 v3, s56, v3
	v_add3_u32 v13, v13, v21, v20
	v_sub_u32_e32 v20, v19, v13
	v_mov_b32_e32 v21, s59
	v_sub_co_u32_e32 v12, vcc, v18, v12
	v_subb_co_u32_e64 v18, s[0:1], v20, v21, vcc
	v_subrev_co_u32_e64 v20, s[0:1], s58, v12
	v_subbrev_co_u32_e64 v18, s[0:1], 0, v18, s[0:1]
	v_cmp_le_u32_e64 s[0:1], s59, v18
	v_cndmask_b32_e64 v21, 0, -1, s[0:1]
	v_cmp_le_u32_e64 s[0:1], s58, v20
	v_cndmask_b32_e64 v20, 0, -1, s[0:1]
	v_cmp_eq_u32_e64 s[0:1], s59, v18
	v_cndmask_b32_e64 v18, v21, v20, s[0:1]
	v_add_co_u32_e64 v20, s[0:1], 2, v14
	v_subb_co_u32_e32 v13, vcc, v19, v13, vcc
	v_addc_co_u32_e64 v21, s[0:1], 0, v15, s[0:1]
	v_cmp_le_u32_e32 vcc, s59, v13
	v_add_co_u32_e64 v22, s[0:1], 1, v14
	v_cndmask_b32_e64 v19, 0, -1, vcc
	v_cmp_le_u32_e32 vcc, s58, v12
	v_addc_co_u32_e64 v23, s[0:1], 0, v15, s[0:1]
	v_cndmask_b32_e64 v12, 0, -1, vcc
	v_cmp_eq_u32_e32 vcc, s59, v13
	v_cmp_ne_u32_e64 s[0:1], 0, v18
	v_cndmask_b32_e32 v12, v19, v12, vcc
	v_cndmask_b32_e64 v18, v23, v21, s[0:1]
	v_cmp_ne_u32_e32 vcc, 0, v12
	v_cndmask_b32_e64 v13, v22, v20, s[0:1]
	v_cndmask_b32_e32 v12, v15, v18, vcc
	v_cndmask_b32_e32 v13, v14, v13, vcc
	v_xor_b32_e32 v14, v12, v3
	v_xor_b32_e32 v12, v13, v3
	v_sub_co_u32_e32 v12, vcc, v12, v3
	v_subb_co_u32_e32 v13, vcc, v14, v3, vcc
.LBB95_23:                              ;   in Loop: Header=BB95_21 Depth=2
	s_andn2_saveexec_b64 s[0:1], s[54:55]
	s_cbranch_execz .LBB95_25
; %bb.24:                               ;   in Loop: Header=BB95_21 Depth=2
	v_cvt_f32_u32_e32 v3, s52
	s_sub_i32 s54, 0, s52
	v_rcp_iflag_f32_e32 v3, v3
	v_mul_f32_e32 v3, 0x4f7ffffe, v3
	v_cvt_u32_f32_e32 v3, v3
	v_mul_lo_u32 v12, s54, v3
	v_mul_hi_u32 v12, v3, v12
	v_add_u32_e32 v3, v3, v12
	v_mul_hi_u32 v3, v10, v3
	v_mul_lo_u32 v12, v3, s52
	v_add_u32_e32 v13, 1, v3
	v_sub_u32_e32 v12, v10, v12
	v_subrev_u32_e32 v14, s52, v12
	v_cmp_le_u32_e32 vcc, s52, v12
	v_cndmask_b32_e32 v12, v12, v14, vcc
	v_cndmask_b32_e32 v3, v3, v13, vcc
	v_add_u32_e32 v13, 1, v3
	v_cmp_le_u32_e32 vcc, s52, v12
	v_cndmask_b32_e32 v12, v3, v13, vcc
	v_mov_b32_e32 v13, v2
.LBB95_25:                              ;   in Loop: Header=BB95_21 Depth=2
	s_or_b64 exec, exec, s[0:1]
	s_load_dwordx2 s[54:55], s[48:49], 0x0
	s_load_dwordx2 s[58:59], s[48:49], 0xd0
	;; [unrolled: 1-line block ×3, first 2 shown]
                                        ; implicit-def: $vgpr14_vgpr15
	s_waitcnt lgkmcnt(0)
	v_or_b32_e32 v3, s55, v13
	v_cmp_ne_u64_e32 vcc, 0, v[2:3]
	s_and_saveexec_b64 s[0:1], vcc
	s_xor_b64 s[60:61], exec, s[0:1]
	s_cbranch_execz .LBB95_27
; %bb.26:                               ;   in Loop: Header=BB95_21 Depth=2
	s_ashr_i32 s62, s55, 31
	s_add_u32 s0, s54, s62
	s_mov_b32 s63, s62
	s_addc_u32 s1, s55, s62
	s_xor_b64 s[64:65], s[0:1], s[62:63]
	v_cvt_f32_u32_e32 v3, s64
	v_cvt_f32_u32_e32 v14, s65
	s_sub_u32 s63, 0, s64
	s_subb_u32 s74, 0, s65
	v_mac_f32_e32 v3, 0x4f800000, v14
	v_rcp_f32_e32 v3, v3
	v_mul_f32_e32 v3, 0x5f7ffffc, v3
	v_mul_f32_e32 v14, 0x2f800000, v3
	v_trunc_f32_e32 v14, v14
	v_mac_f32_e32 v3, 0xcf800000, v14
	v_cvt_u32_f32_e32 v14, v14
	v_cvt_u32_f32_e32 v3, v3
	v_readfirstlane_b32 s75, v14
	v_readfirstlane_b32 s0, v3
	s_mul_i32 s1, s63, s75
	s_mul_hi_u32 s77, s63, s0
	s_mul_i32 s76, s74, s0
	s_add_i32 s1, s77, s1
	s_add_i32 s1, s1, s76
	s_mul_i32 s78, s63, s0
	s_mul_i32 s77, s0, s1
	s_mul_hi_u32 s79, s0, s78
	s_mul_hi_u32 s76, s0, s1
	s_add_u32 s77, s79, s77
	s_addc_u32 s76, 0, s76
	s_mul_hi_u32 s80, s75, s78
	s_mul_i32 s78, s75, s78
	s_add_u32 s77, s77, s78
	s_mul_hi_u32 s79, s75, s1
	s_addc_u32 s76, s76, s80
	s_addc_u32 s77, s79, 0
	s_mul_i32 s1, s75, s1
	s_add_u32 s1, s76, s1
	s_addc_u32 s76, 0, s77
	s_add_u32 s77, s0, s1
	s_cselect_b64 s[0:1], -1, 0
	s_cmp_lg_u64 s[0:1], 0
	s_addc_u32 s75, s75, s76
	s_mul_i32 s0, s63, s75
	s_mul_hi_u32 s1, s63, s77
	s_add_i32 s0, s1, s0
	s_mul_i32 s74, s74, s77
	s_add_i32 s0, s0, s74
	s_mul_i32 s63, s63, s77
	s_mul_hi_u32 s74, s75, s63
	s_mul_i32 s76, s75, s63
	s_mul_i32 s79, s77, s0
	s_mul_hi_u32 s63, s77, s63
	s_mul_hi_u32 s78, s77, s0
	s_add_u32 s63, s63, s79
	s_addc_u32 s78, 0, s78
	s_add_u32 s63, s63, s76
	s_mul_hi_u32 s1, s75, s0
	s_addc_u32 s63, s78, s74
	s_addc_u32 s1, s1, 0
	s_mul_i32 s0, s75, s0
	s_add_u32 s0, s63, s0
	s_addc_u32 s63, 0, s1
	s_add_u32 s74, s77, s0
	s_cselect_b64 s[0:1], -1, 0
	v_ashrrev_i32_e32 v3, 31, v13
	s_cmp_lg_u64 s[0:1], 0
	v_add_co_u32_e32 v14, vcc, v12, v3
	s_addc_u32 s63, s75, s63
	v_xor_b32_e32 v20, v14, v3
	v_mad_u64_u32 v[14:15], s[0:1], v20, s63, 0
	v_mul_hi_u32 v19, v20, s74
	v_addc_co_u32_e32 v18, vcc, v13, v3, vcc
	v_xor_b32_e32 v21, v18, v3
	v_add_co_u32_e32 v22, vcc, v19, v14
	v_addc_co_u32_e32 v23, vcc, 0, v15, vcc
	v_mad_u64_u32 v[14:15], s[0:1], v21, s74, 0
	v_mad_u64_u32 v[18:19], s[0:1], v21, s63, 0
	v_add_co_u32_e32 v14, vcc, v22, v14
	v_addc_co_u32_e32 v14, vcc, v23, v15, vcc
	v_addc_co_u32_e32 v15, vcc, 0, v19, vcc
	v_add_co_u32_e32 v18, vcc, v14, v18
	v_addc_co_u32_e32 v19, vcc, 0, v15, vcc
	v_mul_lo_u32 v22, s65, v18
	v_mul_lo_u32 v23, s64, v19
	v_mad_u64_u32 v[14:15], s[0:1], s64, v18, 0
	v_xor_b32_e32 v3, s62, v3
	v_add3_u32 v15, v15, v23, v22
	v_sub_u32_e32 v22, v21, v15
	v_mov_b32_e32 v23, s65
	v_sub_co_u32_e32 v14, vcc, v20, v14
	v_subb_co_u32_e64 v20, s[0:1], v22, v23, vcc
	v_subrev_co_u32_e64 v22, s[0:1], s64, v14
	v_subbrev_co_u32_e64 v20, s[0:1], 0, v20, s[0:1]
	v_cmp_le_u32_e64 s[0:1], s65, v20
	v_cndmask_b32_e64 v23, 0, -1, s[0:1]
	v_cmp_le_u32_e64 s[0:1], s64, v22
	v_cndmask_b32_e64 v22, 0, -1, s[0:1]
	v_cmp_eq_u32_e64 s[0:1], s65, v20
	v_cndmask_b32_e64 v20, v23, v22, s[0:1]
	v_add_co_u32_e64 v22, s[0:1], 2, v18
	v_subb_co_u32_e32 v15, vcc, v21, v15, vcc
	v_addc_co_u32_e64 v23, s[0:1], 0, v19, s[0:1]
	v_cmp_le_u32_e32 vcc, s65, v15
	v_add_co_u32_e64 v24, s[0:1], 1, v18
	v_cndmask_b32_e64 v21, 0, -1, vcc
	v_cmp_le_u32_e32 vcc, s64, v14
	v_addc_co_u32_e64 v25, s[0:1], 0, v19, s[0:1]
	v_cndmask_b32_e64 v14, 0, -1, vcc
	v_cmp_eq_u32_e32 vcc, s65, v15
	v_cmp_ne_u32_e64 s[0:1], 0, v20
	v_cndmask_b32_e32 v14, v21, v14, vcc
	v_cndmask_b32_e64 v20, v25, v23, s[0:1]
	v_cmp_ne_u32_e32 vcc, 0, v14
	v_cndmask_b32_e64 v15, v24, v22, s[0:1]
	v_cndmask_b32_e32 v14, v19, v20, vcc
	v_cndmask_b32_e32 v15, v18, v15, vcc
	v_xor_b32_e32 v18, v14, v3
	v_xor_b32_e32 v14, v15, v3
	v_sub_co_u32_e32 v14, vcc, v14, v3
	v_subb_co_u32_e32 v15, vcc, v18, v3, vcc
.LBB95_27:                              ;   in Loop: Header=BB95_21 Depth=2
	s_andn2_saveexec_b64 s[0:1], s[60:61]
	s_cbranch_execz .LBB95_20
; %bb.28:                               ;   in Loop: Header=BB95_21 Depth=2
	v_cvt_f32_u32_e32 v3, s54
	s_sub_i32 s60, 0, s54
	v_rcp_iflag_f32_e32 v3, v3
	v_mul_f32_e32 v3, 0x4f7ffffe, v3
	v_cvt_u32_f32_e32 v3, v3
	v_mul_lo_u32 v14, s60, v3
	v_mul_hi_u32 v14, v3, v14
	v_add_u32_e32 v3, v3, v14
	v_mul_hi_u32 v3, v12, v3
	v_mul_lo_u32 v14, v3, s54
	v_add_u32_e32 v15, 1, v3
	v_sub_u32_e32 v14, v12, v14
	v_subrev_u32_e32 v18, s54, v14
	v_cmp_le_u32_e32 vcc, s54, v14
	v_cndmask_b32_e32 v14, v14, v18, vcc
	v_cndmask_b32_e32 v3, v3, v15, vcc
	v_add_u32_e32 v15, 1, v3
	v_cmp_le_u32_e32 vcc, s54, v14
	v_cndmask_b32_e32 v14, v3, v15, vcc
	v_mov_b32_e32 v15, v2
	s_branch .LBB95_20
.LBB95_29:                              ;   in Loop: Header=BB95_3 Depth=1
	v_sub_co_u32_e32 v10, vcc, v4, v16
	v_subb_co_u32_e32 v11, vcc, v5, v17, vcc
	v_add_co_u32_e32 v12, vcc, 4, v10
	v_addc_co_u32_e32 v13, vcc, 0, v11, vcc
	v_cmp_le_i64_e32 vcc, s[8:9], v[12:13]
	v_mov_b32_e32 v16, 0
	v_mov_b32_e32 v15, 0
	;; [unrolled: 1-line block ×4, first 2 shown]
	s_and_saveexec_b64 s[0:1], vcc
	s_cbranch_execz .LBB95_39
; %bb.30:                               ;   in Loop: Header=BB95_3 Depth=1
	v_cmp_gt_i64_e32 vcc, s[14:15], v[4:5]
	v_mov_b32_e32 v14, 0
	v_mov_b32_e32 v13, 0
	;; [unrolled: 1-line block ×4, first 2 shown]
	s_and_saveexec_b64 s[46:47], vcc
	s_cbranch_execz .LBB95_38
; %bb.31:                               ;   in Loop: Header=BB95_3 Depth=1
	v_lshlrev_b64 v[8:9], 1, v[8:9]
	v_mov_b32_e32 v3, s3
	v_add_co_u32_e32 v8, vcc, s2, v8
	v_addc_co_u32_e32 v9, vcc, v3, v9, vcc
	global_load_ushort v3, v[8:9], off
	v_add_co_u32_e32 v12, vcc, 1, v4
	v_addc_co_u32_e32 v13, vcc, 0, v5, vcc
	v_cmp_gt_i64_e32 vcc, s[14:15], v[12:13]
	v_mov_b32_e32 v12, 0
	v_mov_b32_e32 v13, 0
	;; [unrolled: 1-line block ×3, first 2 shown]
	s_and_saveexec_b64 s[48:49], vcc
	s_xor_b64 s[48:49], exec, s[48:49]
	s_cbranch_execz .LBB95_37
; %bb.32:                               ;   in Loop: Header=BB95_3 Depth=1
	s_lshl_b64 s[50:51], s[18:19], 1
	v_mov_b32_e32 v13, s51
	v_add_co_u32_e32 v12, vcc, s50, v8
	v_addc_co_u32_e32 v13, vcc, v9, v13, vcc
	global_load_ushort v12, v[12:13], off
	v_add_co_u32_e32 v13, vcc, 2, v4
	v_addc_co_u32_e32 v14, vcc, 0, v5, vcc
	v_cmp_gt_i64_e32 vcc, s[14:15], v[13:14]
	v_mov_b32_e32 v13, 0
	v_mov_b32_e32 v14, 0
	s_and_saveexec_b64 s[50:51], vcc
	s_xor_b64 s[50:51], exec, s[50:51]
	s_cbranch_execz .LBB95_36
; %bb.33:                               ;   in Loop: Header=BB95_3 Depth=1
	v_mov_b32_e32 v14, s31
	v_add_co_u32_e32 v13, vcc, s30, v8
	v_addc_co_u32_e32 v14, vcc, v9, v14, vcc
	global_load_ushort v13, v[13:14], off
	v_add_co_u32_e32 v14, vcc, 3, v4
	v_addc_co_u32_e32 v15, vcc, 0, v5, vcc
	v_cmp_gt_i64_e32 vcc, s[14:15], v[14:15]
	v_mov_b32_e32 v14, 0
	s_and_saveexec_b64 s[52:53], vcc
	s_xor_b64 s[52:53], exec, s[52:53]
	s_cbranch_execz .LBB95_35
; %bb.34:                               ;   in Loop: Header=BB95_3 Depth=1
	v_mov_b32_e32 v14, s68
	v_add_co_u32_e32 v8, vcc, s69, v8
	v_addc_co_u32_e32 v9, vcc, v9, v14, vcc
	global_load_ushort v14, v[8:9], off
.LBB95_35:                              ;   in Loop: Header=BB95_3 Depth=1
	s_or_b64 exec, exec, s[52:53]
.LBB95_36:                              ;   in Loop: Header=BB95_3 Depth=1
	s_or_b64 exec, exec, s[50:51]
.LBB95_37:                              ;   in Loop: Header=BB95_3 Depth=1
	s_or_b64 exec, exec, s[48:49]
.LBB95_38:                              ;   in Loop: Header=BB95_3 Depth=1
	s_or_b64 exec, exec, s[46:47]
	v_cmp_le_i64_e32 vcc, s[8:9], v[10:11]
	s_waitcnt vmcnt(0)
	v_cndmask_b32_e32 v16, 0, v3, vcc
	v_add_co_u32_e32 v8, vcc, 1, v10
	v_addc_co_u32_e32 v9, vcc, 0, v11, vcc
	v_cmp_le_i64_e32 vcc, s[8:9], v[8:9]
	v_cndmask_b32_e32 v15, 0, v12, vcc
	v_add_co_u32_e32 v8, vcc, 2, v10
	v_addc_co_u32_e32 v9, vcc, 0, v11, vcc
	v_cmp_le_i64_e32 vcc, s[8:9], v[8:9]
	;; [unrolled: 4-line block ×3, first 2 shown]
	v_cndmask_b32_e32 v3, 0, v14, vcc
.LBB95_39:                              ;   in Loop: Header=BB95_3 Depth=1
	s_or_b64 exec, exec, s[0:1]
	v_cmp_gt_i64_e32 vcc, s[14:15], v[4:5]
	s_and_saveexec_b64 s[0:1], vcc
	s_cbranch_execz .LBB95_2
; %bb.40:                               ;   in Loop: Header=BB95_3 Depth=1
	v_lshlrev_b64 v[6:7], 1, v[6:7]
	v_mov_b32_e32 v8, s29
	v_add_co_u32_e32 v6, vcc, s28, v6
	v_addc_co_u32_e32 v7, vcc, v8, v7, vcc
	v_add_co_u32_e32 v8, vcc, 1, v4
	v_addc_co_u32_e32 v9, vcc, 0, v5, vcc
	v_cmp_gt_i64_e32 vcc, s[14:15], v[8:9]
	global_store_short v[6:7], v16, off
	s_and_saveexec_b64 s[46:47], vcc
	s_xor_b64 s[46:47], exec, s[46:47]
	s_cbranch_execz .LBB95_2
; %bb.41:                               ;   in Loop: Header=BB95_3 Depth=1
	s_lshl_b64 s[46:47], s[22:23], 1
	v_mov_b32_e32 v9, s47
	v_add_co_u32_e32 v8, vcc, s46, v6
	v_addc_co_u32_e32 v9, vcc, v7, v9, vcc
	v_add_co_u32_e32 v10, vcc, 2, v4
	v_addc_co_u32_e32 v11, vcc, 0, v5, vcc
	v_cmp_gt_i64_e32 vcc, s[14:15], v[10:11]
	global_store_short v[8:9], v15, off
	s_and_saveexec_b64 s[46:47], vcc
	s_xor_b64 s[46:47], exec, s[46:47]
	s_cbranch_execz .LBB95_2
; %bb.42:                               ;   in Loop: Header=BB95_3 Depth=1
	v_mov_b32_e32 v9, s35
	v_add_co_u32_e32 v8, vcc, s34, v6
	v_addc_co_u32_e32 v9, vcc, v7, v9, vcc
	v_add_co_u32_e32 v4, vcc, 3, v4
	v_addc_co_u32_e32 v5, vcc, 0, v5, vcc
	v_cmp_gt_i64_e32 vcc, s[14:15], v[4:5]
	global_store_short v[8:9], v12, off
	s_and_saveexec_b64 s[46:47], vcc
	s_xor_b64 s[46:47], exec, s[46:47]
	s_cbranch_execz .LBB95_2
; %bb.43:                               ;   in Loop: Header=BB95_3 Depth=1
	v_mov_b32_e32 v5, s70
	v_add_co_u32_e32 v4, vcc, s71, v6
	v_addc_co_u32_e32 v5, vcc, v7, v5, vcc
	global_store_short v[4:5], v3, off
	s_branch .LBB95_2
.LBB95_44:
	s_endpgm
	.section	.rodata,"a",@progbits
	.p2align	6, 0x0
	.amdhsa_kernel _ZN2at6native16triu_tril_kernelIN3c104HalfElLb1ELi4ELb0EEEvNS_4cuda6detail10TensorInfoIT_T0_EENS6_IKS7_S8_EEllS8_
		.amdhsa_group_segment_fixed_size 0
		.amdhsa_private_segment_fixed_size 0
		.amdhsa_kernarg_size 1112
		.amdhsa_user_sgpr_count 6
		.amdhsa_user_sgpr_private_segment_buffer 1
		.amdhsa_user_sgpr_dispatch_ptr 0
		.amdhsa_user_sgpr_queue_ptr 0
		.amdhsa_user_sgpr_kernarg_segment_ptr 1
		.amdhsa_user_sgpr_dispatch_id 0
		.amdhsa_user_sgpr_flat_scratch_init 0
		.amdhsa_user_sgpr_private_segment_size 0
		.amdhsa_uses_dynamic_stack 0
		.amdhsa_system_sgpr_private_segment_wavefront_offset 0
		.amdhsa_system_sgpr_workgroup_id_x 1
		.amdhsa_system_sgpr_workgroup_id_y 0
		.amdhsa_system_sgpr_workgroup_id_z 0
		.amdhsa_system_sgpr_workgroup_info 0
		.amdhsa_system_vgpr_workitem_id 0
		.amdhsa_next_free_vgpr 26
		.amdhsa_next_free_sgpr 81
		.amdhsa_reserve_vcc 1
		.amdhsa_reserve_flat_scratch 0
		.amdhsa_float_round_mode_32 0
		.amdhsa_float_round_mode_16_64 0
		.amdhsa_float_denorm_mode_32 3
		.amdhsa_float_denorm_mode_16_64 3
		.amdhsa_dx10_clamp 1
		.amdhsa_ieee_mode 1
		.amdhsa_fp16_overflow 0
		.amdhsa_exception_fp_ieee_invalid_op 0
		.amdhsa_exception_fp_denorm_src 0
		.amdhsa_exception_fp_ieee_div_zero 0
		.amdhsa_exception_fp_ieee_overflow 0
		.amdhsa_exception_fp_ieee_underflow 0
		.amdhsa_exception_fp_ieee_inexact 0
		.amdhsa_exception_int_div_zero 0
	.end_amdhsa_kernel
	.section	.text._ZN2at6native16triu_tril_kernelIN3c104HalfElLb1ELi4ELb0EEEvNS_4cuda6detail10TensorInfoIT_T0_EENS6_IKS7_S8_EEllS8_,"axG",@progbits,_ZN2at6native16triu_tril_kernelIN3c104HalfElLb1ELi4ELb0EEEvNS_4cuda6detail10TensorInfoIT_T0_EENS6_IKS7_S8_EEllS8_,comdat
.Lfunc_end95:
	.size	_ZN2at6native16triu_tril_kernelIN3c104HalfElLb1ELi4ELb0EEEvNS_4cuda6detail10TensorInfoIT_T0_EENS6_IKS7_S8_EEllS8_, .Lfunc_end95-_ZN2at6native16triu_tril_kernelIN3c104HalfElLb1ELi4ELb0EEEvNS_4cuda6detail10TensorInfoIT_T0_EENS6_IKS7_S8_EEllS8_
                                        ; -- End function
	.set _ZN2at6native16triu_tril_kernelIN3c104HalfElLb1ELi4ELb0EEEvNS_4cuda6detail10TensorInfoIT_T0_EENS6_IKS7_S8_EEllS8_.num_vgpr, 26
	.set _ZN2at6native16triu_tril_kernelIN3c104HalfElLb1ELi4ELb0EEEvNS_4cuda6detail10TensorInfoIT_T0_EENS6_IKS7_S8_EEllS8_.num_agpr, 0
	.set _ZN2at6native16triu_tril_kernelIN3c104HalfElLb1ELi4ELb0EEEvNS_4cuda6detail10TensorInfoIT_T0_EENS6_IKS7_S8_EEllS8_.numbered_sgpr, 81
	.set _ZN2at6native16triu_tril_kernelIN3c104HalfElLb1ELi4ELb0EEEvNS_4cuda6detail10TensorInfoIT_T0_EENS6_IKS7_S8_EEllS8_.num_named_barrier, 0
	.set _ZN2at6native16triu_tril_kernelIN3c104HalfElLb1ELi4ELb0EEEvNS_4cuda6detail10TensorInfoIT_T0_EENS6_IKS7_S8_EEllS8_.private_seg_size, 0
	.set _ZN2at6native16triu_tril_kernelIN3c104HalfElLb1ELi4ELb0EEEvNS_4cuda6detail10TensorInfoIT_T0_EENS6_IKS7_S8_EEllS8_.uses_vcc, 1
	.set _ZN2at6native16triu_tril_kernelIN3c104HalfElLb1ELi4ELb0EEEvNS_4cuda6detail10TensorInfoIT_T0_EENS6_IKS7_S8_EEllS8_.uses_flat_scratch, 0
	.set _ZN2at6native16triu_tril_kernelIN3c104HalfElLb1ELi4ELb0EEEvNS_4cuda6detail10TensorInfoIT_T0_EENS6_IKS7_S8_EEllS8_.has_dyn_sized_stack, 0
	.set _ZN2at6native16triu_tril_kernelIN3c104HalfElLb1ELi4ELb0EEEvNS_4cuda6detail10TensorInfoIT_T0_EENS6_IKS7_S8_EEllS8_.has_recursion, 0
	.set _ZN2at6native16triu_tril_kernelIN3c104HalfElLb1ELi4ELb0EEEvNS_4cuda6detail10TensorInfoIT_T0_EENS6_IKS7_S8_EEllS8_.has_indirect_call, 0
	.section	.AMDGPU.csdata,"",@progbits
; Kernel info:
; codeLenInByte = 5300
; TotalNumSgprs: 85
; NumVgprs: 26
; ScratchSize: 0
; MemoryBound: 0
; FloatMode: 240
; IeeeMode: 1
; LDSByteSize: 0 bytes/workgroup (compile time only)
; SGPRBlocks: 10
; VGPRBlocks: 6
; NumSGPRsForWavesPerEU: 85
; NumVGPRsForWavesPerEU: 26
; Occupancy: 9
; WaveLimiterHint : 0
; COMPUTE_PGM_RSRC2:SCRATCH_EN: 0
; COMPUTE_PGM_RSRC2:USER_SGPR: 6
; COMPUTE_PGM_RSRC2:TRAP_HANDLER: 0
; COMPUTE_PGM_RSRC2:TGID_X_EN: 1
; COMPUTE_PGM_RSRC2:TGID_Y_EN: 0
; COMPUTE_PGM_RSRC2:TGID_Z_EN: 0
; COMPUTE_PGM_RSRC2:TIDIG_COMP_CNT: 0
	.section	.text._ZN2at6native16triu_tril_kernelIN3c108BFloat16EiLb1ELi4ELb1EEEvNS_4cuda6detail10TensorInfoIT_T0_EENS6_IKS7_S8_EEllS8_,"axG",@progbits,_ZN2at6native16triu_tril_kernelIN3c108BFloat16EiLb1ELi4ELb1EEEvNS_4cuda6detail10TensorInfoIT_T0_EENS6_IKS7_S8_EEllS8_,comdat
	.protected	_ZN2at6native16triu_tril_kernelIN3c108BFloat16EiLb1ELi4ELb1EEEvNS_4cuda6detail10TensorInfoIT_T0_EENS6_IKS7_S8_EEllS8_ ; -- Begin function _ZN2at6native16triu_tril_kernelIN3c108BFloat16EiLb1ELi4ELb1EEEvNS_4cuda6detail10TensorInfoIT_T0_EENS6_IKS7_S8_EEllS8_
	.globl	_ZN2at6native16triu_tril_kernelIN3c108BFloat16EiLb1ELi4ELb1EEEvNS_4cuda6detail10TensorInfoIT_T0_EENS6_IKS7_S8_EEllS8_
	.p2align	8
	.type	_ZN2at6native16triu_tril_kernelIN3c108BFloat16EiLb1ELi4ELb1EEEvNS_4cuda6detail10TensorInfoIT_T0_EENS6_IKS7_S8_EEllS8_,@function
_ZN2at6native16triu_tril_kernelIN3c108BFloat16EiLb1ELi4ELb1EEEvNS_4cuda6detail10TensorInfoIT_T0_EENS6_IKS7_S8_EEllS8_: ; @_ZN2at6native16triu_tril_kernelIN3c108BFloat16EiLb1ELi4ELb1EEEvNS_4cuda6detail10TensorInfoIT_T0_EENS6_IKS7_S8_EEllS8_
; %bb.0:
	s_load_dword s2, s[4:5], 0x1d4
	s_load_dwordx4 s[8:11], s[4:5], 0x1b0
	s_add_u32 s0, s4, 0x1c8
	v_mov_b32_e32 v2, 0
	s_addc_u32 s1, s5, 0
	s_waitcnt lgkmcnt(0)
	s_and_b32 s7, s2, 0xffff
	v_mov_b32_e32 v1, v2
	v_mov_b32_e32 v3, s6
	v_mad_u64_u32 v[0:1], s[2:3], s7, v3, v[0:1]
	v_lshlrev_b64 v[0:1], 2, v[0:1]
	v_cmp_gt_i64_e32 vcc, s[10:11], v[0:1]
	s_and_saveexec_b64 s[2:3], vcc
	s_cbranch_execz .LBB96_67
; %bb.1:
	s_load_dword s33, s[4:5], 0x1c0
	s_load_dword s16, s[4:5], 0x1a8
	s_add_u32 s42, s4, 0xd8
	s_addc_u32 s43, s5, 0
	s_load_dword s6, s[0:1], 0x0
	s_waitcnt lgkmcnt(0)
	s_ashr_i32 s44, s33, 31
	s_ashr_i32 s17, s16, 31
	s_lshl_b64 s[0:1], s[16:17], 2
	s_add_u32 s2, s42, s0
	s_addc_u32 s3, s43, s1
	s_load_dword s45, s[2:3], 0x0
	s_load_dwordx2 s[12:13], s[4:5], 0x0
	s_mul_i32 s18, s6, s7
	v_cmp_gt_i64_e64 s[6:7], s[16:17], 2
	s_mov_b32 s17, 0
	s_waitcnt lgkmcnt(0)
	s_ashr_i32 s46, s45, 31
	s_add_u32 s14, s4, s0
	s_addc_u32 s15, s5, s1
	s_add_i32 s0, s16, 6
	s_add_i32 s47, s16, -3
	s_lshl_b32 s48, s18, 2
	s_and_b32 s49, s0, 7
	s_and_b32 s0, s16, 7
	s_cmp_lg_u32 s0, 2
	s_cselect_b64 s[18:19], -1, 0
	s_cmp_gt_u32 s47, 6
	s_cselect_b64 s[20:21], -1, 0
	s_mov_b64 s[22:23], 0
	s_ashr_i32 s24, s44, 31
	s_branch .LBB96_3
.LBB96_2:                               ;   in Loop: Header=BB96_3 Depth=1
	s_or_b64 exec, exec, s[26:27]
	v_add_co_u32_e32 v0, vcc, s48, v0
	v_addc_co_u32_e32 v1, vcc, 0, v1, vcc
	v_cmp_le_i64_e32 vcc, s[10:11], v[0:1]
	s_or_b64 s[22:23], vcc, s[22:23]
	s_andn2_b64 exec, exec, s[22:23]
	s_cbranch_execz .LBB96_67
.LBB96_3:                               ; =>This Loop Header: Depth=1
                                        ;     Child Loop BB96_14 Depth 2
                                        ;     Child Loop BB96_23 Depth 2
	v_or_b32_e32 v3, s44, v1
	v_cmp_ne_u64_e32 vcc, 0, v[2:3]
                                        ; implicit-def: $vgpr4_vgpr5
	s_and_saveexec_b64 s[0:1], vcc
	s_xor_b64 s[26:27], exec, s[0:1]
	s_cbranch_execz .LBB96_5
; %bb.4:                                ;   in Loop: Header=BB96_3 Depth=1
	s_add_u32 s0, s33, s24
	s_mov_b32 s25, s24
	s_addc_u32 s1, s44, s24
	s_xor_b64 s[28:29], s[0:1], s[24:25]
	v_cvt_f32_u32_e32 v3, s28
	v_cvt_f32_u32_e32 v4, s29
	s_sub_u32 s16, 0, s28
	s_subb_u32 s25, 0, s29
	v_ashrrev_i32_e32 v7, 31, v1
	v_mac_f32_e32 v3, 0x4f800000, v4
	v_rcp_f32_e32 v3, v3
	v_mul_f32_e32 v3, 0x5f7ffffc, v3
	v_mul_f32_e32 v4, 0x2f800000, v3
	v_trunc_f32_e32 v4, v4
	v_mac_f32_e32 v3, 0xcf800000, v4
	v_cvt_u32_f32_e32 v4, v4
	v_cvt_u32_f32_e32 v3, v3
	v_readfirstlane_b32 s30, v4
	v_readfirstlane_b32 s0, v3
	s_mul_i32 s1, s16, s30
	s_mul_hi_u32 s34, s16, s0
	s_mul_i32 s31, s25, s0
	s_add_i32 s1, s34, s1
	s_add_i32 s1, s1, s31
	s_mul_i32 s35, s16, s0
	s_mul_i32 s34, s0, s1
	s_mul_hi_u32 s36, s0, s35
	s_mul_hi_u32 s31, s0, s1
	s_add_u32 s34, s36, s34
	s_addc_u32 s31, 0, s31
	s_mul_hi_u32 s37, s30, s35
	s_mul_i32 s35, s30, s35
	s_add_u32 s34, s34, s35
	s_mul_hi_u32 s36, s30, s1
	s_addc_u32 s31, s31, s37
	s_addc_u32 s34, s36, 0
	s_mul_i32 s1, s30, s1
	s_add_u32 s1, s31, s1
	s_addc_u32 s31, 0, s34
	s_add_u32 s34, s0, s1
	s_cselect_b64 s[0:1], -1, 0
	s_cmp_lg_u64 s[0:1], 0
	s_addc_u32 s30, s30, s31
	s_mul_i32 s0, s16, s30
	s_mul_hi_u32 s1, s16, s34
	s_add_i32 s0, s1, s0
	s_mul_i32 s25, s25, s34
	s_add_i32 s0, s0, s25
	s_mul_i32 s16, s16, s34
	s_mul_hi_u32 s25, s30, s16
	s_mul_i32 s31, s30, s16
	s_mul_i32 s36, s34, s0
	s_mul_hi_u32 s16, s34, s16
	s_mul_hi_u32 s35, s34, s0
	s_add_u32 s16, s16, s36
	s_addc_u32 s35, 0, s35
	s_add_u32 s16, s16, s31
	s_mul_hi_u32 s1, s30, s0
	s_addc_u32 s16, s35, s25
	s_addc_u32 s1, s1, 0
	s_mul_i32 s0, s30, s0
	s_add_u32 s0, s16, s0
	s_addc_u32 s16, 0, s1
	s_add_u32 s25, s34, s0
	s_cselect_b64 s[0:1], -1, 0
	s_cmp_lg_u64 s[0:1], 0
	v_add_co_u32_e32 v3, vcc, v0, v7
	s_addc_u32 s16, s30, s16
	v_xor_b32_e32 v8, v3, v7
	v_mad_u64_u32 v[3:4], s[0:1], v8, s16, 0
	v_mul_hi_u32 v6, v8, s25
	v_addc_co_u32_e32 v5, vcc, v1, v7, vcc
	v_xor_b32_e32 v9, v5, v7
	v_add_co_u32_e32 v10, vcc, v6, v3
	v_addc_co_u32_e32 v11, vcc, 0, v4, vcc
	v_mad_u64_u32 v[3:4], s[0:1], v9, s25, 0
	v_mad_u64_u32 v[5:6], s[0:1], v9, s16, 0
	v_add_co_u32_e32 v3, vcc, v10, v3
	v_addc_co_u32_e32 v3, vcc, v11, v4, vcc
	v_addc_co_u32_e32 v4, vcc, 0, v6, vcc
	v_add_co_u32_e32 v5, vcc, v3, v5
	v_addc_co_u32_e32 v6, vcc, 0, v4, vcc
	v_mul_lo_u32 v10, s29, v5
	v_mul_lo_u32 v11, s28, v6
	v_mad_u64_u32 v[3:4], s[0:1], s28, v5, 0
	v_add3_u32 v4, v4, v11, v10
	v_sub_u32_e32 v10, v9, v4
	v_mov_b32_e32 v11, s29
	v_sub_co_u32_e32 v3, vcc, v8, v3
	v_subb_co_u32_e64 v8, s[0:1], v10, v11, vcc
	v_subrev_co_u32_e64 v10, s[0:1], s28, v3
	v_subbrev_co_u32_e64 v8, s[0:1], 0, v8, s[0:1]
	v_cmp_le_u32_e64 s[0:1], s29, v8
	v_cndmask_b32_e64 v11, 0, -1, s[0:1]
	v_cmp_le_u32_e64 s[0:1], s28, v10
	v_cndmask_b32_e64 v10, 0, -1, s[0:1]
	v_cmp_eq_u32_e64 s[0:1], s29, v8
	v_cndmask_b32_e64 v8, v11, v10, s[0:1]
	v_add_co_u32_e64 v10, s[0:1], 2, v5
	v_subb_co_u32_e32 v4, vcc, v9, v4, vcc
	v_addc_co_u32_e64 v11, s[0:1], 0, v6, s[0:1]
	v_cmp_le_u32_e32 vcc, s29, v4
	v_add_co_u32_e64 v12, s[0:1], 1, v5
	v_cndmask_b32_e64 v9, 0, -1, vcc
	v_cmp_le_u32_e32 vcc, s28, v3
	v_addc_co_u32_e64 v13, s[0:1], 0, v6, s[0:1]
	v_cndmask_b32_e64 v3, 0, -1, vcc
	v_cmp_eq_u32_e32 vcc, s29, v4
	v_cmp_ne_u32_e64 s[0:1], 0, v8
	v_cndmask_b32_e32 v3, v9, v3, vcc
	v_cmp_ne_u32_e32 vcc, 0, v3
	v_cndmask_b32_e64 v4, v12, v10, s[0:1]
	v_cndmask_b32_e64 v8, v13, v11, s[0:1]
	v_cndmask_b32_e32 v4, v5, v4, vcc
	v_xor_b32_e32 v5, s24, v7
	v_cndmask_b32_e32 v3, v6, v8, vcc
	v_xor_b32_e32 v4, v4, v5
	v_xor_b32_e32 v3, v3, v5
	v_sub_co_u32_e32 v4, vcc, v4, v5
	v_subb_co_u32_e32 v5, vcc, v3, v5, vcc
.LBB96_5:                               ;   in Loop: Header=BB96_3 Depth=1
	s_andn2_saveexec_b64 s[0:1], s[26:27]
	s_cbranch_execz .LBB96_7
; %bb.6:                                ;   in Loop: Header=BB96_3 Depth=1
	v_cvt_f32_u32_e32 v3, s33
	s_sub_i32 s16, 0, s33
	v_rcp_iflag_f32_e32 v3, v3
	v_mul_f32_e32 v3, 0x4f7ffffe, v3
	v_cvt_u32_f32_e32 v3, v3
	v_mul_lo_u32 v4, s16, v3
	v_mul_hi_u32 v4, v3, v4
	v_add_u32_e32 v3, v3, v4
	v_mul_hi_u32 v3, v0, v3
	v_mul_lo_u32 v4, v3, s33
	v_add_u32_e32 v5, 1, v3
	v_sub_u32_e32 v4, v0, v4
	v_subrev_u32_e32 v6, s33, v4
	v_cmp_le_u32_e32 vcc, s33, v4
	v_cndmask_b32_e32 v4, v4, v6, vcc
	v_cndmask_b32_e32 v3, v3, v5, vcc
	v_add_u32_e32 v5, 1, v3
	v_cmp_le_u32_e32 vcc, s33, v4
	v_cndmask_b32_e32 v4, v3, v5, vcc
	v_mov_b32_e32 v5, v2
.LBB96_7:                               ;   in Loop: Header=BB96_3 Depth=1
	s_or_b64 exec, exec, s[0:1]
	v_or_b32_e32 v3, s46, v5
	v_cmp_ne_u64_e32 vcc, 0, v[2:3]
                                        ; implicit-def: $vgpr6_vgpr7
	s_and_saveexec_b64 s[0:1], vcc
	s_xor_b64 s[26:27], exec, s[0:1]
	s_cbranch_execz .LBB96_9
; %bb.8:                                ;   in Loop: Header=BB96_3 Depth=1
	s_ashr_i32 s28, s46, 31
	s_add_u32 s0, s45, s28
	s_mov_b32 s29, s28
	s_addc_u32 s1, s46, s28
	s_xor_b64 s[30:31], s[0:1], s[28:29]
	v_cvt_f32_u32_e32 v3, s30
	v_cvt_f32_u32_e32 v6, s31
	s_sub_u32 s16, 0, s30
	s_subb_u32 s25, 0, s31
	v_mac_f32_e32 v3, 0x4f800000, v6
	v_rcp_f32_e32 v3, v3
	v_mul_f32_e32 v3, 0x5f7ffffc, v3
	v_mul_f32_e32 v6, 0x2f800000, v3
	v_trunc_f32_e32 v6, v6
	v_mac_f32_e32 v3, 0xcf800000, v6
	v_cvt_u32_f32_e32 v6, v6
	v_cvt_u32_f32_e32 v3, v3
	v_readfirstlane_b32 s29, v6
	v_readfirstlane_b32 s0, v3
	s_mul_i32 s1, s16, s29
	s_mul_hi_u32 s35, s16, s0
	s_mul_i32 s34, s25, s0
	s_add_i32 s1, s35, s1
	s_add_i32 s1, s1, s34
	s_mul_i32 s36, s16, s0
	s_mul_i32 s35, s0, s1
	s_mul_hi_u32 s37, s0, s36
	s_mul_hi_u32 s34, s0, s1
	s_add_u32 s35, s37, s35
	s_addc_u32 s34, 0, s34
	s_mul_hi_u32 s38, s29, s36
	s_mul_i32 s36, s29, s36
	s_add_u32 s35, s35, s36
	s_mul_hi_u32 s37, s29, s1
	s_addc_u32 s34, s34, s38
	s_addc_u32 s35, s37, 0
	s_mul_i32 s1, s29, s1
	s_add_u32 s1, s34, s1
	s_addc_u32 s34, 0, s35
	s_add_u32 s35, s0, s1
	s_cselect_b64 s[0:1], -1, 0
	s_cmp_lg_u64 s[0:1], 0
	s_addc_u32 s29, s29, s34
	s_mul_i32 s0, s16, s29
	s_mul_hi_u32 s1, s16, s35
	s_add_i32 s0, s1, s0
	s_mul_i32 s25, s25, s35
	s_add_i32 s0, s0, s25
	s_mul_i32 s16, s16, s35
	s_mul_hi_u32 s25, s29, s16
	s_mul_i32 s34, s29, s16
	s_mul_i32 s37, s35, s0
	s_mul_hi_u32 s16, s35, s16
	s_mul_hi_u32 s36, s35, s0
	s_add_u32 s16, s16, s37
	s_addc_u32 s36, 0, s36
	s_add_u32 s16, s16, s34
	s_mul_hi_u32 s1, s29, s0
	s_addc_u32 s16, s36, s25
	s_addc_u32 s1, s1, 0
	s_mul_i32 s0, s29, s0
	s_add_u32 s0, s16, s0
	s_addc_u32 s16, 0, s1
	s_add_u32 s25, s35, s0
	s_cselect_b64 s[0:1], -1, 0
	v_ashrrev_i32_e32 v3, 31, v5
	s_cmp_lg_u64 s[0:1], 0
	v_add_co_u32_e32 v6, vcc, v4, v3
	s_addc_u32 s16, s29, s16
	v_xor_b32_e32 v9, v6, v3
	v_addc_co_u32_e32 v7, vcc, v5, v3, vcc
	v_mad_u64_u32 v[5:6], s[0:1], v9, s16, 0
	v_mul_hi_u32 v8, v9, s25
	v_xor_b32_e32 v10, v7, v3
	v_xor_b32_e32 v3, s28, v3
	v_add_co_u32_e32 v11, vcc, v8, v5
	v_addc_co_u32_e32 v12, vcc, 0, v6, vcc
	v_mad_u64_u32 v[5:6], s[0:1], v10, s25, 0
	v_mad_u64_u32 v[7:8], s[0:1], v10, s16, 0
	v_add_co_u32_e32 v5, vcc, v11, v5
	v_addc_co_u32_e32 v5, vcc, v12, v6, vcc
	v_addc_co_u32_e32 v6, vcc, 0, v8, vcc
	v_add_co_u32_e32 v7, vcc, v5, v7
	v_addc_co_u32_e32 v8, vcc, 0, v6, vcc
	v_mul_lo_u32 v11, s31, v7
	v_mul_lo_u32 v12, s30, v8
	v_mad_u64_u32 v[5:6], s[0:1], s30, v7, 0
	v_add3_u32 v6, v6, v12, v11
	v_sub_u32_e32 v11, v10, v6
	v_mov_b32_e32 v12, s31
	v_sub_co_u32_e32 v5, vcc, v9, v5
	v_subb_co_u32_e64 v9, s[0:1], v11, v12, vcc
	v_subrev_co_u32_e64 v11, s[0:1], s30, v5
	v_subbrev_co_u32_e64 v9, s[0:1], 0, v9, s[0:1]
	v_cmp_le_u32_e64 s[0:1], s31, v9
	v_cndmask_b32_e64 v12, 0, -1, s[0:1]
	v_cmp_le_u32_e64 s[0:1], s30, v11
	v_cndmask_b32_e64 v11, 0, -1, s[0:1]
	v_cmp_eq_u32_e64 s[0:1], s31, v9
	v_cndmask_b32_e64 v9, v12, v11, s[0:1]
	v_add_co_u32_e64 v11, s[0:1], 2, v7
	v_subb_co_u32_e32 v6, vcc, v10, v6, vcc
	v_addc_co_u32_e64 v12, s[0:1], 0, v8, s[0:1]
	v_cmp_le_u32_e32 vcc, s31, v6
	v_add_co_u32_e64 v13, s[0:1], 1, v7
	v_cndmask_b32_e64 v10, 0, -1, vcc
	v_cmp_le_u32_e32 vcc, s30, v5
	v_addc_co_u32_e64 v14, s[0:1], 0, v8, s[0:1]
	v_cndmask_b32_e64 v5, 0, -1, vcc
	v_cmp_eq_u32_e32 vcc, s31, v6
	v_cmp_ne_u32_e64 s[0:1], 0, v9
	v_cndmask_b32_e32 v5, v10, v5, vcc
	v_cmp_ne_u32_e32 vcc, 0, v5
	v_cndmask_b32_e64 v6, v13, v11, s[0:1]
	v_cndmask_b32_e64 v9, v14, v12, s[0:1]
	v_cndmask_b32_e32 v6, v7, v6, vcc
	v_cndmask_b32_e32 v5, v8, v9, vcc
	v_xor_b32_e32 v6, v6, v3
	v_xor_b32_e32 v5, v5, v3
	v_sub_co_u32_e32 v6, vcc, v6, v3
	v_subb_co_u32_e32 v7, vcc, v5, v3, vcc
.LBB96_9:                               ;   in Loop: Header=BB96_3 Depth=1
	s_andn2_saveexec_b64 s[0:1], s[26:27]
	s_cbranch_execz .LBB96_11
; %bb.10:                               ;   in Loop: Header=BB96_3 Depth=1
	v_cvt_f32_u32_e32 v3, s45
	s_sub_i32 s16, 0, s45
	v_rcp_iflag_f32_e32 v3, v3
	v_mul_f32_e32 v3, 0x4f7ffffe, v3
	v_cvt_u32_f32_e32 v3, v3
	v_mul_lo_u32 v5, s16, v3
	v_mul_hi_u32 v5, v3, v5
	v_add_u32_e32 v3, v3, v5
	v_mul_hi_u32 v3, v4, v3
	v_mul_lo_u32 v5, v3, s45
	v_add_u32_e32 v6, 1, v3
	v_sub_u32_e32 v5, v4, v5
	v_subrev_u32_e32 v7, s45, v5
	v_cmp_le_u32_e32 vcc, s45, v5
	v_cndmask_b32_e32 v5, v5, v7, vcc
	v_cndmask_b32_e32 v3, v3, v6, vcc
	v_add_u32_e32 v6, 1, v3
	v_cmp_le_u32_e32 vcc, s45, v5
	v_cndmask_b32_e32 v6, v3, v6, vcc
	v_mov_b32_e32 v7, v2
.LBB96_11:                              ;   in Loop: Header=BB96_3 Depth=1
	s_or_b64 exec, exec, s[0:1]
	v_mad_u64_u32 v[8:9], s[0:1], v4, s33, 0
	v_mad_u64_u32 v[9:10], s[0:1], v6, s45, 0
	v_sub_co_u32_e32 v25, vcc, v0, v8
	v_sub_co_u32_e32 v24, vcc, v4, v9
	v_sub_u32_e32 v3, v25, v24
	v_ashrrev_i32_e32 v4, 31, v3
	v_cmp_gt_i64_e32 vcc, s[8:9], v[3:4]
	s_and_saveexec_b64 s[26:27], vcc
	s_cbranch_execz .LBB96_2
; %bb.12:                               ;   in Loop: Header=BB96_3 Depth=1
	s_load_dwordx2 s[28:29], s[14:15], 0x64
	s_andn2_b64 vcc, exec, s[6:7]
	s_waitcnt lgkmcnt(0)
	v_mul_lo_u32 v3, s29, v25
	v_mad_u64_u32 v[4:5], s[0:1], s28, v24, v[3:4]
	s_cbranch_vccnz .LBB96_57
; %bb.13:                               ;   in Loop: Header=BB96_3 Depth=1
	s_andn2_b64 vcc, exec, s[18:19]
	s_mov_b32 s25, s49
	s_mov_b32 s16, s47
	;; [unrolled: 1-line block ×3, first 2 shown]
	s_cbranch_vccnz .LBB96_21
.LBB96_14:                              ;   Parent Loop BB96_3 Depth=1
                                        ; =>  This Inner Loop Header: Depth=2
	s_lshl_b64 s[30:31], s[16:17], 2
	s_add_u32 s0, s42, s30
	s_addc_u32 s1, s43, s31
	s_load_dword s28, s[0:1], 0x8
                                        ; implicit-def: $vgpr8_vgpr9
	s_waitcnt lgkmcnt(0)
	s_ashr_i32 s0, s28, 31
	v_or_b32_e32 v3, s0, v7
	v_cmp_ne_u64_e32 vcc, 0, v[2:3]
	s_and_saveexec_b64 s[34:35], vcc
	s_xor_b64 s[34:35], exec, s[34:35]
	s_cbranch_execz .LBB96_16
; %bb.15:                               ;   in Loop: Header=BB96_14 Depth=2
	s_ashr_i32 s36, s0, 31
	s_add_u32 s38, s28, s36
	s_mov_b32 s37, s36
	s_addc_u32 s39, s0, s36
	s_xor_b64 s[38:39], s[38:39], s[36:37]
	v_cvt_f32_u32_e32 v3, s38
	v_cvt_f32_u32_e32 v5, s39
	s_sub_u32 s37, 0, s38
	s_subb_u32 s40, 0, s39
	v_mac_f32_e32 v3, 0x4f800000, v5
	v_rcp_f32_e32 v3, v3
	v_mul_f32_e32 v3, 0x5f7ffffc, v3
	v_mul_f32_e32 v5, 0x2f800000, v3
	v_trunc_f32_e32 v5, v5
	v_mac_f32_e32 v3, 0xcf800000, v5
	v_cvt_u32_f32_e32 v5, v5
	v_cvt_u32_f32_e32 v3, v3
	v_readfirstlane_b32 s41, v5
	v_readfirstlane_b32 s0, v3
	s_mul_i32 s1, s37, s41
	s_mul_hi_u32 s51, s37, s0
	s_mul_i32 s50, s40, s0
	s_add_i32 s1, s51, s1
	s_add_i32 s1, s1, s50
	s_mul_i32 s52, s37, s0
	s_mul_i32 s51, s0, s1
	s_mul_hi_u32 s53, s0, s52
	s_mul_hi_u32 s50, s0, s1
	s_add_u32 s51, s53, s51
	s_addc_u32 s50, 0, s50
	s_mul_hi_u32 s54, s41, s52
	s_mul_i32 s52, s41, s52
	s_add_u32 s51, s51, s52
	s_mul_hi_u32 s53, s41, s1
	s_addc_u32 s50, s50, s54
	s_addc_u32 s51, s53, 0
	s_mul_i32 s1, s41, s1
	s_add_u32 s1, s50, s1
	s_addc_u32 s50, 0, s51
	s_add_u32 s51, s0, s1
	s_cselect_b64 s[0:1], -1, 0
	s_cmp_lg_u64 s[0:1], 0
	s_addc_u32 s41, s41, s50
	s_mul_i32 s0, s37, s41
	s_mul_hi_u32 s1, s37, s51
	s_add_i32 s0, s1, s0
	s_mul_i32 s40, s40, s51
	s_add_i32 s0, s0, s40
	s_mul_i32 s37, s37, s51
	s_mul_hi_u32 s40, s41, s37
	s_mul_i32 s50, s41, s37
	s_mul_i32 s53, s51, s0
	s_mul_hi_u32 s37, s51, s37
	s_mul_hi_u32 s52, s51, s0
	s_add_u32 s37, s37, s53
	s_addc_u32 s52, 0, s52
	s_add_u32 s37, s37, s50
	s_mul_hi_u32 s1, s41, s0
	s_addc_u32 s37, s52, s40
	s_addc_u32 s1, s1, 0
	s_mul_i32 s0, s41, s0
	s_add_u32 s0, s37, s0
	s_addc_u32 s37, 0, s1
	s_add_u32 s40, s51, s0
	s_cselect_b64 s[0:1], -1, 0
	v_ashrrev_i32_e32 v3, 31, v7
	s_cmp_lg_u64 s[0:1], 0
	v_add_co_u32_e32 v5, vcc, v6, v3
	s_addc_u32 s37, s41, s37
	v_xor_b32_e32 v5, v5, v3
	v_addc_co_u32_e32 v9, vcc, v7, v3, vcc
	v_mad_u64_u32 v[7:8], s[0:1], v5, s37, 0
	v_mul_hi_u32 v10, v5, s40
	v_xor_b32_e32 v11, v9, v3
	v_xor_b32_e32 v3, s36, v3
	v_add_co_u32_e32 v12, vcc, v10, v7
	v_addc_co_u32_e32 v13, vcc, 0, v8, vcc
	v_mad_u64_u32 v[7:8], s[0:1], v11, s40, 0
	v_mad_u64_u32 v[9:10], s[0:1], v11, s37, 0
	v_add_co_u32_e32 v7, vcc, v12, v7
	v_addc_co_u32_e32 v7, vcc, v13, v8, vcc
	v_addc_co_u32_e32 v8, vcc, 0, v10, vcc
	v_add_co_u32_e32 v9, vcc, v7, v9
	v_addc_co_u32_e32 v10, vcc, 0, v8, vcc
	v_mul_lo_u32 v12, s39, v9
	v_mul_lo_u32 v13, s38, v10
	v_mad_u64_u32 v[7:8], s[0:1], s38, v9, 0
	v_add3_u32 v8, v8, v13, v12
	v_sub_u32_e32 v12, v11, v8
	v_mov_b32_e32 v13, s39
	v_sub_co_u32_e32 v5, vcc, v5, v7
	v_subb_co_u32_e64 v7, s[0:1], v12, v13, vcc
	v_subrev_co_u32_e64 v12, s[0:1], s38, v5
	v_subbrev_co_u32_e64 v7, s[0:1], 0, v7, s[0:1]
	v_cmp_le_u32_e64 s[0:1], s39, v7
	v_cndmask_b32_e64 v13, 0, -1, s[0:1]
	v_cmp_le_u32_e64 s[0:1], s38, v12
	v_cndmask_b32_e64 v12, 0, -1, s[0:1]
	v_cmp_eq_u32_e64 s[0:1], s39, v7
	v_cndmask_b32_e64 v7, v13, v12, s[0:1]
	v_add_co_u32_e64 v12, s[0:1], 2, v9
	v_subb_co_u32_e32 v8, vcc, v11, v8, vcc
	v_addc_co_u32_e64 v13, s[0:1], 0, v10, s[0:1]
	v_cmp_le_u32_e32 vcc, s39, v8
	v_add_co_u32_e64 v14, s[0:1], 1, v9
	v_cndmask_b32_e64 v11, 0, -1, vcc
	v_cmp_le_u32_e32 vcc, s38, v5
	v_addc_co_u32_e64 v15, s[0:1], 0, v10, s[0:1]
	v_cndmask_b32_e64 v5, 0, -1, vcc
	v_cmp_eq_u32_e32 vcc, s39, v8
	v_cmp_ne_u32_e64 s[0:1], 0, v7
	v_cndmask_b32_e32 v5, v11, v5, vcc
	v_cndmask_b32_e64 v7, v15, v13, s[0:1]
	v_cmp_ne_u32_e32 vcc, 0, v5
	v_cndmask_b32_e32 v5, v10, v7, vcc
	v_cndmask_b32_e64 v7, v14, v12, s[0:1]
	v_cndmask_b32_e32 v7, v9, v7, vcc
	v_xor_b32_e32 v7, v7, v3
	v_xor_b32_e32 v5, v5, v3
	v_sub_co_u32_e32 v8, vcc, v7, v3
	v_subb_co_u32_e32 v9, vcc, v5, v3, vcc
.LBB96_16:                              ;   in Loop: Header=BB96_14 Depth=2
	s_andn2_saveexec_b64 s[0:1], s[34:35]
	s_cbranch_execz .LBB96_18
; %bb.17:                               ;   in Loop: Header=BB96_14 Depth=2
	v_cvt_f32_u32_e32 v3, s28
	s_sub_i32 s34, 0, s28
	v_mov_b32_e32 v9, v2
	v_rcp_iflag_f32_e32 v3, v3
	v_mul_f32_e32 v3, 0x4f7ffffe, v3
	v_cvt_u32_f32_e32 v3, v3
	v_mul_lo_u32 v5, s34, v3
	v_mul_hi_u32 v5, v3, v5
	v_add_u32_e32 v3, v3, v5
	v_mul_hi_u32 v3, v6, v3
	v_mul_lo_u32 v5, v3, s28
	v_add_u32_e32 v7, 1, v3
	v_sub_u32_e32 v5, v6, v5
	v_subrev_u32_e32 v8, s28, v5
	v_cmp_le_u32_e32 vcc, s28, v5
	v_cndmask_b32_e32 v5, v5, v8, vcc
	v_cndmask_b32_e32 v3, v3, v7, vcc
	v_add_u32_e32 v7, 1, v3
	v_cmp_le_u32_e32 vcc, s28, v5
	v_cndmask_b32_e32 v8, v3, v7, vcc
.LBB96_18:                              ;   in Loop: Header=BB96_14 Depth=2
	s_or_b64 exec, exec, s[0:1]
	s_add_u32 s0, s4, s30
	s_addc_u32 s1, s5, s31
	v_mul_lo_u32 v3, v8, s28
	s_load_dword s0, s[0:1], 0x6c
	s_add_i32 s16, s16, -1
	s_add_i32 s25, s25, -1
	v_sub_u32_e32 v3, v6, v3
	s_cmp_lg_u32 s25, 0
	s_waitcnt lgkmcnt(0)
	v_mad_u64_u32 v[4:5], s[0:1], s0, v3, v[4:5]
	s_cbranch_scc0 .LBB96_20
; %bb.19:                               ;   in Loop: Header=BB96_14 Depth=2
	v_mov_b32_e32 v6, v8
	v_mov_b32_e32 v7, v9
	s_branch .LBB96_14
.LBB96_20:                              ;   in Loop: Header=BB96_3 Depth=1
	v_mov_b32_e32 v6, v8
	s_mov_b32 s0, s16
	v_mov_b32_e32 v7, v9
.LBB96_21:                              ;   in Loop: Header=BB96_3 Depth=1
	s_andn2_b64 vcc, exec, s[20:21]
	s_cbranch_vccnz .LBB96_57
; %bb.22:                               ;   in Loop: Header=BB96_3 Depth=1
	s_add_i32 s30, s0, -7
.LBB96_23:                              ;   Parent Loop BB96_3 Depth=1
                                        ; =>  This Inner Loop Header: Depth=2
	s_add_i32 s16, s30, 7
	s_lshl_b64 s[34:35], s[16:17], 2
	s_add_u32 s0, s42, s34
	s_addc_u32 s1, s43, s35
	s_load_dword s25, s[0:1], 0x8
                                        ; implicit-def: $vgpr8_vgpr9
	s_waitcnt lgkmcnt(0)
	s_ashr_i32 s0, s25, 31
	v_or_b32_e32 v3, s0, v7
	v_cmp_ne_u64_e32 vcc, 0, v[2:3]
	s_and_saveexec_b64 s[36:37], vcc
	s_xor_b64 s[36:37], exec, s[36:37]
	s_cbranch_execz .LBB96_25
; %bb.24:                               ;   in Loop: Header=BB96_23 Depth=2
	s_ashr_i32 s38, s0, 31
	s_add_u32 s40, s25, s38
	s_mov_b32 s39, s38
	s_addc_u32 s41, s0, s38
	s_xor_b64 s[40:41], s[40:41], s[38:39]
	v_cvt_f32_u32_e32 v3, s40
	v_cvt_f32_u32_e32 v5, s41
	s_sub_u32 s16, 0, s40
	s_subb_u32 s28, 0, s41
	v_mac_f32_e32 v3, 0x4f800000, v5
	v_rcp_f32_e32 v3, v3
	v_mul_f32_e32 v3, 0x5f7ffffc, v3
	v_mul_f32_e32 v5, 0x2f800000, v3
	v_trunc_f32_e32 v5, v5
	v_mac_f32_e32 v3, 0xcf800000, v5
	v_cvt_u32_f32_e32 v5, v5
	v_cvt_u32_f32_e32 v3, v3
	v_readfirstlane_b32 s31, v5
	v_readfirstlane_b32 s0, v3
	s_mul_i32 s1, s16, s31
	s_mul_hi_u32 s50, s16, s0
	s_mul_i32 s39, s28, s0
	s_add_i32 s1, s50, s1
	s_add_i32 s1, s1, s39
	s_mul_i32 s51, s16, s0
	s_mul_i32 s50, s0, s1
	s_mul_hi_u32 s52, s0, s51
	s_mul_hi_u32 s39, s0, s1
	s_add_u32 s50, s52, s50
	s_addc_u32 s39, 0, s39
	s_mul_hi_u32 s53, s31, s51
	s_mul_i32 s51, s31, s51
	s_add_u32 s50, s50, s51
	s_mul_hi_u32 s52, s31, s1
	s_addc_u32 s39, s39, s53
	s_addc_u32 s50, s52, 0
	s_mul_i32 s1, s31, s1
	s_add_u32 s1, s39, s1
	s_addc_u32 s39, 0, s50
	s_add_u32 s50, s0, s1
	s_cselect_b64 s[0:1], -1, 0
	s_cmp_lg_u64 s[0:1], 0
	s_addc_u32 s31, s31, s39
	s_mul_i32 s0, s16, s31
	s_mul_hi_u32 s1, s16, s50
	s_add_i32 s0, s1, s0
	s_mul_i32 s28, s28, s50
	s_add_i32 s0, s0, s28
	s_mul_i32 s16, s16, s50
	s_mul_hi_u32 s28, s31, s16
	s_mul_i32 s39, s31, s16
	s_mul_i32 s52, s50, s0
	s_mul_hi_u32 s16, s50, s16
	s_mul_hi_u32 s51, s50, s0
	s_add_u32 s16, s16, s52
	s_addc_u32 s51, 0, s51
	s_add_u32 s16, s16, s39
	s_mul_hi_u32 s1, s31, s0
	s_addc_u32 s16, s51, s28
	s_addc_u32 s1, s1, 0
	s_mul_i32 s0, s31, s0
	s_add_u32 s0, s16, s0
	s_addc_u32 s16, 0, s1
	s_add_u32 s28, s50, s0
	s_cselect_b64 s[0:1], -1, 0
	v_ashrrev_i32_e32 v3, 31, v7
	s_cmp_lg_u64 s[0:1], 0
	v_add_co_u32_e32 v5, vcc, v6, v3
	s_addc_u32 s16, s31, s16
	v_xor_b32_e32 v5, v5, v3
	v_addc_co_u32_e32 v9, vcc, v7, v3, vcc
	v_mad_u64_u32 v[7:8], s[0:1], v5, s16, 0
	v_mul_hi_u32 v10, v5, s28
	v_xor_b32_e32 v11, v9, v3
	v_xor_b32_e32 v3, s38, v3
	v_add_co_u32_e32 v12, vcc, v10, v7
	v_addc_co_u32_e32 v13, vcc, 0, v8, vcc
	v_mad_u64_u32 v[7:8], s[0:1], v11, s28, 0
	v_mad_u64_u32 v[9:10], s[0:1], v11, s16, 0
	v_add_co_u32_e32 v7, vcc, v12, v7
	v_addc_co_u32_e32 v7, vcc, v13, v8, vcc
	v_addc_co_u32_e32 v8, vcc, 0, v10, vcc
	v_add_co_u32_e32 v9, vcc, v7, v9
	v_addc_co_u32_e32 v10, vcc, 0, v8, vcc
	v_mul_lo_u32 v12, s41, v9
	v_mul_lo_u32 v13, s40, v10
	v_mad_u64_u32 v[7:8], s[0:1], s40, v9, 0
	v_add3_u32 v8, v8, v13, v12
	v_sub_u32_e32 v12, v11, v8
	v_mov_b32_e32 v13, s41
	v_sub_co_u32_e32 v5, vcc, v5, v7
	v_subb_co_u32_e64 v7, s[0:1], v12, v13, vcc
	v_subrev_co_u32_e64 v12, s[0:1], s40, v5
	v_subbrev_co_u32_e64 v7, s[0:1], 0, v7, s[0:1]
	v_cmp_le_u32_e64 s[0:1], s41, v7
	v_cndmask_b32_e64 v13, 0, -1, s[0:1]
	v_cmp_le_u32_e64 s[0:1], s40, v12
	v_cndmask_b32_e64 v12, 0, -1, s[0:1]
	v_cmp_eq_u32_e64 s[0:1], s41, v7
	v_cndmask_b32_e64 v7, v13, v12, s[0:1]
	v_add_co_u32_e64 v12, s[0:1], 2, v9
	v_subb_co_u32_e32 v8, vcc, v11, v8, vcc
	v_addc_co_u32_e64 v13, s[0:1], 0, v10, s[0:1]
	v_cmp_le_u32_e32 vcc, s41, v8
	v_add_co_u32_e64 v14, s[0:1], 1, v9
	v_cndmask_b32_e64 v11, 0, -1, vcc
	v_cmp_le_u32_e32 vcc, s40, v5
	v_addc_co_u32_e64 v15, s[0:1], 0, v10, s[0:1]
	v_cndmask_b32_e64 v5, 0, -1, vcc
	v_cmp_eq_u32_e32 vcc, s41, v8
	v_cmp_ne_u32_e64 s[0:1], 0, v7
	v_cndmask_b32_e32 v5, v11, v5, vcc
	v_cndmask_b32_e64 v7, v15, v13, s[0:1]
	v_cmp_ne_u32_e32 vcc, 0, v5
	v_cndmask_b32_e32 v5, v10, v7, vcc
	v_cndmask_b32_e64 v7, v14, v12, s[0:1]
	v_cndmask_b32_e32 v7, v9, v7, vcc
	v_xor_b32_e32 v7, v7, v3
	v_xor_b32_e32 v5, v5, v3
	v_sub_co_u32_e32 v8, vcc, v7, v3
	v_subb_co_u32_e32 v9, vcc, v5, v3, vcc
.LBB96_25:                              ;   in Loop: Header=BB96_23 Depth=2
	s_andn2_saveexec_b64 s[0:1], s[36:37]
	s_cbranch_execz .LBB96_27
; %bb.26:                               ;   in Loop: Header=BB96_23 Depth=2
	v_cvt_f32_u32_e32 v3, s25
	s_sub_i32 s16, 0, s25
	v_mov_b32_e32 v9, v2
	v_rcp_iflag_f32_e32 v3, v3
	v_mul_f32_e32 v3, 0x4f7ffffe, v3
	v_cvt_u32_f32_e32 v3, v3
	v_mul_lo_u32 v5, s16, v3
	v_mul_hi_u32 v5, v3, v5
	v_add_u32_e32 v3, v3, v5
	v_mul_hi_u32 v3, v6, v3
	v_mul_lo_u32 v5, v3, s25
	v_add_u32_e32 v7, 1, v3
	v_sub_u32_e32 v5, v6, v5
	v_subrev_u32_e32 v8, s25, v5
	v_cmp_le_u32_e32 vcc, s25, v5
	v_cndmask_b32_e32 v5, v5, v8, vcc
	v_cndmask_b32_e32 v3, v3, v7, vcc
	v_add_u32_e32 v7, 1, v3
	v_cmp_le_u32_e32 vcc, s25, v5
	v_cndmask_b32_e32 v8, v3, v7, vcc
.LBB96_27:                              ;   in Loop: Header=BB96_23 Depth=2
	s_or_b64 exec, exec, s[0:1]
	s_add_u32 s0, s4, s34
	s_addc_u32 s1, s5, s35
	s_add_i32 s16, s30, 6
	s_lshl_b64 s[34:35], s[16:17], 2
	s_add_u32 s36, s42, s34
	s_addc_u32 s37, s43, s35
	s_load_dword s50, s[36:37], 0x8
	s_load_dword s28, s[0:1], 0x6c
                                        ; implicit-def: $vgpr10_vgpr11
	s_waitcnt lgkmcnt(0)
	s_ashr_i32 s0, s50, 31
	v_or_b32_e32 v3, s0, v9
	v_cmp_ne_u64_e32 vcc, 0, v[2:3]
	s_and_saveexec_b64 s[36:37], vcc
	s_xor_b64 s[36:37], exec, s[36:37]
	s_cbranch_execz .LBB96_29
; %bb.28:                               ;   in Loop: Header=BB96_23 Depth=2
	s_ashr_i32 s38, s0, 31
	s_add_u32 s40, s50, s38
	s_mov_b32 s39, s38
	s_addc_u32 s41, s0, s38
	s_xor_b64 s[40:41], s[40:41], s[38:39]
	v_cvt_f32_u32_e32 v3, s40
	v_cvt_f32_u32_e32 v5, s41
	s_sub_u32 s16, 0, s40
	s_subb_u32 s31, 0, s41
	v_mac_f32_e32 v3, 0x4f800000, v5
	v_rcp_f32_e32 v3, v3
	v_mul_f32_e32 v3, 0x5f7ffffc, v3
	v_mul_f32_e32 v5, 0x2f800000, v3
	v_trunc_f32_e32 v5, v5
	v_mac_f32_e32 v3, 0xcf800000, v5
	v_cvt_u32_f32_e32 v5, v5
	v_cvt_u32_f32_e32 v3, v3
	v_readfirstlane_b32 s39, v5
	v_readfirstlane_b32 s0, v3
	s_mul_i32 s1, s16, s39
	s_mul_hi_u32 s52, s16, s0
	s_mul_i32 s51, s31, s0
	s_add_i32 s1, s52, s1
	s_add_i32 s1, s1, s51
	s_mul_i32 s53, s16, s0
	s_mul_i32 s52, s0, s1
	s_mul_hi_u32 s54, s0, s53
	s_mul_hi_u32 s51, s0, s1
	s_add_u32 s52, s54, s52
	s_addc_u32 s51, 0, s51
	s_mul_hi_u32 s55, s39, s53
	s_mul_i32 s53, s39, s53
	s_add_u32 s52, s52, s53
	s_mul_hi_u32 s54, s39, s1
	s_addc_u32 s51, s51, s55
	s_addc_u32 s52, s54, 0
	s_mul_i32 s1, s39, s1
	s_add_u32 s1, s51, s1
	s_addc_u32 s51, 0, s52
	s_add_u32 s52, s0, s1
	s_cselect_b64 s[0:1], -1, 0
	s_cmp_lg_u64 s[0:1], 0
	s_addc_u32 s39, s39, s51
	s_mul_i32 s0, s16, s39
	s_mul_hi_u32 s1, s16, s52
	s_add_i32 s0, s1, s0
	s_mul_i32 s31, s31, s52
	s_add_i32 s0, s0, s31
	s_mul_i32 s16, s16, s52
	s_mul_hi_u32 s31, s39, s16
	s_mul_i32 s51, s39, s16
	s_mul_i32 s54, s52, s0
	s_mul_hi_u32 s16, s52, s16
	s_mul_hi_u32 s53, s52, s0
	s_add_u32 s16, s16, s54
	s_addc_u32 s53, 0, s53
	s_add_u32 s16, s16, s51
	s_mul_hi_u32 s1, s39, s0
	s_addc_u32 s16, s53, s31
	s_addc_u32 s1, s1, 0
	s_mul_i32 s0, s39, s0
	s_add_u32 s0, s16, s0
	s_addc_u32 s16, 0, s1
	s_add_u32 s31, s52, s0
	s_cselect_b64 s[0:1], -1, 0
	v_ashrrev_i32_e32 v3, 31, v9
	s_cmp_lg_u64 s[0:1], 0
	v_add_co_u32_e32 v5, vcc, v8, v3
	s_addc_u32 s16, s39, s16
	v_xor_b32_e32 v5, v5, v3
	v_addc_co_u32_e32 v7, vcc, v9, v3, vcc
	v_mad_u64_u32 v[9:10], s[0:1], v5, s16, 0
	v_mul_hi_u32 v11, v5, s31
	v_xor_b32_e32 v7, v7, v3
	v_xor_b32_e32 v3, s38, v3
	v_add_co_u32_e32 v13, vcc, v11, v9
	v_addc_co_u32_e32 v14, vcc, 0, v10, vcc
	v_mad_u64_u32 v[9:10], s[0:1], v7, s31, 0
	v_mad_u64_u32 v[11:12], s[0:1], v7, s16, 0
	v_add_co_u32_e32 v9, vcc, v13, v9
	v_addc_co_u32_e32 v9, vcc, v14, v10, vcc
	v_addc_co_u32_e32 v10, vcc, 0, v12, vcc
	v_add_co_u32_e32 v11, vcc, v9, v11
	v_addc_co_u32_e32 v12, vcc, 0, v10, vcc
	v_mul_lo_u32 v13, s41, v11
	v_mul_lo_u32 v14, s40, v12
	v_mad_u64_u32 v[9:10], s[0:1], s40, v11, 0
	v_add3_u32 v10, v10, v14, v13
	v_sub_u32_e32 v13, v7, v10
	v_mov_b32_e32 v14, s41
	v_sub_co_u32_e32 v5, vcc, v5, v9
	v_subb_co_u32_e64 v9, s[0:1], v13, v14, vcc
	v_subrev_co_u32_e64 v13, s[0:1], s40, v5
	v_subbrev_co_u32_e64 v9, s[0:1], 0, v9, s[0:1]
	v_cmp_le_u32_e64 s[0:1], s41, v9
	v_cndmask_b32_e64 v14, 0, -1, s[0:1]
	v_cmp_le_u32_e64 s[0:1], s40, v13
	v_cndmask_b32_e64 v13, 0, -1, s[0:1]
	v_cmp_eq_u32_e64 s[0:1], s41, v9
	v_cndmask_b32_e64 v9, v14, v13, s[0:1]
	v_add_co_u32_e64 v13, s[0:1], 2, v11
	v_subb_co_u32_e32 v7, vcc, v7, v10, vcc
	v_addc_co_u32_e64 v14, s[0:1], 0, v12, s[0:1]
	v_cmp_le_u32_e32 vcc, s41, v7
	v_add_co_u32_e64 v15, s[0:1], 1, v11
	v_cndmask_b32_e64 v10, 0, -1, vcc
	v_cmp_le_u32_e32 vcc, s40, v5
	v_addc_co_u32_e64 v16, s[0:1], 0, v12, s[0:1]
	v_cndmask_b32_e64 v5, 0, -1, vcc
	v_cmp_eq_u32_e32 vcc, s41, v7
	v_cmp_ne_u32_e64 s[0:1], 0, v9
	v_cndmask_b32_e32 v5, v10, v5, vcc
	v_cmp_ne_u32_e32 vcc, 0, v5
	v_cndmask_b32_e64 v7, v15, v13, s[0:1]
	v_cndmask_b32_e64 v9, v16, v14, s[0:1]
	v_cndmask_b32_e32 v7, v11, v7, vcc
	v_cndmask_b32_e32 v5, v12, v9, vcc
	v_xor_b32_e32 v7, v7, v3
	v_xor_b32_e32 v5, v5, v3
	v_sub_co_u32_e32 v10, vcc, v7, v3
	v_subb_co_u32_e32 v11, vcc, v5, v3, vcc
.LBB96_29:                              ;   in Loop: Header=BB96_23 Depth=2
	s_andn2_saveexec_b64 s[0:1], s[36:37]
	s_cbranch_execz .LBB96_31
; %bb.30:                               ;   in Loop: Header=BB96_23 Depth=2
	v_cvt_f32_u32_e32 v3, s50
	s_sub_i32 s16, 0, s50
	v_mov_b32_e32 v11, v2
	v_rcp_iflag_f32_e32 v3, v3
	v_mul_f32_e32 v3, 0x4f7ffffe, v3
	v_cvt_u32_f32_e32 v3, v3
	v_mul_lo_u32 v5, s16, v3
	v_mul_hi_u32 v5, v3, v5
	v_add_u32_e32 v3, v3, v5
	v_mul_hi_u32 v3, v8, v3
	v_mul_lo_u32 v5, v3, s50
	v_add_u32_e32 v7, 1, v3
	v_sub_u32_e32 v5, v8, v5
	v_subrev_u32_e32 v9, s50, v5
	v_cmp_le_u32_e32 vcc, s50, v5
	v_cndmask_b32_e32 v5, v5, v9, vcc
	v_cndmask_b32_e32 v3, v3, v7, vcc
	v_add_u32_e32 v7, 1, v3
	v_cmp_le_u32_e32 vcc, s50, v5
	v_cndmask_b32_e32 v10, v3, v7, vcc
.LBB96_31:                              ;   in Loop: Header=BB96_23 Depth=2
	s_or_b64 exec, exec, s[0:1]
	s_add_u32 s0, s4, s34
	s_addc_u32 s1, s5, s35
	s_add_i32 s16, s30, 5
	s_lshl_b64 s[34:35], s[16:17], 2
	s_add_u32 s36, s42, s34
	s_addc_u32 s37, s43, s35
	s_load_dword s52, s[36:37], 0x8
	s_load_dword s51, s[0:1], 0x6c
                                        ; implicit-def: $vgpr12_vgpr13
	s_waitcnt lgkmcnt(0)
	s_ashr_i32 s0, s52, 31
	v_or_b32_e32 v3, s0, v11
	v_cmp_ne_u64_e32 vcc, 0, v[2:3]
	s_and_saveexec_b64 s[36:37], vcc
	s_xor_b64 s[36:37], exec, s[36:37]
	s_cbranch_execz .LBB96_33
; %bb.32:                               ;   in Loop: Header=BB96_23 Depth=2
	s_ashr_i32 s38, s0, 31
	s_add_u32 s40, s52, s38
	s_mov_b32 s39, s38
	s_addc_u32 s41, s0, s38
	s_xor_b64 s[40:41], s[40:41], s[38:39]
	v_cvt_f32_u32_e32 v3, s40
	v_cvt_f32_u32_e32 v5, s41
	s_sub_u32 s16, 0, s40
	s_subb_u32 s31, 0, s41
	v_mac_f32_e32 v3, 0x4f800000, v5
	v_rcp_f32_e32 v3, v3
	v_mul_f32_e32 v3, 0x5f7ffffc, v3
	v_mul_f32_e32 v5, 0x2f800000, v3
	v_trunc_f32_e32 v5, v5
	v_mac_f32_e32 v3, 0xcf800000, v5
	v_cvt_u32_f32_e32 v5, v5
	v_cvt_u32_f32_e32 v3, v3
	v_readfirstlane_b32 s39, v5
	v_readfirstlane_b32 s0, v3
	s_mul_i32 s1, s16, s39
	s_mul_hi_u32 s54, s16, s0
	s_mul_i32 s53, s31, s0
	s_add_i32 s1, s54, s1
	s_add_i32 s1, s1, s53
	s_mul_i32 s55, s16, s0
	s_mul_i32 s54, s0, s1
	s_mul_hi_u32 s56, s0, s55
	s_mul_hi_u32 s53, s0, s1
	s_add_u32 s54, s56, s54
	s_addc_u32 s53, 0, s53
	s_mul_hi_u32 s57, s39, s55
	s_mul_i32 s55, s39, s55
	s_add_u32 s54, s54, s55
	s_mul_hi_u32 s56, s39, s1
	s_addc_u32 s53, s53, s57
	s_addc_u32 s54, s56, 0
	s_mul_i32 s1, s39, s1
	s_add_u32 s1, s53, s1
	s_addc_u32 s53, 0, s54
	s_add_u32 s54, s0, s1
	s_cselect_b64 s[0:1], -1, 0
	s_cmp_lg_u64 s[0:1], 0
	s_addc_u32 s39, s39, s53
	s_mul_i32 s0, s16, s39
	s_mul_hi_u32 s1, s16, s54
	s_add_i32 s0, s1, s0
	s_mul_i32 s31, s31, s54
	s_add_i32 s0, s0, s31
	s_mul_i32 s16, s16, s54
	s_mul_hi_u32 s31, s39, s16
	s_mul_i32 s53, s39, s16
	s_mul_i32 s56, s54, s0
	s_mul_hi_u32 s16, s54, s16
	s_mul_hi_u32 s55, s54, s0
	s_add_u32 s16, s16, s56
	s_addc_u32 s55, 0, s55
	s_add_u32 s16, s16, s53
	s_mul_hi_u32 s1, s39, s0
	s_addc_u32 s16, s55, s31
	s_addc_u32 s1, s1, 0
	s_mul_i32 s0, s39, s0
	s_add_u32 s0, s16, s0
	s_addc_u32 s16, 0, s1
	s_add_u32 s31, s54, s0
	s_cselect_b64 s[0:1], -1, 0
	v_ashrrev_i32_e32 v3, 31, v11
	s_cmp_lg_u64 s[0:1], 0
	v_add_co_u32_e32 v5, vcc, v10, v3
	s_addc_u32 s16, s39, s16
	v_xor_b32_e32 v5, v5, v3
	v_addc_co_u32_e32 v7, vcc, v11, v3, vcc
	v_mad_u64_u32 v[11:12], s[0:1], v5, s16, 0
	v_mul_hi_u32 v9, v5, s31
	v_xor_b32_e32 v7, v7, v3
	v_mad_u64_u32 v[13:14], s[0:1], v7, s16, 0
	v_add_co_u32_e32 v9, vcc, v9, v11
	v_addc_co_u32_e32 v15, vcc, 0, v12, vcc
	v_mad_u64_u32 v[11:12], s[0:1], v7, s31, 0
	v_xor_b32_e32 v3, s38, v3
	v_add_co_u32_e32 v9, vcc, v9, v11
	v_addc_co_u32_e32 v9, vcc, v15, v12, vcc
	v_addc_co_u32_e32 v11, vcc, 0, v14, vcc
	v_add_co_u32_e32 v9, vcc, v9, v13
	v_addc_co_u32_e32 v13, vcc, 0, v11, vcc
	v_mul_lo_u32 v14, s41, v9
	v_mul_lo_u32 v15, s40, v13
	v_mad_u64_u32 v[11:12], s[0:1], s40, v9, 0
	v_add3_u32 v12, v12, v15, v14
	v_sub_u32_e32 v14, v7, v12
	v_mov_b32_e32 v15, s41
	v_sub_co_u32_e32 v5, vcc, v5, v11
	v_subb_co_u32_e64 v11, s[0:1], v14, v15, vcc
	v_subrev_co_u32_e64 v14, s[0:1], s40, v5
	v_subbrev_co_u32_e64 v11, s[0:1], 0, v11, s[0:1]
	v_cmp_le_u32_e64 s[0:1], s41, v11
	v_cndmask_b32_e64 v15, 0, -1, s[0:1]
	v_cmp_le_u32_e64 s[0:1], s40, v14
	v_cndmask_b32_e64 v14, 0, -1, s[0:1]
	v_cmp_eq_u32_e64 s[0:1], s41, v11
	v_cndmask_b32_e64 v11, v15, v14, s[0:1]
	v_add_co_u32_e64 v14, s[0:1], 2, v9
	v_subb_co_u32_e32 v7, vcc, v7, v12, vcc
	v_addc_co_u32_e64 v15, s[0:1], 0, v13, s[0:1]
	v_cmp_le_u32_e32 vcc, s41, v7
	v_add_co_u32_e64 v16, s[0:1], 1, v9
	v_cndmask_b32_e64 v12, 0, -1, vcc
	v_cmp_le_u32_e32 vcc, s40, v5
	v_addc_co_u32_e64 v17, s[0:1], 0, v13, s[0:1]
	v_cndmask_b32_e64 v5, 0, -1, vcc
	v_cmp_eq_u32_e32 vcc, s41, v7
	v_cmp_ne_u32_e64 s[0:1], 0, v11
	v_cndmask_b32_e32 v5, v12, v5, vcc
	v_cmp_ne_u32_e32 vcc, 0, v5
	v_cndmask_b32_e64 v7, v16, v14, s[0:1]
	v_cndmask_b32_e64 v11, v17, v15, s[0:1]
	v_cndmask_b32_e32 v7, v9, v7, vcc
	v_cndmask_b32_e32 v5, v13, v11, vcc
	v_xor_b32_e32 v7, v7, v3
	v_xor_b32_e32 v5, v5, v3
	v_sub_co_u32_e32 v12, vcc, v7, v3
	v_subb_co_u32_e32 v13, vcc, v5, v3, vcc
.LBB96_33:                              ;   in Loop: Header=BB96_23 Depth=2
	s_andn2_saveexec_b64 s[0:1], s[36:37]
	s_cbranch_execz .LBB96_35
; %bb.34:                               ;   in Loop: Header=BB96_23 Depth=2
	v_cvt_f32_u32_e32 v3, s52
	s_sub_i32 s16, 0, s52
	v_mov_b32_e32 v13, v2
	v_rcp_iflag_f32_e32 v3, v3
	v_mul_f32_e32 v3, 0x4f7ffffe, v3
	v_cvt_u32_f32_e32 v3, v3
	v_mul_lo_u32 v5, s16, v3
	v_mul_hi_u32 v5, v3, v5
	v_add_u32_e32 v3, v3, v5
	v_mul_hi_u32 v3, v10, v3
	v_mul_lo_u32 v5, v3, s52
	v_add_u32_e32 v7, 1, v3
	v_sub_u32_e32 v5, v10, v5
	v_subrev_u32_e32 v9, s52, v5
	v_cmp_le_u32_e32 vcc, s52, v5
	v_cndmask_b32_e32 v5, v5, v9, vcc
	v_cndmask_b32_e32 v3, v3, v7, vcc
	v_add_u32_e32 v7, 1, v3
	v_cmp_le_u32_e32 vcc, s52, v5
	v_cndmask_b32_e32 v12, v3, v7, vcc
.LBB96_35:                              ;   in Loop: Header=BB96_23 Depth=2
	s_or_b64 exec, exec, s[0:1]
	s_add_u32 s0, s4, s34
	s_addc_u32 s1, s5, s35
	s_add_i32 s16, s30, 4
	s_lshl_b64 s[34:35], s[16:17], 2
	s_add_u32 s36, s42, s34
	s_addc_u32 s37, s43, s35
	s_load_dword s54, s[36:37], 0x8
	s_load_dword s53, s[0:1], 0x6c
                                        ; implicit-def: $vgpr14_vgpr15
	s_waitcnt lgkmcnt(0)
	s_ashr_i32 s0, s54, 31
	v_or_b32_e32 v3, s0, v13
	v_cmp_ne_u64_e32 vcc, 0, v[2:3]
	s_and_saveexec_b64 s[36:37], vcc
	s_xor_b64 s[36:37], exec, s[36:37]
	s_cbranch_execz .LBB96_37
; %bb.36:                               ;   in Loop: Header=BB96_23 Depth=2
	s_ashr_i32 s38, s0, 31
	s_add_u32 s40, s54, s38
	s_mov_b32 s39, s38
	s_addc_u32 s41, s0, s38
	s_xor_b64 s[40:41], s[40:41], s[38:39]
	v_cvt_f32_u32_e32 v3, s40
	v_cvt_f32_u32_e32 v5, s41
	s_sub_u32 s16, 0, s40
	s_subb_u32 s31, 0, s41
	v_mac_f32_e32 v3, 0x4f800000, v5
	v_rcp_f32_e32 v3, v3
	v_mul_f32_e32 v3, 0x5f7ffffc, v3
	v_mul_f32_e32 v5, 0x2f800000, v3
	v_trunc_f32_e32 v5, v5
	v_mac_f32_e32 v3, 0xcf800000, v5
	v_cvt_u32_f32_e32 v5, v5
	v_cvt_u32_f32_e32 v3, v3
	v_readfirstlane_b32 s39, v5
	v_readfirstlane_b32 s0, v3
	s_mul_i32 s1, s16, s39
	s_mul_hi_u32 s56, s16, s0
	s_mul_i32 s55, s31, s0
	s_add_i32 s1, s56, s1
	s_add_i32 s1, s1, s55
	s_mul_i32 s57, s16, s0
	s_mul_i32 s56, s0, s1
	s_mul_hi_u32 s58, s0, s57
	s_mul_hi_u32 s55, s0, s1
	s_add_u32 s56, s58, s56
	s_addc_u32 s55, 0, s55
	s_mul_hi_u32 s59, s39, s57
	s_mul_i32 s57, s39, s57
	s_add_u32 s56, s56, s57
	s_mul_hi_u32 s58, s39, s1
	s_addc_u32 s55, s55, s59
	s_addc_u32 s56, s58, 0
	s_mul_i32 s1, s39, s1
	s_add_u32 s1, s55, s1
	s_addc_u32 s55, 0, s56
	s_add_u32 s56, s0, s1
	s_cselect_b64 s[0:1], -1, 0
	s_cmp_lg_u64 s[0:1], 0
	s_addc_u32 s39, s39, s55
	s_mul_i32 s0, s16, s39
	s_mul_hi_u32 s1, s16, s56
	s_add_i32 s0, s1, s0
	s_mul_i32 s31, s31, s56
	s_add_i32 s0, s0, s31
	s_mul_i32 s16, s16, s56
	s_mul_hi_u32 s31, s39, s16
	s_mul_i32 s55, s39, s16
	s_mul_i32 s58, s56, s0
	s_mul_hi_u32 s16, s56, s16
	s_mul_hi_u32 s57, s56, s0
	s_add_u32 s16, s16, s58
	s_addc_u32 s57, 0, s57
	s_add_u32 s16, s16, s55
	s_mul_hi_u32 s1, s39, s0
	s_addc_u32 s16, s57, s31
	s_addc_u32 s1, s1, 0
	s_mul_i32 s0, s39, s0
	s_add_u32 s0, s16, s0
	s_addc_u32 s16, 0, s1
	s_add_u32 s31, s56, s0
	s_cselect_b64 s[0:1], -1, 0
	v_ashrrev_i32_e32 v3, 31, v13
	s_cmp_lg_u64 s[0:1], 0
	v_add_co_u32_e32 v5, vcc, v12, v3
	s_addc_u32 s16, s39, s16
	v_xor_b32_e32 v5, v5, v3
	v_addc_co_u32_e32 v7, vcc, v13, v3, vcc
	v_mad_u64_u32 v[13:14], s[0:1], v5, s16, 0
	v_mul_hi_u32 v9, v5, s31
	v_xor_b32_e32 v7, v7, v3
	v_mad_u64_u32 v[15:16], s[0:1], v7, s16, 0
	v_add_co_u32_e32 v9, vcc, v9, v13
	v_addc_co_u32_e32 v11, vcc, 0, v14, vcc
	v_mad_u64_u32 v[13:14], s[0:1], v7, s31, 0
	v_xor_b32_e32 v3, s38, v3
	v_add_co_u32_e32 v9, vcc, v9, v13
	v_addc_co_u32_e32 v9, vcc, v11, v14, vcc
	v_addc_co_u32_e32 v11, vcc, 0, v16, vcc
	v_add_co_u32_e32 v9, vcc, v9, v15
	v_addc_co_u32_e32 v11, vcc, 0, v11, vcc
	v_mul_lo_u32 v15, s41, v9
	v_mul_lo_u32 v16, s40, v11
	v_mad_u64_u32 v[13:14], s[0:1], s40, v9, 0
	v_add3_u32 v14, v14, v16, v15
	v_sub_u32_e32 v15, v7, v14
	v_mov_b32_e32 v16, s41
	v_sub_co_u32_e32 v5, vcc, v5, v13
	v_subb_co_u32_e64 v13, s[0:1], v15, v16, vcc
	v_subrev_co_u32_e64 v15, s[0:1], s40, v5
	v_subbrev_co_u32_e64 v13, s[0:1], 0, v13, s[0:1]
	v_cmp_le_u32_e64 s[0:1], s41, v13
	v_cndmask_b32_e64 v16, 0, -1, s[0:1]
	v_cmp_le_u32_e64 s[0:1], s40, v15
	v_cndmask_b32_e64 v15, 0, -1, s[0:1]
	v_cmp_eq_u32_e64 s[0:1], s41, v13
	v_cndmask_b32_e64 v13, v16, v15, s[0:1]
	v_add_co_u32_e64 v15, s[0:1], 2, v9
	v_subb_co_u32_e32 v7, vcc, v7, v14, vcc
	v_addc_co_u32_e64 v16, s[0:1], 0, v11, s[0:1]
	v_cmp_le_u32_e32 vcc, s41, v7
	v_add_co_u32_e64 v17, s[0:1], 1, v9
	v_cndmask_b32_e64 v14, 0, -1, vcc
	v_cmp_le_u32_e32 vcc, s40, v5
	v_addc_co_u32_e64 v18, s[0:1], 0, v11, s[0:1]
	v_cndmask_b32_e64 v5, 0, -1, vcc
	v_cmp_eq_u32_e32 vcc, s41, v7
	v_cmp_ne_u32_e64 s[0:1], 0, v13
	v_cndmask_b32_e32 v5, v14, v5, vcc
	v_cmp_ne_u32_e32 vcc, 0, v5
	v_cndmask_b32_e64 v7, v17, v15, s[0:1]
	v_cndmask_b32_e64 v13, v18, v16, s[0:1]
	v_cndmask_b32_e32 v7, v9, v7, vcc
	v_cndmask_b32_e32 v5, v11, v13, vcc
	v_xor_b32_e32 v7, v7, v3
	v_xor_b32_e32 v5, v5, v3
	v_sub_co_u32_e32 v14, vcc, v7, v3
	v_subb_co_u32_e32 v15, vcc, v5, v3, vcc
.LBB96_37:                              ;   in Loop: Header=BB96_23 Depth=2
	s_andn2_saveexec_b64 s[0:1], s[36:37]
	s_cbranch_execz .LBB96_39
; %bb.38:                               ;   in Loop: Header=BB96_23 Depth=2
	v_cvt_f32_u32_e32 v3, s54
	s_sub_i32 s16, 0, s54
	v_mov_b32_e32 v15, v2
	v_rcp_iflag_f32_e32 v3, v3
	v_mul_f32_e32 v3, 0x4f7ffffe, v3
	v_cvt_u32_f32_e32 v3, v3
	v_mul_lo_u32 v5, s16, v3
	v_mul_hi_u32 v5, v3, v5
	v_add_u32_e32 v3, v3, v5
	v_mul_hi_u32 v3, v12, v3
	v_mul_lo_u32 v5, v3, s54
	v_add_u32_e32 v7, 1, v3
	v_sub_u32_e32 v5, v12, v5
	v_subrev_u32_e32 v9, s54, v5
	v_cmp_le_u32_e32 vcc, s54, v5
	v_cndmask_b32_e32 v5, v5, v9, vcc
	v_cndmask_b32_e32 v3, v3, v7, vcc
	v_add_u32_e32 v7, 1, v3
	v_cmp_le_u32_e32 vcc, s54, v5
	v_cndmask_b32_e32 v14, v3, v7, vcc
.LBB96_39:                              ;   in Loop: Header=BB96_23 Depth=2
	s_or_b64 exec, exec, s[0:1]
	s_add_u32 s0, s4, s34
	s_addc_u32 s1, s5, s35
	s_add_i32 s16, s30, 3
	s_lshl_b64 s[34:35], s[16:17], 2
	s_add_u32 s36, s42, s34
	s_addc_u32 s37, s43, s35
	s_load_dword s55, s[36:37], 0x8
	s_load_dword s56, s[0:1], 0x6c
                                        ; implicit-def: $vgpr16_vgpr17
	s_waitcnt lgkmcnt(0)
	s_ashr_i32 s0, s55, 31
	v_or_b32_e32 v3, s0, v15
	v_cmp_ne_u64_e32 vcc, 0, v[2:3]
	s_and_saveexec_b64 s[36:37], vcc
	s_xor_b64 s[36:37], exec, s[36:37]
	s_cbranch_execz .LBB96_41
; %bb.40:                               ;   in Loop: Header=BB96_23 Depth=2
	s_ashr_i32 s38, s0, 31
	s_add_u32 s40, s55, s38
	s_mov_b32 s39, s38
	s_addc_u32 s41, s0, s38
	s_xor_b64 s[40:41], s[40:41], s[38:39]
	v_cvt_f32_u32_e32 v3, s40
	v_cvt_f32_u32_e32 v5, s41
	s_sub_u32 s16, 0, s40
	s_subb_u32 s31, 0, s41
	v_mac_f32_e32 v3, 0x4f800000, v5
	v_rcp_f32_e32 v3, v3
	v_mul_f32_e32 v3, 0x5f7ffffc, v3
	v_mul_f32_e32 v5, 0x2f800000, v3
	v_trunc_f32_e32 v5, v5
	v_mac_f32_e32 v3, 0xcf800000, v5
	v_cvt_u32_f32_e32 v5, v5
	v_cvt_u32_f32_e32 v3, v3
	v_readfirstlane_b32 s39, v5
	v_readfirstlane_b32 s0, v3
	s_mul_i32 s1, s16, s39
	s_mul_hi_u32 s58, s16, s0
	s_mul_i32 s57, s31, s0
	s_add_i32 s1, s58, s1
	s_add_i32 s1, s1, s57
	s_mul_i32 s59, s16, s0
	s_mul_i32 s58, s0, s1
	s_mul_hi_u32 s60, s0, s59
	s_mul_hi_u32 s57, s0, s1
	s_add_u32 s58, s60, s58
	s_addc_u32 s57, 0, s57
	s_mul_hi_u32 s61, s39, s59
	s_mul_i32 s59, s39, s59
	s_add_u32 s58, s58, s59
	s_mul_hi_u32 s60, s39, s1
	s_addc_u32 s57, s57, s61
	s_addc_u32 s58, s60, 0
	s_mul_i32 s1, s39, s1
	s_add_u32 s1, s57, s1
	s_addc_u32 s57, 0, s58
	s_add_u32 s58, s0, s1
	s_cselect_b64 s[0:1], -1, 0
	s_cmp_lg_u64 s[0:1], 0
	s_addc_u32 s39, s39, s57
	s_mul_i32 s0, s16, s39
	s_mul_hi_u32 s1, s16, s58
	s_add_i32 s0, s1, s0
	s_mul_i32 s31, s31, s58
	s_add_i32 s0, s0, s31
	s_mul_i32 s16, s16, s58
	s_mul_hi_u32 s31, s39, s16
	s_mul_i32 s57, s39, s16
	s_mul_i32 s60, s58, s0
	s_mul_hi_u32 s16, s58, s16
	s_mul_hi_u32 s59, s58, s0
	s_add_u32 s16, s16, s60
	s_addc_u32 s59, 0, s59
	s_add_u32 s16, s16, s57
	s_mul_hi_u32 s1, s39, s0
	s_addc_u32 s16, s59, s31
	s_addc_u32 s1, s1, 0
	s_mul_i32 s0, s39, s0
	s_add_u32 s0, s16, s0
	s_addc_u32 s16, 0, s1
	s_add_u32 s31, s58, s0
	s_cselect_b64 s[0:1], -1, 0
	v_ashrrev_i32_e32 v3, 31, v15
	s_cmp_lg_u64 s[0:1], 0
	v_add_co_u32_e32 v5, vcc, v14, v3
	s_addc_u32 s16, s39, s16
	v_xor_b32_e32 v5, v5, v3
	v_addc_co_u32_e32 v7, vcc, v15, v3, vcc
	v_mad_u64_u32 v[15:16], s[0:1], v5, s16, 0
	v_mul_hi_u32 v9, v5, s31
	v_xor_b32_e32 v7, v7, v3
	v_mad_u64_u32 v[17:18], s[0:1], v7, s16, 0
	v_add_co_u32_e32 v9, vcc, v9, v15
	v_addc_co_u32_e32 v11, vcc, 0, v16, vcc
	v_mad_u64_u32 v[15:16], s[0:1], v7, s31, 0
	v_xor_b32_e32 v3, s38, v3
	v_add_co_u32_e32 v9, vcc, v9, v15
	v_addc_co_u32_e32 v9, vcc, v11, v16, vcc
	v_addc_co_u32_e32 v11, vcc, 0, v18, vcc
	v_add_co_u32_e32 v9, vcc, v9, v17
	v_addc_co_u32_e32 v11, vcc, 0, v11, vcc
	v_mul_lo_u32 v13, s41, v9
	v_mul_lo_u32 v17, s40, v11
	v_mad_u64_u32 v[15:16], s[0:1], s40, v9, 0
	v_add3_u32 v13, v16, v17, v13
	v_sub_u32_e32 v16, v7, v13
	v_mov_b32_e32 v17, s41
	v_sub_co_u32_e32 v5, vcc, v5, v15
	v_subb_co_u32_e64 v15, s[0:1], v16, v17, vcc
	v_subrev_co_u32_e64 v16, s[0:1], s40, v5
	v_subbrev_co_u32_e64 v15, s[0:1], 0, v15, s[0:1]
	v_cmp_le_u32_e64 s[0:1], s41, v15
	v_cndmask_b32_e64 v17, 0, -1, s[0:1]
	v_cmp_le_u32_e64 s[0:1], s40, v16
	v_cndmask_b32_e64 v16, 0, -1, s[0:1]
	v_cmp_eq_u32_e64 s[0:1], s41, v15
	v_cndmask_b32_e64 v15, v17, v16, s[0:1]
	v_add_co_u32_e64 v16, s[0:1], 2, v9
	v_subb_co_u32_e32 v7, vcc, v7, v13, vcc
	v_addc_co_u32_e64 v17, s[0:1], 0, v11, s[0:1]
	v_cmp_le_u32_e32 vcc, s41, v7
	v_add_co_u32_e64 v18, s[0:1], 1, v9
	v_cndmask_b32_e64 v13, 0, -1, vcc
	v_cmp_le_u32_e32 vcc, s40, v5
	v_addc_co_u32_e64 v19, s[0:1], 0, v11, s[0:1]
	v_cndmask_b32_e64 v5, 0, -1, vcc
	v_cmp_eq_u32_e32 vcc, s41, v7
	v_cmp_ne_u32_e64 s[0:1], 0, v15
	v_cndmask_b32_e32 v5, v13, v5, vcc
	v_cmp_ne_u32_e32 vcc, 0, v5
	v_cndmask_b32_e64 v7, v18, v16, s[0:1]
	v_cndmask_b32_e64 v15, v19, v17, s[0:1]
	v_cndmask_b32_e32 v7, v9, v7, vcc
	v_cndmask_b32_e32 v5, v11, v15, vcc
	v_xor_b32_e32 v7, v7, v3
	v_xor_b32_e32 v5, v5, v3
	v_sub_co_u32_e32 v16, vcc, v7, v3
	v_subb_co_u32_e32 v17, vcc, v5, v3, vcc
.LBB96_41:                              ;   in Loop: Header=BB96_23 Depth=2
	s_andn2_saveexec_b64 s[0:1], s[36:37]
	s_cbranch_execz .LBB96_43
; %bb.42:                               ;   in Loop: Header=BB96_23 Depth=2
	v_cvt_f32_u32_e32 v3, s55
	s_sub_i32 s16, 0, s55
	v_mov_b32_e32 v17, v2
	v_rcp_iflag_f32_e32 v3, v3
	v_mul_f32_e32 v3, 0x4f7ffffe, v3
	v_cvt_u32_f32_e32 v3, v3
	v_mul_lo_u32 v5, s16, v3
	v_mul_hi_u32 v5, v3, v5
	v_add_u32_e32 v3, v3, v5
	v_mul_hi_u32 v3, v14, v3
	v_mul_lo_u32 v5, v3, s55
	v_add_u32_e32 v7, 1, v3
	v_sub_u32_e32 v5, v14, v5
	v_subrev_u32_e32 v9, s55, v5
	v_cmp_le_u32_e32 vcc, s55, v5
	v_cndmask_b32_e32 v5, v5, v9, vcc
	v_cndmask_b32_e32 v3, v3, v7, vcc
	v_add_u32_e32 v7, 1, v3
	v_cmp_le_u32_e32 vcc, s55, v5
	v_cndmask_b32_e32 v16, v3, v7, vcc
.LBB96_43:                              ;   in Loop: Header=BB96_23 Depth=2
	s_or_b64 exec, exec, s[0:1]
	s_add_u32 s0, s4, s34
	s_addc_u32 s1, s5, s35
	s_add_i32 s16, s30, 2
	s_lshl_b64 s[34:35], s[16:17], 2
	s_add_u32 s36, s42, s34
	s_addc_u32 s37, s43, s35
	s_load_dword s58, s[36:37], 0x8
	s_load_dword s57, s[0:1], 0x6c
                                        ; implicit-def: $vgpr18_vgpr19
	s_waitcnt lgkmcnt(0)
	s_ashr_i32 s0, s58, 31
	v_or_b32_e32 v3, s0, v17
	v_cmp_ne_u64_e32 vcc, 0, v[2:3]
	s_and_saveexec_b64 s[36:37], vcc
	s_xor_b64 s[36:37], exec, s[36:37]
	s_cbranch_execz .LBB96_45
; %bb.44:                               ;   in Loop: Header=BB96_23 Depth=2
	s_ashr_i32 s38, s0, 31
	s_add_u32 s40, s58, s38
	s_mov_b32 s39, s38
	s_addc_u32 s41, s0, s38
	s_xor_b64 s[40:41], s[40:41], s[38:39]
	v_cvt_f32_u32_e32 v3, s40
	v_cvt_f32_u32_e32 v5, s41
	s_sub_u32 s16, 0, s40
	s_subb_u32 s31, 0, s41
	v_mac_f32_e32 v3, 0x4f800000, v5
	v_rcp_f32_e32 v3, v3
	v_mul_f32_e32 v3, 0x5f7ffffc, v3
	v_mul_f32_e32 v5, 0x2f800000, v3
	v_trunc_f32_e32 v5, v5
	v_mac_f32_e32 v3, 0xcf800000, v5
	v_cvt_u32_f32_e32 v5, v5
	v_cvt_u32_f32_e32 v3, v3
	v_readfirstlane_b32 s39, v5
	v_readfirstlane_b32 s0, v3
	s_mul_i32 s1, s16, s39
	s_mul_hi_u32 s60, s16, s0
	s_mul_i32 s59, s31, s0
	s_add_i32 s1, s60, s1
	s_add_i32 s1, s1, s59
	s_mul_i32 s61, s16, s0
	s_mul_i32 s60, s0, s1
	s_mul_hi_u32 s62, s0, s61
	s_mul_hi_u32 s59, s0, s1
	s_add_u32 s60, s62, s60
	s_addc_u32 s59, 0, s59
	s_mul_hi_u32 s63, s39, s61
	s_mul_i32 s61, s39, s61
	s_add_u32 s60, s60, s61
	s_mul_hi_u32 s62, s39, s1
	s_addc_u32 s59, s59, s63
	s_addc_u32 s60, s62, 0
	s_mul_i32 s1, s39, s1
	s_add_u32 s1, s59, s1
	s_addc_u32 s59, 0, s60
	s_add_u32 s60, s0, s1
	s_cselect_b64 s[0:1], -1, 0
	s_cmp_lg_u64 s[0:1], 0
	s_addc_u32 s39, s39, s59
	s_mul_i32 s0, s16, s39
	s_mul_hi_u32 s1, s16, s60
	s_add_i32 s0, s1, s0
	s_mul_i32 s31, s31, s60
	s_add_i32 s0, s0, s31
	s_mul_i32 s16, s16, s60
	s_mul_hi_u32 s31, s39, s16
	s_mul_i32 s59, s39, s16
	s_mul_i32 s62, s60, s0
	s_mul_hi_u32 s16, s60, s16
	s_mul_hi_u32 s61, s60, s0
	s_add_u32 s16, s16, s62
	s_addc_u32 s61, 0, s61
	s_add_u32 s16, s16, s59
	s_mul_hi_u32 s1, s39, s0
	s_addc_u32 s16, s61, s31
	s_addc_u32 s1, s1, 0
	s_mul_i32 s0, s39, s0
	s_add_u32 s0, s16, s0
	s_addc_u32 s16, 0, s1
	s_add_u32 s31, s60, s0
	s_cselect_b64 s[0:1], -1, 0
	v_ashrrev_i32_e32 v3, 31, v17
	s_cmp_lg_u64 s[0:1], 0
	v_add_co_u32_e32 v5, vcc, v16, v3
	s_addc_u32 s16, s39, s16
	v_xor_b32_e32 v5, v5, v3
	v_addc_co_u32_e32 v7, vcc, v17, v3, vcc
	v_mad_u64_u32 v[17:18], s[0:1], v5, s16, 0
	v_mul_hi_u32 v9, v5, s31
	v_xor_b32_e32 v7, v7, v3
	v_mad_u64_u32 v[19:20], s[0:1], v7, s16, 0
	v_add_co_u32_e32 v9, vcc, v9, v17
	v_addc_co_u32_e32 v11, vcc, 0, v18, vcc
	v_mad_u64_u32 v[17:18], s[0:1], v7, s31, 0
	v_xor_b32_e32 v3, s38, v3
	v_add_co_u32_e32 v9, vcc, v9, v17
	v_addc_co_u32_e32 v9, vcc, v11, v18, vcc
	v_addc_co_u32_e32 v11, vcc, 0, v20, vcc
	v_add_co_u32_e32 v9, vcc, v9, v19
	v_addc_co_u32_e32 v11, vcc, 0, v11, vcc
	v_mul_lo_u32 v13, s41, v9
	v_mul_lo_u32 v15, s40, v11
	v_mad_u64_u32 v[17:18], s[0:1], s40, v9, 0
	v_add3_u32 v13, v18, v15, v13
	v_sub_u32_e32 v15, v7, v13
	v_mov_b32_e32 v18, s41
	v_sub_co_u32_e32 v5, vcc, v5, v17
	v_subb_co_u32_e64 v15, s[0:1], v15, v18, vcc
	v_subrev_co_u32_e64 v17, s[0:1], s40, v5
	v_subbrev_co_u32_e64 v15, s[0:1], 0, v15, s[0:1]
	v_cmp_le_u32_e64 s[0:1], s41, v15
	v_cndmask_b32_e64 v18, 0, -1, s[0:1]
	v_cmp_le_u32_e64 s[0:1], s40, v17
	v_cndmask_b32_e64 v17, 0, -1, s[0:1]
	v_cmp_eq_u32_e64 s[0:1], s41, v15
	v_cndmask_b32_e64 v15, v18, v17, s[0:1]
	v_add_co_u32_e64 v17, s[0:1], 2, v9
	v_subb_co_u32_e32 v7, vcc, v7, v13, vcc
	v_addc_co_u32_e64 v18, s[0:1], 0, v11, s[0:1]
	v_cmp_le_u32_e32 vcc, s41, v7
	v_add_co_u32_e64 v19, s[0:1], 1, v9
	v_cndmask_b32_e64 v13, 0, -1, vcc
	v_cmp_le_u32_e32 vcc, s40, v5
	v_addc_co_u32_e64 v20, s[0:1], 0, v11, s[0:1]
	v_cndmask_b32_e64 v5, 0, -1, vcc
	v_cmp_eq_u32_e32 vcc, s41, v7
	v_cmp_ne_u32_e64 s[0:1], 0, v15
	v_cndmask_b32_e32 v5, v13, v5, vcc
	v_cmp_ne_u32_e32 vcc, 0, v5
	v_cndmask_b32_e64 v7, v19, v17, s[0:1]
	v_cndmask_b32_e64 v15, v20, v18, s[0:1]
	v_cndmask_b32_e32 v7, v9, v7, vcc
	v_cndmask_b32_e32 v5, v11, v15, vcc
	v_xor_b32_e32 v7, v7, v3
	v_xor_b32_e32 v5, v5, v3
	v_sub_co_u32_e32 v18, vcc, v7, v3
	v_subb_co_u32_e32 v19, vcc, v5, v3, vcc
.LBB96_45:                              ;   in Loop: Header=BB96_23 Depth=2
	s_andn2_saveexec_b64 s[0:1], s[36:37]
	s_cbranch_execz .LBB96_47
; %bb.46:                               ;   in Loop: Header=BB96_23 Depth=2
	v_cvt_f32_u32_e32 v3, s58
	s_sub_i32 s16, 0, s58
	v_mov_b32_e32 v19, v2
	v_rcp_iflag_f32_e32 v3, v3
	v_mul_f32_e32 v3, 0x4f7ffffe, v3
	v_cvt_u32_f32_e32 v3, v3
	v_mul_lo_u32 v5, s16, v3
	v_mul_hi_u32 v5, v3, v5
	v_add_u32_e32 v3, v3, v5
	v_mul_hi_u32 v3, v16, v3
	v_mul_lo_u32 v5, v3, s58
	v_add_u32_e32 v7, 1, v3
	v_sub_u32_e32 v5, v16, v5
	v_subrev_u32_e32 v9, s58, v5
	v_cmp_le_u32_e32 vcc, s58, v5
	v_cndmask_b32_e32 v5, v5, v9, vcc
	v_cndmask_b32_e32 v3, v3, v7, vcc
	v_add_u32_e32 v7, 1, v3
	v_cmp_le_u32_e32 vcc, s58, v5
	v_cndmask_b32_e32 v18, v3, v7, vcc
.LBB96_47:                              ;   in Loop: Header=BB96_23 Depth=2
	s_or_b64 exec, exec, s[0:1]
	s_add_u32 s0, s4, s34
	s_addc_u32 s1, s5, s35
	s_add_i32 s16, s30, 1
	s_lshl_b64 s[34:35], s[16:17], 2
	s_add_u32 s36, s42, s34
	s_addc_u32 s37, s43, s35
	s_load_dword s59, s[36:37], 0x8
	s_load_dword s16, s[0:1], 0x6c
                                        ; implicit-def: $vgpr20_vgpr21
	s_waitcnt lgkmcnt(0)
	s_ashr_i32 s0, s59, 31
	v_or_b32_e32 v3, s0, v19
	v_cmp_ne_u64_e32 vcc, 0, v[2:3]
	s_and_saveexec_b64 s[36:37], vcc
	s_xor_b64 s[36:37], exec, s[36:37]
	s_cbranch_execz .LBB96_49
; %bb.48:                               ;   in Loop: Header=BB96_23 Depth=2
	s_ashr_i32 s38, s0, 31
	s_add_u32 s40, s59, s38
	s_mov_b32 s39, s38
	s_addc_u32 s41, s0, s38
	s_xor_b64 s[40:41], s[40:41], s[38:39]
	v_cvt_f32_u32_e32 v3, s40
	v_cvt_f32_u32_e32 v5, s41
	s_sub_u32 s31, 0, s40
	s_subb_u32 s39, 0, s41
	v_mov_b32_e32 v17, s41
	v_mac_f32_e32 v3, 0x4f800000, v5
	v_rcp_f32_e32 v3, v3
	v_mul_f32_e32 v3, 0x5f7ffffc, v3
	v_mul_f32_e32 v5, 0x2f800000, v3
	v_trunc_f32_e32 v5, v5
	v_mac_f32_e32 v3, 0xcf800000, v5
	v_cvt_u32_f32_e32 v5, v5
	v_cvt_u32_f32_e32 v3, v3
	v_readfirstlane_b32 s60, v5
	v_readfirstlane_b32 s0, v3
	s_mul_i32 s1, s31, s60
	s_mul_hi_u32 s62, s31, s0
	s_mul_i32 s61, s39, s0
	s_add_i32 s1, s62, s1
	s_add_i32 s1, s1, s61
	s_mul_i32 s63, s31, s0
	s_mul_i32 s62, s0, s1
	s_mul_hi_u32 s64, s0, s63
	s_mul_hi_u32 s61, s0, s1
	s_add_u32 s62, s64, s62
	s_addc_u32 s61, 0, s61
	s_mul_hi_u32 s65, s60, s63
	s_mul_i32 s63, s60, s63
	s_add_u32 s62, s62, s63
	s_mul_hi_u32 s64, s60, s1
	s_addc_u32 s61, s61, s65
	s_addc_u32 s62, s64, 0
	s_mul_i32 s1, s60, s1
	s_add_u32 s1, s61, s1
	s_addc_u32 s61, 0, s62
	s_add_u32 s62, s0, s1
	s_cselect_b64 s[0:1], -1, 0
	s_cmp_lg_u64 s[0:1], 0
	s_addc_u32 s60, s60, s61
	s_mul_i32 s0, s31, s60
	s_mul_hi_u32 s1, s31, s62
	s_add_i32 s0, s1, s0
	s_mul_i32 s39, s39, s62
	s_add_i32 s0, s0, s39
	s_mul_i32 s31, s31, s62
	s_mul_hi_u32 s39, s60, s31
	s_mul_i32 s61, s60, s31
	s_mul_i32 s64, s62, s0
	s_mul_hi_u32 s31, s62, s31
	s_mul_hi_u32 s63, s62, s0
	s_add_u32 s31, s31, s64
	s_addc_u32 s63, 0, s63
	s_add_u32 s31, s31, s61
	s_mul_hi_u32 s1, s60, s0
	s_addc_u32 s31, s63, s39
	s_addc_u32 s1, s1, 0
	s_mul_i32 s0, s60, s0
	s_add_u32 s0, s31, s0
	s_addc_u32 s31, 0, s1
	s_add_u32 s39, s62, s0
	s_cselect_b64 s[0:1], -1, 0
	v_ashrrev_i32_e32 v3, 31, v19
	s_cmp_lg_u64 s[0:1], 0
	v_add_co_u32_e32 v5, vcc, v18, v3
	s_addc_u32 s31, s60, s31
	v_xor_b32_e32 v5, v5, v3
	v_addc_co_u32_e32 v7, vcc, v19, v3, vcc
	v_mad_u64_u32 v[19:20], s[0:1], v5, s31, 0
	v_mul_hi_u32 v9, v5, s39
	v_xor_b32_e32 v7, v7, v3
	v_mad_u64_u32 v[21:22], s[0:1], v7, s31, 0
	v_add_co_u32_e32 v9, vcc, v9, v19
	v_addc_co_u32_e32 v11, vcc, 0, v20, vcc
	v_mad_u64_u32 v[19:20], s[0:1], v7, s39, 0
	v_xor_b32_e32 v3, s38, v3
	v_add_co_u32_e32 v9, vcc, v9, v19
	v_addc_co_u32_e32 v9, vcc, v11, v20, vcc
	v_addc_co_u32_e32 v11, vcc, 0, v22, vcc
	v_add_co_u32_e32 v9, vcc, v9, v21
	v_addc_co_u32_e32 v11, vcc, 0, v11, vcc
	v_mul_lo_u32 v13, s41, v9
	v_mul_lo_u32 v15, s40, v11
	v_mad_u64_u32 v[19:20], s[0:1], s40, v9, 0
	v_add3_u32 v13, v20, v15, v13
	v_sub_u32_e32 v15, v7, v13
	v_sub_co_u32_e32 v5, vcc, v5, v19
	v_subb_co_u32_e64 v15, s[0:1], v15, v17, vcc
	v_subrev_co_u32_e64 v17, s[0:1], s40, v5
	v_subbrev_co_u32_e64 v15, s[0:1], 0, v15, s[0:1]
	v_cmp_le_u32_e64 s[0:1], s41, v15
	v_cndmask_b32_e64 v19, 0, -1, s[0:1]
	v_cmp_le_u32_e64 s[0:1], s40, v17
	v_cndmask_b32_e64 v17, 0, -1, s[0:1]
	v_cmp_eq_u32_e64 s[0:1], s41, v15
	v_cndmask_b32_e64 v15, v19, v17, s[0:1]
	v_add_co_u32_e64 v17, s[0:1], 2, v9
	v_subb_co_u32_e32 v7, vcc, v7, v13, vcc
	v_addc_co_u32_e64 v19, s[0:1], 0, v11, s[0:1]
	v_cmp_le_u32_e32 vcc, s41, v7
	v_add_co_u32_e64 v20, s[0:1], 1, v9
	v_cndmask_b32_e64 v13, 0, -1, vcc
	v_cmp_le_u32_e32 vcc, s40, v5
	v_addc_co_u32_e64 v21, s[0:1], 0, v11, s[0:1]
	v_cndmask_b32_e64 v5, 0, -1, vcc
	v_cmp_eq_u32_e32 vcc, s41, v7
	v_cmp_ne_u32_e64 s[0:1], 0, v15
	v_cndmask_b32_e32 v5, v13, v5, vcc
	v_cmp_ne_u32_e32 vcc, 0, v5
	v_cndmask_b32_e64 v7, v20, v17, s[0:1]
	v_cndmask_b32_e64 v15, v21, v19, s[0:1]
	v_cndmask_b32_e32 v7, v9, v7, vcc
	v_cndmask_b32_e32 v5, v11, v15, vcc
	v_xor_b32_e32 v7, v7, v3
	v_xor_b32_e32 v5, v5, v3
	v_sub_co_u32_e32 v20, vcc, v7, v3
	v_subb_co_u32_e32 v21, vcc, v5, v3, vcc
.LBB96_49:                              ;   in Loop: Header=BB96_23 Depth=2
	s_andn2_saveexec_b64 s[0:1], s[36:37]
	s_cbranch_execz .LBB96_51
; %bb.50:                               ;   in Loop: Header=BB96_23 Depth=2
	v_cvt_f32_u32_e32 v3, s59
	s_sub_i32 s31, 0, s59
	v_mov_b32_e32 v21, v2
	v_rcp_iflag_f32_e32 v3, v3
	v_mul_f32_e32 v3, 0x4f7ffffe, v3
	v_cvt_u32_f32_e32 v3, v3
	v_mul_lo_u32 v5, s31, v3
	v_mul_hi_u32 v5, v3, v5
	v_add_u32_e32 v3, v3, v5
	v_mul_hi_u32 v3, v18, v3
	v_mul_lo_u32 v5, v3, s59
	v_add_u32_e32 v7, 1, v3
	v_sub_u32_e32 v5, v18, v5
	v_subrev_u32_e32 v9, s59, v5
	v_cmp_le_u32_e32 vcc, s59, v5
	v_cndmask_b32_e32 v5, v5, v9, vcc
	v_cndmask_b32_e32 v3, v3, v7, vcc
	v_add_u32_e32 v7, 1, v3
	v_cmp_le_u32_e32 vcc, s59, v5
	v_cndmask_b32_e32 v20, v3, v7, vcc
.LBB96_51:                              ;   in Loop: Header=BB96_23 Depth=2
	s_or_b64 exec, exec, s[0:1]
	s_add_u32 s0, s4, s34
	s_mov_b32 s31, s17
	s_addc_u32 s1, s5, s35
	s_lshl_b64 s[34:35], s[30:31], 2
	s_add_u32 s36, s42, s34
	s_addc_u32 s37, s43, s35
	s_load_dword s60, s[36:37], 0x8
	s_load_dword s31, s[0:1], 0x6c
                                        ; implicit-def: $vgpr22_vgpr23
	s_waitcnt lgkmcnt(0)
	s_ashr_i32 s0, s60, 31
	v_or_b32_e32 v3, s0, v21
	v_cmp_ne_u64_e32 vcc, 0, v[2:3]
	s_and_saveexec_b64 s[36:37], vcc
	s_xor_b64 s[36:37], exec, s[36:37]
	s_cbranch_execz .LBB96_53
; %bb.52:                               ;   in Loop: Header=BB96_23 Depth=2
	s_ashr_i32 s38, s0, 31
	s_add_u32 s40, s60, s38
	s_mov_b32 s39, s38
	s_addc_u32 s41, s0, s38
	s_xor_b64 s[40:41], s[40:41], s[38:39]
	v_cvt_f32_u32_e32 v3, s40
	v_cvt_f32_u32_e32 v5, s41
	s_sub_u32 s39, 0, s40
	s_subb_u32 s61, 0, s41
	v_mov_b32_e32 v17, s41
	v_mac_f32_e32 v3, 0x4f800000, v5
	v_rcp_f32_e32 v3, v3
	v_mul_f32_e32 v3, 0x5f7ffffc, v3
	v_mul_f32_e32 v5, 0x2f800000, v3
	v_trunc_f32_e32 v5, v5
	v_mac_f32_e32 v3, 0xcf800000, v5
	v_cvt_u32_f32_e32 v5, v5
	v_cvt_u32_f32_e32 v3, v3
	v_readfirstlane_b32 s62, v5
	v_readfirstlane_b32 s0, v3
	s_mul_i32 s1, s39, s62
	s_mul_hi_u32 s64, s39, s0
	s_mul_i32 s63, s61, s0
	s_add_i32 s1, s64, s1
	s_add_i32 s1, s1, s63
	s_mul_i32 s65, s39, s0
	s_mul_i32 s64, s0, s1
	s_mul_hi_u32 s66, s0, s65
	s_mul_hi_u32 s63, s0, s1
	s_add_u32 s64, s66, s64
	s_addc_u32 s63, 0, s63
	s_mul_hi_u32 s67, s62, s65
	s_mul_i32 s65, s62, s65
	s_add_u32 s64, s64, s65
	s_mul_hi_u32 s66, s62, s1
	s_addc_u32 s63, s63, s67
	s_addc_u32 s64, s66, 0
	s_mul_i32 s1, s62, s1
	s_add_u32 s1, s63, s1
	s_addc_u32 s63, 0, s64
	s_add_u32 s64, s0, s1
	s_cselect_b64 s[0:1], -1, 0
	s_cmp_lg_u64 s[0:1], 0
	s_addc_u32 s62, s62, s63
	s_mul_i32 s0, s39, s62
	s_mul_hi_u32 s1, s39, s64
	s_add_i32 s0, s1, s0
	s_mul_i32 s61, s61, s64
	s_add_i32 s0, s0, s61
	s_mul_i32 s39, s39, s64
	s_mul_hi_u32 s61, s62, s39
	s_mul_i32 s63, s62, s39
	s_mul_i32 s66, s64, s0
	s_mul_hi_u32 s39, s64, s39
	s_mul_hi_u32 s65, s64, s0
	s_add_u32 s39, s39, s66
	s_addc_u32 s65, 0, s65
	s_add_u32 s39, s39, s63
	s_mul_hi_u32 s1, s62, s0
	s_addc_u32 s39, s65, s61
	s_addc_u32 s1, s1, 0
	s_mul_i32 s0, s62, s0
	s_add_u32 s0, s39, s0
	s_addc_u32 s39, 0, s1
	s_add_u32 s61, s64, s0
	s_cselect_b64 s[0:1], -1, 0
	v_ashrrev_i32_e32 v3, 31, v21
	s_cmp_lg_u64 s[0:1], 0
	v_add_co_u32_e32 v5, vcc, v20, v3
	s_addc_u32 s39, s62, s39
	v_xor_b32_e32 v5, v5, v3
	v_addc_co_u32_e32 v7, vcc, v21, v3, vcc
	v_mad_u64_u32 v[21:22], s[0:1], v5, s39, 0
	v_mul_hi_u32 v9, v5, s61
	v_xor_b32_e32 v7, v7, v3
	v_mad_u64_u32 v[26:27], s[0:1], v7, s39, 0
	v_add_co_u32_e32 v9, vcc, v9, v21
	v_addc_co_u32_e32 v11, vcc, 0, v22, vcc
	v_mad_u64_u32 v[21:22], s[0:1], v7, s61, 0
	v_xor_b32_e32 v3, s38, v3
	v_add_co_u32_e32 v9, vcc, v9, v21
	v_addc_co_u32_e32 v9, vcc, v11, v22, vcc
	v_addc_co_u32_e32 v11, vcc, 0, v27, vcc
	v_add_co_u32_e32 v9, vcc, v9, v26
	v_addc_co_u32_e32 v11, vcc, 0, v11, vcc
	v_mul_lo_u32 v13, s41, v9
	v_mul_lo_u32 v15, s40, v11
	v_mad_u64_u32 v[21:22], s[0:1], s40, v9, 0
	v_add3_u32 v13, v22, v15, v13
	v_sub_u32_e32 v15, v7, v13
	v_sub_co_u32_e32 v5, vcc, v5, v21
	v_subb_co_u32_e64 v15, s[0:1], v15, v17, vcc
	v_subrev_co_u32_e64 v17, s[0:1], s40, v5
	v_subbrev_co_u32_e64 v15, s[0:1], 0, v15, s[0:1]
	v_cmp_le_u32_e64 s[0:1], s41, v15
	v_cndmask_b32_e64 v19, 0, -1, s[0:1]
	v_cmp_le_u32_e64 s[0:1], s40, v17
	v_cndmask_b32_e64 v17, 0, -1, s[0:1]
	v_cmp_eq_u32_e64 s[0:1], s41, v15
	v_cndmask_b32_e64 v15, v19, v17, s[0:1]
	v_add_co_u32_e64 v17, s[0:1], 2, v9
	v_subb_co_u32_e32 v7, vcc, v7, v13, vcc
	v_addc_co_u32_e64 v19, s[0:1], 0, v11, s[0:1]
	v_cmp_le_u32_e32 vcc, s41, v7
	v_add_co_u32_e64 v21, s[0:1], 1, v9
	v_cndmask_b32_e64 v13, 0, -1, vcc
	v_cmp_le_u32_e32 vcc, s40, v5
	v_addc_co_u32_e64 v22, s[0:1], 0, v11, s[0:1]
	v_cndmask_b32_e64 v5, 0, -1, vcc
	v_cmp_eq_u32_e32 vcc, s41, v7
	v_cmp_ne_u32_e64 s[0:1], 0, v15
	v_cndmask_b32_e32 v5, v13, v5, vcc
	v_cmp_ne_u32_e32 vcc, 0, v5
	v_cndmask_b32_e64 v7, v21, v17, s[0:1]
	v_cndmask_b32_e64 v15, v22, v19, s[0:1]
	v_cndmask_b32_e32 v7, v9, v7, vcc
	v_cndmask_b32_e32 v5, v11, v15, vcc
	v_xor_b32_e32 v7, v7, v3
	v_xor_b32_e32 v5, v5, v3
	v_sub_co_u32_e32 v22, vcc, v7, v3
	v_subb_co_u32_e32 v23, vcc, v5, v3, vcc
.LBB96_53:                              ;   in Loop: Header=BB96_23 Depth=2
	s_andn2_saveexec_b64 s[0:1], s[36:37]
	s_cbranch_execz .LBB96_55
; %bb.54:                               ;   in Loop: Header=BB96_23 Depth=2
	v_cvt_f32_u32_e32 v3, s60
	s_sub_i32 s36, 0, s60
	v_mov_b32_e32 v23, v2
	v_rcp_iflag_f32_e32 v3, v3
	v_mul_f32_e32 v3, 0x4f7ffffe, v3
	v_cvt_u32_f32_e32 v3, v3
	v_mul_lo_u32 v5, s36, v3
	v_mul_hi_u32 v5, v3, v5
	v_add_u32_e32 v3, v3, v5
	v_mul_hi_u32 v3, v20, v3
	v_mul_lo_u32 v5, v3, s60
	v_add_u32_e32 v7, 1, v3
	v_sub_u32_e32 v5, v20, v5
	v_subrev_u32_e32 v9, s60, v5
	v_cmp_le_u32_e32 vcc, s60, v5
	v_cndmask_b32_e32 v5, v5, v9, vcc
	v_cndmask_b32_e32 v3, v3, v7, vcc
	v_add_u32_e32 v7, 1, v3
	v_cmp_le_u32_e32 vcc, s60, v5
	v_cndmask_b32_e32 v22, v3, v7, vcc
.LBB96_55:                              ;   in Loop: Header=BB96_23 Depth=2
	s_or_b64 exec, exec, s[0:1]
	v_mul_lo_u32 v3, v8, s25
	v_mul_lo_u32 v5, v10, s50
	;; [unrolled: 1-line block ×3, first 2 shown]
	s_add_u32 s0, s4, s34
	v_sub_u32_e32 v3, v6, v3
	v_mul_lo_u32 v6, v14, s54
	v_sub_u32_e32 v5, v8, v5
	v_mul_lo_u32 v3, s28, v3
	v_mul_lo_u32 v5, s51, v5
	v_sub_u32_e32 v7, v10, v7
	v_sub_u32_e32 v6, v12, v6
	v_mul_lo_u32 v7, s53, v7
	v_mul_lo_u32 v6, s56, v6
	;; [unrolled: 1-line block ×3, first 2 shown]
	v_add3_u32 v3, v3, v4, v5
	v_mul_lo_u32 v4, v18, s58
	s_addc_u32 s1, s5, s35
	v_add3_u32 v3, v7, v3, v6
	v_mul_lo_u32 v6, v20, s59
	v_mul_lo_u32 v7, v22, s60
	s_load_dword s0, s[0:1], 0x6c
	v_sub_u32_e32 v5, v14, v8
	v_sub_u32_e32 v4, v16, v4
	v_mul_lo_u32 v5, s57, v5
	v_mul_lo_u32 v4, s16, v4
	v_sub_u32_e32 v6, v18, v6
	v_sub_u32_e32 v7, v20, v7
	v_mul_lo_u32 v6, s31, v6
	s_waitcnt lgkmcnt(0)
	v_mul_lo_u32 v7, s0, v7
	v_add3_u32 v3, v5, v3, v4
	s_add_i32 s30, s30, -8
	s_cmp_eq_u32 s30, -8
	v_add3_u32 v4, v6, v3, v7
	s_cbranch_scc1 .LBB96_57
; %bb.56:                               ;   in Loop: Header=BB96_23 Depth=2
	v_mov_b32_e32 v6, v22
	v_mov_b32_e32 v7, v23
	s_branch .LBB96_23
.LBB96_57:                              ;   in Loop: Header=BB96_3 Depth=1
	s_load_dword s16, s[2:3], 0x4
	s_waitcnt lgkmcnt(0)
	v_cmp_gt_i32_e32 vcc, s16, v25
	s_and_b64 exec, exec, vcc
	s_cbranch_execz .LBB96_2
; %bb.58:                               ;   in Loop: Header=BB96_3 Depth=1
	v_ashrrev_i32_e32 v5, 31, v4
	v_lshlrev_b64 v[5:6], 1, v[4:5]
	v_mov_b32_e32 v3, s13
	v_add_co_u32_e32 v5, vcc, s12, v5
	v_addc_co_u32_e32 v6, vcc, v3, v6, vcc
	v_add_u32_e32 v3, 1, v25
	v_cmp_gt_i32_e32 vcc, s16, v3
	global_store_short v[5:6], v2, off
	s_and_b64 exec, exec, vcc
	s_cbranch_execz .LBB96_2
; %bb.59:                               ;   in Loop: Header=BB96_3 Depth=1
	v_sub_u32_e32 v5, v3, v24
	v_ashrrev_i32_e32 v6, 31, v5
	v_cmp_gt_i64_e32 vcc, s[8:9], v[5:6]
	s_and_saveexec_b64 s[0:1], vcc
	s_cbranch_execz .LBB96_61
; %bb.60:                               ;   in Loop: Header=BB96_3 Depth=1
	v_add_u32_e32 v5, s29, v4
	v_ashrrev_i32_e32 v6, 31, v5
	v_lshlrev_b64 v[5:6], 1, v[5:6]
	v_mov_b32_e32 v3, s13
	v_add_co_u32_e32 v5, vcc, s12, v5
	v_addc_co_u32_e32 v6, vcc, v3, v6, vcc
	global_store_short v[5:6], v2, off
.LBB96_61:                              ;   in Loop: Header=BB96_3 Depth=1
	s_or_b64 exec, exec, s[0:1]
	v_add_u32_e32 v3, 2, v25
	v_cmp_gt_i32_e32 vcc, s16, v3
	s_and_b64 exec, exec, vcc
	s_cbranch_execz .LBB96_2
; %bb.62:                               ;   in Loop: Header=BB96_3 Depth=1
	v_sub_u32_e32 v5, v3, v24
	v_ashrrev_i32_e32 v6, 31, v5
	v_cmp_gt_i64_e32 vcc, s[8:9], v[5:6]
	s_and_saveexec_b64 s[0:1], vcc
	s_cbranch_execz .LBB96_64
; %bb.63:                               ;   in Loop: Header=BB96_3 Depth=1
	v_lshl_add_u32 v5, s29, 1, v4
	v_ashrrev_i32_e32 v6, 31, v5
	v_lshlrev_b64 v[5:6], 1, v[5:6]
	v_mov_b32_e32 v3, s13
	v_add_co_u32_e32 v5, vcc, s12, v5
	v_addc_co_u32_e32 v6, vcc, v3, v6, vcc
	global_store_short v[5:6], v2, off
.LBB96_64:                              ;   in Loop: Header=BB96_3 Depth=1
	s_or_b64 exec, exec, s[0:1]
	v_add_u32_e32 v3, 3, v25
	v_cmp_gt_i32_e32 vcc, s16, v3
	s_and_b64 exec, exec, vcc
	s_cbranch_execz .LBB96_2
; %bb.65:                               ;   in Loop: Header=BB96_3 Depth=1
	v_sub_u32_e32 v5, v3, v24
	v_ashrrev_i32_e32 v6, 31, v5
	v_cmp_gt_i64_e32 vcc, s[8:9], v[5:6]
	s_and_b64 exec, exec, vcc
	s_cbranch_execz .LBB96_2
; %bb.66:                               ;   in Loop: Header=BB96_3 Depth=1
	v_mad_u64_u32 v[3:4], s[0:1], s29, 3, v[4:5]
	v_mov_b32_e32 v5, s13
	v_ashrrev_i32_e32 v4, 31, v3
	v_lshlrev_b64 v[3:4], 1, v[3:4]
	v_add_co_u32_e32 v3, vcc, s12, v3
	v_addc_co_u32_e32 v4, vcc, v5, v4, vcc
	global_store_short v[3:4], v2, off
	s_branch .LBB96_2
.LBB96_67:
	s_endpgm
	.section	.rodata,"a",@progbits
	.p2align	6, 0x0
	.amdhsa_kernel _ZN2at6native16triu_tril_kernelIN3c108BFloat16EiLb1ELi4ELb1EEEvNS_4cuda6detail10TensorInfoIT_T0_EENS6_IKS7_S8_EEllS8_
		.amdhsa_group_segment_fixed_size 0
		.amdhsa_private_segment_fixed_size 0
		.amdhsa_kernarg_size 712
		.amdhsa_user_sgpr_count 6
		.amdhsa_user_sgpr_private_segment_buffer 1
		.amdhsa_user_sgpr_dispatch_ptr 0
		.amdhsa_user_sgpr_queue_ptr 0
		.amdhsa_user_sgpr_kernarg_segment_ptr 1
		.amdhsa_user_sgpr_dispatch_id 0
		.amdhsa_user_sgpr_flat_scratch_init 0
		.amdhsa_user_sgpr_private_segment_size 0
		.amdhsa_uses_dynamic_stack 0
		.amdhsa_system_sgpr_private_segment_wavefront_offset 0
		.amdhsa_system_sgpr_workgroup_id_x 1
		.amdhsa_system_sgpr_workgroup_id_y 0
		.amdhsa_system_sgpr_workgroup_id_z 0
		.amdhsa_system_sgpr_workgroup_info 0
		.amdhsa_system_vgpr_workitem_id 0
		.amdhsa_next_free_vgpr 28
		.amdhsa_next_free_sgpr 68
		.amdhsa_reserve_vcc 1
		.amdhsa_reserve_flat_scratch 0
		.amdhsa_float_round_mode_32 0
		.amdhsa_float_round_mode_16_64 0
		.amdhsa_float_denorm_mode_32 3
		.amdhsa_float_denorm_mode_16_64 3
		.amdhsa_dx10_clamp 1
		.amdhsa_ieee_mode 1
		.amdhsa_fp16_overflow 0
		.amdhsa_exception_fp_ieee_invalid_op 0
		.amdhsa_exception_fp_denorm_src 0
		.amdhsa_exception_fp_ieee_div_zero 0
		.amdhsa_exception_fp_ieee_overflow 0
		.amdhsa_exception_fp_ieee_underflow 0
		.amdhsa_exception_fp_ieee_inexact 0
		.amdhsa_exception_int_div_zero 0
	.end_amdhsa_kernel
	.section	.text._ZN2at6native16triu_tril_kernelIN3c108BFloat16EiLb1ELi4ELb1EEEvNS_4cuda6detail10TensorInfoIT_T0_EENS6_IKS7_S8_EEllS8_,"axG",@progbits,_ZN2at6native16triu_tril_kernelIN3c108BFloat16EiLb1ELi4ELb1EEEvNS_4cuda6detail10TensorInfoIT_T0_EENS6_IKS7_S8_EEllS8_,comdat
.Lfunc_end96:
	.size	_ZN2at6native16triu_tril_kernelIN3c108BFloat16EiLb1ELi4ELb1EEEvNS_4cuda6detail10TensorInfoIT_T0_EENS6_IKS7_S8_EEllS8_, .Lfunc_end96-_ZN2at6native16triu_tril_kernelIN3c108BFloat16EiLb1ELi4ELb1EEEvNS_4cuda6detail10TensorInfoIT_T0_EENS6_IKS7_S8_EEllS8_
                                        ; -- End function
	.set _ZN2at6native16triu_tril_kernelIN3c108BFloat16EiLb1ELi4ELb1EEEvNS_4cuda6detail10TensorInfoIT_T0_EENS6_IKS7_S8_EEllS8_.num_vgpr, 28
	.set _ZN2at6native16triu_tril_kernelIN3c108BFloat16EiLb1ELi4ELb1EEEvNS_4cuda6detail10TensorInfoIT_T0_EENS6_IKS7_S8_EEllS8_.num_agpr, 0
	.set _ZN2at6native16triu_tril_kernelIN3c108BFloat16EiLb1ELi4ELb1EEEvNS_4cuda6detail10TensorInfoIT_T0_EENS6_IKS7_S8_EEllS8_.numbered_sgpr, 68
	.set _ZN2at6native16triu_tril_kernelIN3c108BFloat16EiLb1ELi4ELb1EEEvNS_4cuda6detail10TensorInfoIT_T0_EENS6_IKS7_S8_EEllS8_.num_named_barrier, 0
	.set _ZN2at6native16triu_tril_kernelIN3c108BFloat16EiLb1ELi4ELb1EEEvNS_4cuda6detail10TensorInfoIT_T0_EENS6_IKS7_S8_EEllS8_.private_seg_size, 0
	.set _ZN2at6native16triu_tril_kernelIN3c108BFloat16EiLb1ELi4ELb1EEEvNS_4cuda6detail10TensorInfoIT_T0_EENS6_IKS7_S8_EEllS8_.uses_vcc, 1
	.set _ZN2at6native16triu_tril_kernelIN3c108BFloat16EiLb1ELi4ELb1EEEvNS_4cuda6detail10TensorInfoIT_T0_EENS6_IKS7_S8_EEllS8_.uses_flat_scratch, 0
	.set _ZN2at6native16triu_tril_kernelIN3c108BFloat16EiLb1ELi4ELb1EEEvNS_4cuda6detail10TensorInfoIT_T0_EENS6_IKS7_S8_EEllS8_.has_dyn_sized_stack, 0
	.set _ZN2at6native16triu_tril_kernelIN3c108BFloat16EiLb1ELi4ELb1EEEvNS_4cuda6detail10TensorInfoIT_T0_EENS6_IKS7_S8_EEllS8_.has_recursion, 0
	.set _ZN2at6native16triu_tril_kernelIN3c108BFloat16EiLb1ELi4ELb1EEEvNS_4cuda6detail10TensorInfoIT_T0_EENS6_IKS7_S8_EEllS8_.has_indirect_call, 0
	.section	.AMDGPU.csdata,"",@progbits
; Kernel info:
; codeLenInByte = 9476
; TotalNumSgprs: 72
; NumVgprs: 28
; ScratchSize: 0
; MemoryBound: 0
; FloatMode: 240
; IeeeMode: 1
; LDSByteSize: 0 bytes/workgroup (compile time only)
; SGPRBlocks: 8
; VGPRBlocks: 6
; NumSGPRsForWavesPerEU: 72
; NumVGPRsForWavesPerEU: 28
; Occupancy: 9
; WaveLimiterHint : 0
; COMPUTE_PGM_RSRC2:SCRATCH_EN: 0
; COMPUTE_PGM_RSRC2:USER_SGPR: 6
; COMPUTE_PGM_RSRC2:TRAP_HANDLER: 0
; COMPUTE_PGM_RSRC2:TGID_X_EN: 1
; COMPUTE_PGM_RSRC2:TGID_Y_EN: 0
; COMPUTE_PGM_RSRC2:TGID_Z_EN: 0
; COMPUTE_PGM_RSRC2:TIDIG_COMP_CNT: 0
	.section	.text._ZN2at6native16triu_tril_kernelIN3c108BFloat16EiLb1ELi4ELb0EEEvNS_4cuda6detail10TensorInfoIT_T0_EENS6_IKS7_S8_EEllS8_,"axG",@progbits,_ZN2at6native16triu_tril_kernelIN3c108BFloat16EiLb1ELi4ELb0EEEvNS_4cuda6detail10TensorInfoIT_T0_EENS6_IKS7_S8_EEllS8_,comdat
	.protected	_ZN2at6native16triu_tril_kernelIN3c108BFloat16EiLb1ELi4ELb0EEEvNS_4cuda6detail10TensorInfoIT_T0_EENS6_IKS7_S8_EEllS8_ ; -- Begin function _ZN2at6native16triu_tril_kernelIN3c108BFloat16EiLb1ELi4ELb0EEEvNS_4cuda6detail10TensorInfoIT_T0_EENS6_IKS7_S8_EEllS8_
	.globl	_ZN2at6native16triu_tril_kernelIN3c108BFloat16EiLb1ELi4ELb0EEEvNS_4cuda6detail10TensorInfoIT_T0_EENS6_IKS7_S8_EEllS8_
	.p2align	8
	.type	_ZN2at6native16triu_tril_kernelIN3c108BFloat16EiLb1ELi4ELb0EEEvNS_4cuda6detail10TensorInfoIT_T0_EENS6_IKS7_S8_EEllS8_,@function
_ZN2at6native16triu_tril_kernelIN3c108BFloat16EiLb1ELi4ELb0EEEvNS_4cuda6detail10TensorInfoIT_T0_EENS6_IKS7_S8_EEllS8_: ; @_ZN2at6native16triu_tril_kernelIN3c108BFloat16EiLb1ELi4ELb0EEEvNS_4cuda6detail10TensorInfoIT_T0_EENS6_IKS7_S8_EEllS8_
; %bb.0:
	s_load_dword s2, s[4:5], 0x1d4
	s_load_dwordx4 s[8:11], s[4:5], 0x1b0
	s_add_u32 s0, s4, 0x1c8
	v_mov_b32_e32 v2, 0
	s_addc_u32 s1, s5, 0
	s_waitcnt lgkmcnt(0)
	s_and_b32 s12, s2, 0xffff
	v_mov_b32_e32 v1, v2
	v_mov_b32_e32 v3, s6
	v_mad_u64_u32 v[0:1], s[2:3], s12, v3, v[0:1]
	v_lshlrev_b64 v[0:1], 2, v[0:1]
	v_cmp_gt_i64_e32 vcc, s[10:11], v[0:1]
	s_and_saveexec_b64 s[2:3], vcc
	s_cbranch_execz .LBB97_54
; %bb.1:
	s_load_dword s33, s[4:5], 0x1c0
	s_load_dwordx2 s[2:3], s[4:5], 0xd8
	s_load_dwordx2 s[18:19], s[4:5], 0x0
	s_load_dword s20, s[4:5], 0x1a8
	s_load_dword s13, s[0:1], 0x0
	s_add_u32 s46, s4, 0xd8
	s_addc_u32 s47, s5, 0
	s_waitcnt lgkmcnt(0)
	s_ashr_i32 s48, s33, 31
	s_ashr_i32 s21, s20, 31
	s_lshl_b64 s[0:1], s[20:21], 2
	s_add_u32 s16, s46, s0
	s_addc_u32 s17, s47, s1
	s_load_dwordx2 s[6:7], s[16:17], 0x0
	s_load_dwordx2 s[14:15], s[16:17], 0x64
	s_mul_i32 s22, s13, s12
	v_cmp_gt_i64_e64 s[12:13], s[20:21], 2
	s_mov_b32 s21, 0
	s_waitcnt lgkmcnt(0)
	s_ashr_i32 s49, s6, 31
	s_add_u32 s0, s4, s0
	s_addc_u32 s1, s5, s1
	s_load_dwordx2 s[16:17], s[0:1], 0x64
	s_add_i32 s50, s20, -3
	s_lshl_b32 s51, s22, 2
	s_and_b32 s52, s20, 3
	s_cmp_lg_u32 s52, 2
	s_cselect_b64 s[22:23], -1, 0
	s_cmp_gt_u32 s50, 2
	s_cselect_b64 s[24:25], -1, 0
	s_ashr_i32 s27, s15, 31
	s_mov_b32 s26, s15
	s_add_i32 s15, s15, s15
	s_waitcnt lgkmcnt(0)
	s_ashr_i32 s29, s17, 31
	s_mov_b32 s28, s17
	s_add_i32 s17, s17, s17
	s_mov_b64 s[30:31], 0
	s_ashr_i32 s34, s48, 31
	s_branch .LBB97_3
.LBB97_2:                               ;   in Loop: Header=BB97_3 Depth=1
	s_or_b64 exec, exec, s[0:1]
	v_add_co_u32_e32 v0, vcc, s51, v0
	v_addc_co_u32_e32 v1, vcc, 0, v1, vcc
	v_cmp_le_i64_e32 vcc, s[10:11], v[0:1]
	s_or_b64 s[30:31], vcc, s[30:31]
	s_andn2_b64 exec, exec, s[30:31]
	s_cbranch_execz .LBB97_54
.LBB97_3:                               ; =>This Loop Header: Depth=1
                                        ;     Child Loop BB97_13 Depth 2
                                        ;     Child Loop BB97_21 Depth 2
	v_or_b32_e32 v3, s48, v1
	v_cmp_ne_u64_e32 vcc, 0, v[2:3]
                                        ; implicit-def: $vgpr4_vgpr5
	s_and_saveexec_b64 s[0:1], vcc
	s_xor_b64 s[36:37], exec, s[0:1]
	s_cbranch_execz .LBB97_5
; %bb.4:                                ;   in Loop: Header=BB97_3 Depth=1
	s_add_u32 s0, s33, s34
	s_mov_b32 s35, s34
	s_addc_u32 s1, s48, s34
	s_xor_b64 s[38:39], s[0:1], s[34:35]
	v_cvt_f32_u32_e32 v3, s38
	v_cvt_f32_u32_e32 v4, s39
	s_sub_u32 s20, 0, s38
	s_subb_u32 s35, 0, s39
	v_ashrrev_i32_e32 v7, 31, v1
	v_mac_f32_e32 v3, 0x4f800000, v4
	v_rcp_f32_e32 v3, v3
	v_mul_f32_e32 v3, 0x5f7ffffc, v3
	v_mul_f32_e32 v4, 0x2f800000, v3
	v_trunc_f32_e32 v4, v4
	v_mac_f32_e32 v3, 0xcf800000, v4
	v_cvt_u32_f32_e32 v4, v4
	v_cvt_u32_f32_e32 v3, v3
	v_readfirstlane_b32 s40, v4
	v_readfirstlane_b32 s0, v3
	s_mul_i32 s1, s20, s40
	s_mul_hi_u32 s42, s20, s0
	s_mul_i32 s41, s35, s0
	s_add_i32 s1, s42, s1
	s_add_i32 s1, s1, s41
	s_mul_i32 s43, s20, s0
	s_mul_i32 s42, s0, s1
	s_mul_hi_u32 s44, s0, s43
	s_mul_hi_u32 s41, s0, s1
	s_add_u32 s42, s44, s42
	s_addc_u32 s41, 0, s41
	s_mul_hi_u32 s45, s40, s43
	s_mul_i32 s43, s40, s43
	s_add_u32 s42, s42, s43
	s_mul_hi_u32 s44, s40, s1
	s_addc_u32 s41, s41, s45
	s_addc_u32 s42, s44, 0
	s_mul_i32 s1, s40, s1
	s_add_u32 s1, s41, s1
	s_addc_u32 s41, 0, s42
	s_add_u32 s42, s0, s1
	s_cselect_b64 s[0:1], -1, 0
	s_cmp_lg_u64 s[0:1], 0
	s_addc_u32 s40, s40, s41
	s_mul_i32 s0, s20, s40
	s_mul_hi_u32 s1, s20, s42
	s_add_i32 s0, s1, s0
	s_mul_i32 s35, s35, s42
	s_add_i32 s0, s0, s35
	s_mul_i32 s20, s20, s42
	s_mul_hi_u32 s35, s40, s20
	s_mul_i32 s41, s40, s20
	s_mul_i32 s44, s42, s0
	s_mul_hi_u32 s20, s42, s20
	s_mul_hi_u32 s43, s42, s0
	s_add_u32 s20, s20, s44
	s_addc_u32 s43, 0, s43
	s_add_u32 s20, s20, s41
	s_mul_hi_u32 s1, s40, s0
	s_addc_u32 s20, s43, s35
	s_addc_u32 s1, s1, 0
	s_mul_i32 s0, s40, s0
	s_add_u32 s0, s20, s0
	s_addc_u32 s20, 0, s1
	s_add_u32 s35, s42, s0
	s_cselect_b64 s[0:1], -1, 0
	s_cmp_lg_u64 s[0:1], 0
	v_add_co_u32_e32 v3, vcc, v0, v7
	s_addc_u32 s20, s40, s20
	v_xor_b32_e32 v8, v3, v7
	v_mad_u64_u32 v[3:4], s[0:1], v8, s20, 0
	v_mul_hi_u32 v6, v8, s35
	v_addc_co_u32_e32 v5, vcc, v1, v7, vcc
	v_xor_b32_e32 v9, v5, v7
	v_add_co_u32_e32 v10, vcc, v6, v3
	v_addc_co_u32_e32 v11, vcc, 0, v4, vcc
	v_mad_u64_u32 v[3:4], s[0:1], v9, s35, 0
	v_mad_u64_u32 v[5:6], s[0:1], v9, s20, 0
	v_add_co_u32_e32 v3, vcc, v10, v3
	v_addc_co_u32_e32 v3, vcc, v11, v4, vcc
	v_addc_co_u32_e32 v4, vcc, 0, v6, vcc
	v_add_co_u32_e32 v5, vcc, v3, v5
	v_addc_co_u32_e32 v6, vcc, 0, v4, vcc
	v_mul_lo_u32 v10, s39, v5
	v_mul_lo_u32 v11, s38, v6
	v_mad_u64_u32 v[3:4], s[0:1], s38, v5, 0
	v_add3_u32 v4, v4, v11, v10
	v_sub_u32_e32 v10, v9, v4
	v_mov_b32_e32 v11, s39
	v_sub_co_u32_e32 v3, vcc, v8, v3
	v_subb_co_u32_e64 v8, s[0:1], v10, v11, vcc
	v_subrev_co_u32_e64 v10, s[0:1], s38, v3
	v_subbrev_co_u32_e64 v8, s[0:1], 0, v8, s[0:1]
	v_cmp_le_u32_e64 s[0:1], s39, v8
	v_cndmask_b32_e64 v11, 0, -1, s[0:1]
	v_cmp_le_u32_e64 s[0:1], s38, v10
	v_cndmask_b32_e64 v10, 0, -1, s[0:1]
	v_cmp_eq_u32_e64 s[0:1], s39, v8
	v_cndmask_b32_e64 v8, v11, v10, s[0:1]
	v_add_co_u32_e64 v10, s[0:1], 2, v5
	v_subb_co_u32_e32 v4, vcc, v9, v4, vcc
	v_addc_co_u32_e64 v11, s[0:1], 0, v6, s[0:1]
	v_cmp_le_u32_e32 vcc, s39, v4
	v_add_co_u32_e64 v12, s[0:1], 1, v5
	v_cndmask_b32_e64 v9, 0, -1, vcc
	v_cmp_le_u32_e32 vcc, s38, v3
	v_addc_co_u32_e64 v13, s[0:1], 0, v6, s[0:1]
	v_cndmask_b32_e64 v3, 0, -1, vcc
	v_cmp_eq_u32_e32 vcc, s39, v4
	v_cmp_ne_u32_e64 s[0:1], 0, v8
	v_cndmask_b32_e32 v3, v9, v3, vcc
	v_cmp_ne_u32_e32 vcc, 0, v3
	v_cndmask_b32_e64 v4, v12, v10, s[0:1]
	v_cndmask_b32_e64 v8, v13, v11, s[0:1]
	v_cndmask_b32_e32 v4, v5, v4, vcc
	v_xor_b32_e32 v5, s34, v7
	v_cndmask_b32_e32 v3, v6, v8, vcc
	v_xor_b32_e32 v4, v4, v5
	v_xor_b32_e32 v3, v3, v5
	v_sub_co_u32_e32 v4, vcc, v4, v5
	v_subb_co_u32_e32 v5, vcc, v3, v5, vcc
.LBB97_5:                               ;   in Loop: Header=BB97_3 Depth=1
	s_andn2_saveexec_b64 s[0:1], s[36:37]
	s_cbranch_execz .LBB97_7
; %bb.6:                                ;   in Loop: Header=BB97_3 Depth=1
	v_cvt_f32_u32_e32 v3, s33
	s_sub_i32 s20, 0, s33
	v_rcp_iflag_f32_e32 v3, v3
	v_mul_f32_e32 v3, 0x4f7ffffe, v3
	v_cvt_u32_f32_e32 v3, v3
	v_mul_lo_u32 v4, s20, v3
	v_mul_hi_u32 v4, v3, v4
	v_add_u32_e32 v3, v3, v4
	v_mul_hi_u32 v3, v0, v3
	v_mul_lo_u32 v4, v3, s33
	v_add_u32_e32 v5, 1, v3
	v_sub_u32_e32 v4, v0, v4
	v_subrev_u32_e32 v6, s33, v4
	v_cmp_le_u32_e32 vcc, s33, v4
	v_cndmask_b32_e32 v4, v4, v6, vcc
	v_cndmask_b32_e32 v3, v3, v5, vcc
	v_add_u32_e32 v5, 1, v3
	v_cmp_le_u32_e32 vcc, s33, v4
	v_cndmask_b32_e32 v4, v3, v5, vcc
	v_mov_b32_e32 v5, v2
.LBB97_7:                               ;   in Loop: Header=BB97_3 Depth=1
	s_or_b64 exec, exec, s[0:1]
	v_or_b32_e32 v3, s49, v5
	v_cmp_ne_u64_e32 vcc, 0, v[2:3]
                                        ; implicit-def: $vgpr8_vgpr9
	s_and_saveexec_b64 s[0:1], vcc
	s_xor_b64 s[36:37], exec, s[0:1]
	s_cbranch_execz .LBB97_9
; %bb.8:                                ;   in Loop: Header=BB97_3 Depth=1
	s_ashr_i32 s38, s49, 31
	s_add_u32 s0, s6, s38
	s_mov_b32 s39, s38
	s_addc_u32 s1, s49, s38
	s_xor_b64 s[40:41], s[0:1], s[38:39]
	v_cvt_f32_u32_e32 v3, s40
	v_cvt_f32_u32_e32 v6, s41
	s_sub_u32 s20, 0, s40
	s_subb_u32 s35, 0, s41
	v_mac_f32_e32 v3, 0x4f800000, v6
	v_rcp_f32_e32 v3, v3
	v_mul_f32_e32 v3, 0x5f7ffffc, v3
	v_mul_f32_e32 v6, 0x2f800000, v3
	v_trunc_f32_e32 v6, v6
	v_mac_f32_e32 v3, 0xcf800000, v6
	v_cvt_u32_f32_e32 v6, v6
	v_cvt_u32_f32_e32 v3, v3
	v_readfirstlane_b32 s39, v6
	v_readfirstlane_b32 s0, v3
	s_mul_i32 s1, s20, s39
	s_mul_hi_u32 s43, s20, s0
	s_mul_i32 s42, s35, s0
	s_add_i32 s1, s43, s1
	s_add_i32 s1, s1, s42
	s_mul_i32 s44, s20, s0
	s_mul_i32 s43, s0, s1
	s_mul_hi_u32 s45, s0, s44
	s_mul_hi_u32 s42, s0, s1
	s_add_u32 s43, s45, s43
	s_addc_u32 s42, 0, s42
	s_mul_hi_u32 s53, s39, s44
	s_mul_i32 s44, s39, s44
	s_add_u32 s43, s43, s44
	s_mul_hi_u32 s45, s39, s1
	s_addc_u32 s42, s42, s53
	s_addc_u32 s43, s45, 0
	s_mul_i32 s1, s39, s1
	s_add_u32 s1, s42, s1
	s_addc_u32 s42, 0, s43
	s_add_u32 s43, s0, s1
	s_cselect_b64 s[0:1], -1, 0
	s_cmp_lg_u64 s[0:1], 0
	s_addc_u32 s39, s39, s42
	s_mul_i32 s0, s20, s39
	s_mul_hi_u32 s1, s20, s43
	s_add_i32 s0, s1, s0
	s_mul_i32 s35, s35, s43
	s_add_i32 s0, s0, s35
	s_mul_i32 s20, s20, s43
	s_mul_hi_u32 s35, s39, s20
	s_mul_i32 s42, s39, s20
	s_mul_i32 s45, s43, s0
	s_mul_hi_u32 s20, s43, s20
	s_mul_hi_u32 s44, s43, s0
	s_add_u32 s20, s20, s45
	s_addc_u32 s44, 0, s44
	s_add_u32 s20, s20, s42
	s_mul_hi_u32 s1, s39, s0
	s_addc_u32 s20, s44, s35
	s_addc_u32 s1, s1, 0
	s_mul_i32 s0, s39, s0
	s_add_u32 s0, s20, s0
	s_addc_u32 s20, 0, s1
	s_add_u32 s35, s43, s0
	s_cselect_b64 s[0:1], -1, 0
	v_ashrrev_i32_e32 v3, 31, v5
	s_cmp_lg_u64 s[0:1], 0
	v_add_co_u32_e32 v6, vcc, v4, v3
	s_addc_u32 s20, s39, s20
	v_xor_b32_e32 v9, v6, v3
	v_addc_co_u32_e32 v7, vcc, v5, v3, vcc
	v_mad_u64_u32 v[5:6], s[0:1], v9, s20, 0
	v_mul_hi_u32 v8, v9, s35
	v_xor_b32_e32 v10, v7, v3
	v_xor_b32_e32 v3, s38, v3
	v_add_co_u32_e32 v11, vcc, v8, v5
	v_addc_co_u32_e32 v12, vcc, 0, v6, vcc
	v_mad_u64_u32 v[5:6], s[0:1], v10, s35, 0
	v_mad_u64_u32 v[7:8], s[0:1], v10, s20, 0
	v_add_co_u32_e32 v5, vcc, v11, v5
	v_addc_co_u32_e32 v5, vcc, v12, v6, vcc
	v_addc_co_u32_e32 v6, vcc, 0, v8, vcc
	v_add_co_u32_e32 v7, vcc, v5, v7
	v_addc_co_u32_e32 v8, vcc, 0, v6, vcc
	v_mul_lo_u32 v11, s41, v7
	v_mul_lo_u32 v12, s40, v8
	v_mad_u64_u32 v[5:6], s[0:1], s40, v7, 0
	v_add3_u32 v6, v6, v12, v11
	v_sub_u32_e32 v11, v10, v6
	v_mov_b32_e32 v12, s41
	v_sub_co_u32_e32 v5, vcc, v9, v5
	v_subb_co_u32_e64 v9, s[0:1], v11, v12, vcc
	v_subrev_co_u32_e64 v11, s[0:1], s40, v5
	v_subbrev_co_u32_e64 v9, s[0:1], 0, v9, s[0:1]
	v_cmp_le_u32_e64 s[0:1], s41, v9
	v_cndmask_b32_e64 v12, 0, -1, s[0:1]
	v_cmp_le_u32_e64 s[0:1], s40, v11
	v_cndmask_b32_e64 v11, 0, -1, s[0:1]
	v_cmp_eq_u32_e64 s[0:1], s41, v9
	v_cndmask_b32_e64 v9, v12, v11, s[0:1]
	v_add_co_u32_e64 v11, s[0:1], 2, v7
	v_subb_co_u32_e32 v6, vcc, v10, v6, vcc
	v_addc_co_u32_e64 v12, s[0:1], 0, v8, s[0:1]
	v_cmp_le_u32_e32 vcc, s41, v6
	v_add_co_u32_e64 v13, s[0:1], 1, v7
	v_cndmask_b32_e64 v10, 0, -1, vcc
	v_cmp_le_u32_e32 vcc, s40, v5
	v_addc_co_u32_e64 v14, s[0:1], 0, v8, s[0:1]
	v_cndmask_b32_e64 v5, 0, -1, vcc
	v_cmp_eq_u32_e32 vcc, s41, v6
	v_cmp_ne_u32_e64 s[0:1], 0, v9
	v_cndmask_b32_e32 v5, v10, v5, vcc
	v_cmp_ne_u32_e32 vcc, 0, v5
	v_cndmask_b32_e64 v6, v13, v11, s[0:1]
	v_cndmask_b32_e64 v9, v14, v12, s[0:1]
	v_cndmask_b32_e32 v6, v7, v6, vcc
	v_cndmask_b32_e32 v5, v8, v9, vcc
	v_xor_b32_e32 v6, v6, v3
	v_xor_b32_e32 v5, v5, v3
	v_sub_co_u32_e32 v8, vcc, v6, v3
	v_subb_co_u32_e32 v9, vcc, v5, v3, vcc
.LBB97_9:                               ;   in Loop: Header=BB97_3 Depth=1
	s_andn2_saveexec_b64 s[0:1], s[36:37]
	s_cbranch_execz .LBB97_11
; %bb.10:                               ;   in Loop: Header=BB97_3 Depth=1
	v_cvt_f32_u32_e32 v3, s6
	s_sub_i32 s20, 0, s6
	v_mov_b32_e32 v9, v2
	v_rcp_iflag_f32_e32 v3, v3
	v_mul_f32_e32 v3, 0x4f7ffffe, v3
	v_cvt_u32_f32_e32 v3, v3
	v_mul_lo_u32 v5, s20, v3
	v_mul_hi_u32 v5, v3, v5
	v_add_u32_e32 v3, v3, v5
	v_mul_hi_u32 v3, v4, v3
	v_mul_lo_u32 v5, v3, s6
	v_add_u32_e32 v6, 1, v3
	v_sub_u32_e32 v5, v4, v5
	v_subrev_u32_e32 v7, s6, v5
	v_cmp_le_u32_e32 vcc, s6, v5
	v_cndmask_b32_e32 v5, v5, v7, vcc
	v_cndmask_b32_e32 v3, v3, v6, vcc
	v_add_u32_e32 v6, 1, v3
	v_cmp_le_u32_e32 vcc, s6, v5
	v_cndmask_b32_e32 v8, v3, v6, vcc
.LBB97_11:                              ;   in Loop: Header=BB97_3 Depth=1
	s_or_b64 exec, exec, s[0:1]
	v_mad_u64_u32 v[5:6], s[0:1], v4, s33, 0
	v_mad_u64_u32 v[6:7], s[0:1], v8, s6, 0
	v_sub_co_u32_e32 v18, vcc, v0, v5
	v_mul_lo_u32 v3, s26, v18
	v_sub_co_u32_e32 v19, vcc, v4, v6
	v_mul_lo_u32 v4, s28, v18
	s_andn2_b64 vcc, exec, s[12:13]
	v_mad_u64_u32 v[6:7], s[0:1], s14, v19, v[3:4]
	v_mad_u64_u32 v[4:5], s[0:1], s16, v19, v[4:5]
	s_cbranch_vccnz .LBB97_39
; %bb.12:                               ;   in Loop: Header=BB97_3 Depth=1
	s_mov_b32 s35, 1
	s_andn2_b64 vcc, exec, s[22:23]
	s_mov_b32 s20, s50
	s_mov_b32 s0, s50
	s_cbranch_vccnz .LBB97_20
.LBB97_13:                              ;   Parent Loop BB97_3 Depth=1
                                        ; =>  This Inner Loop Header: Depth=2
	s_lshl_b64 s[36:37], s[20:21], 2
	s_add_u32 s38, s46, s36
	s_addc_u32 s39, s47, s37
	s_load_dword s53, s[38:39], 0x8
                                        ; implicit-def: $vgpr10_vgpr11
	s_waitcnt lgkmcnt(0)
	s_ashr_i32 s0, s53, 31
	v_or_b32_e32 v3, s0, v9
	v_cmp_ne_u64_e32 vcc, 0, v[2:3]
	s_and_saveexec_b64 s[40:41], vcc
	s_xor_b64 s[40:41], exec, s[40:41]
	s_cbranch_execz .LBB97_15
; %bb.14:                               ;   in Loop: Header=BB97_13 Depth=2
	s_ashr_i32 s42, s0, 31
	s_add_u32 s44, s53, s42
	s_mov_b32 s43, s42
	s_addc_u32 s45, s0, s42
	s_xor_b64 s[44:45], s[44:45], s[42:43]
	v_cvt_f32_u32_e32 v3, s44
	v_cvt_f32_u32_e32 v5, s45
	s_sub_u32 s43, 0, s44
	s_subb_u32 s54, 0, s45
	v_mac_f32_e32 v3, 0x4f800000, v5
	v_rcp_f32_e32 v3, v3
	v_mul_f32_e32 v3, 0x5f7ffffc, v3
	v_mul_f32_e32 v5, 0x2f800000, v3
	v_trunc_f32_e32 v5, v5
	v_mac_f32_e32 v3, 0xcf800000, v5
	v_cvt_u32_f32_e32 v5, v5
	v_cvt_u32_f32_e32 v3, v3
	v_readfirstlane_b32 s55, v5
	v_readfirstlane_b32 s0, v3
	s_mul_i32 s1, s43, s55
	s_mul_hi_u32 s57, s43, s0
	s_mul_i32 s56, s54, s0
	s_add_i32 s1, s57, s1
	s_add_i32 s1, s1, s56
	s_mul_i32 s58, s43, s0
	s_mul_i32 s57, s0, s1
	s_mul_hi_u32 s59, s0, s58
	s_mul_hi_u32 s56, s0, s1
	s_add_u32 s57, s59, s57
	s_addc_u32 s56, 0, s56
	s_mul_hi_u32 s60, s55, s58
	s_mul_i32 s58, s55, s58
	s_add_u32 s57, s57, s58
	s_mul_hi_u32 s59, s55, s1
	s_addc_u32 s56, s56, s60
	s_addc_u32 s57, s59, 0
	s_mul_i32 s1, s55, s1
	s_add_u32 s1, s56, s1
	s_addc_u32 s56, 0, s57
	s_add_u32 s57, s0, s1
	s_cselect_b64 s[0:1], -1, 0
	s_cmp_lg_u64 s[0:1], 0
	s_addc_u32 s55, s55, s56
	s_mul_i32 s0, s43, s55
	s_mul_hi_u32 s1, s43, s57
	s_add_i32 s0, s1, s0
	s_mul_i32 s54, s54, s57
	s_add_i32 s0, s0, s54
	s_mul_i32 s43, s43, s57
	s_mul_hi_u32 s54, s55, s43
	s_mul_i32 s56, s55, s43
	s_mul_i32 s59, s57, s0
	s_mul_hi_u32 s43, s57, s43
	s_mul_hi_u32 s58, s57, s0
	s_add_u32 s43, s43, s59
	s_addc_u32 s58, 0, s58
	s_add_u32 s43, s43, s56
	s_mul_hi_u32 s1, s55, s0
	s_addc_u32 s43, s58, s54
	s_addc_u32 s1, s1, 0
	s_mul_i32 s0, s55, s0
	s_add_u32 s0, s43, s0
	s_addc_u32 s43, 0, s1
	s_add_u32 s54, s57, s0
	s_cselect_b64 s[0:1], -1, 0
	v_ashrrev_i32_e32 v3, 31, v9
	s_cmp_lg_u64 s[0:1], 0
	v_add_co_u32_e32 v5, vcc, v8, v3
	s_addc_u32 s43, s55, s43
	v_xor_b32_e32 v5, v5, v3
	v_addc_co_u32_e32 v7, vcc, v9, v3, vcc
	v_mad_u64_u32 v[9:10], s[0:1], v5, s43, 0
	v_mul_hi_u32 v11, v5, s54
	v_xor_b32_e32 v7, v7, v3
	v_xor_b32_e32 v3, s42, v3
	v_add_co_u32_e32 v13, vcc, v11, v9
	v_addc_co_u32_e32 v14, vcc, 0, v10, vcc
	v_mad_u64_u32 v[9:10], s[0:1], v7, s54, 0
	v_mad_u64_u32 v[11:12], s[0:1], v7, s43, 0
	v_add_co_u32_e32 v9, vcc, v13, v9
	v_addc_co_u32_e32 v9, vcc, v14, v10, vcc
	v_addc_co_u32_e32 v10, vcc, 0, v12, vcc
	v_add_co_u32_e32 v11, vcc, v9, v11
	v_addc_co_u32_e32 v12, vcc, 0, v10, vcc
	v_mul_lo_u32 v13, s45, v11
	v_mul_lo_u32 v14, s44, v12
	v_mad_u64_u32 v[9:10], s[0:1], s44, v11, 0
	v_add3_u32 v10, v10, v14, v13
	v_sub_u32_e32 v13, v7, v10
	v_mov_b32_e32 v14, s45
	v_sub_co_u32_e32 v5, vcc, v5, v9
	v_subb_co_u32_e64 v9, s[0:1], v13, v14, vcc
	v_subrev_co_u32_e64 v13, s[0:1], s44, v5
	v_subbrev_co_u32_e64 v9, s[0:1], 0, v9, s[0:1]
	v_cmp_le_u32_e64 s[0:1], s45, v9
	v_cndmask_b32_e64 v14, 0, -1, s[0:1]
	v_cmp_le_u32_e64 s[0:1], s44, v13
	v_cndmask_b32_e64 v13, 0, -1, s[0:1]
	v_cmp_eq_u32_e64 s[0:1], s45, v9
	v_cndmask_b32_e64 v9, v14, v13, s[0:1]
	v_add_co_u32_e64 v13, s[0:1], 2, v11
	v_subb_co_u32_e32 v7, vcc, v7, v10, vcc
	v_addc_co_u32_e64 v14, s[0:1], 0, v12, s[0:1]
	v_cmp_le_u32_e32 vcc, s45, v7
	v_add_co_u32_e64 v15, s[0:1], 1, v11
	v_cndmask_b32_e64 v10, 0, -1, vcc
	v_cmp_le_u32_e32 vcc, s44, v5
	v_addc_co_u32_e64 v16, s[0:1], 0, v12, s[0:1]
	v_cndmask_b32_e64 v5, 0, -1, vcc
	v_cmp_eq_u32_e32 vcc, s45, v7
	v_cmp_ne_u32_e64 s[0:1], 0, v9
	v_cndmask_b32_e32 v5, v10, v5, vcc
	v_cmp_ne_u32_e32 vcc, 0, v5
	v_cndmask_b32_e64 v7, v15, v13, s[0:1]
	v_cndmask_b32_e64 v9, v16, v14, s[0:1]
	v_cndmask_b32_e32 v7, v11, v7, vcc
	v_cndmask_b32_e32 v5, v12, v9, vcc
	v_xor_b32_e32 v7, v7, v3
	v_xor_b32_e32 v5, v5, v3
	v_sub_co_u32_e32 v10, vcc, v7, v3
	v_subb_co_u32_e32 v11, vcc, v5, v3, vcc
.LBB97_15:                              ;   in Loop: Header=BB97_13 Depth=2
	s_andn2_saveexec_b64 s[0:1], s[40:41]
	s_cbranch_execz .LBB97_17
; %bb.16:                               ;   in Loop: Header=BB97_13 Depth=2
	v_cvt_f32_u32_e32 v3, s53
	s_sub_i32 s40, 0, s53
	v_mov_b32_e32 v11, v2
	v_rcp_iflag_f32_e32 v3, v3
	v_mul_f32_e32 v3, 0x4f7ffffe, v3
	v_cvt_u32_f32_e32 v3, v3
	v_mul_lo_u32 v5, s40, v3
	v_mul_hi_u32 v5, v3, v5
	v_add_u32_e32 v3, v3, v5
	v_mul_hi_u32 v3, v8, v3
	v_mul_lo_u32 v5, v3, s53
	v_add_u32_e32 v7, 1, v3
	v_sub_u32_e32 v5, v8, v5
	v_subrev_u32_e32 v9, s53, v5
	v_cmp_le_u32_e32 vcc, s53, v5
	v_cndmask_b32_e32 v5, v5, v9, vcc
	v_cndmask_b32_e32 v3, v3, v7, vcc
	v_add_u32_e32 v7, 1, v3
	v_cmp_le_u32_e32 vcc, s53, v5
	v_cndmask_b32_e32 v10, v3, v7, vcc
.LBB97_17:                              ;   in Loop: Header=BB97_13 Depth=2
	s_or_b64 exec, exec, s[0:1]
	s_add_u32 s0, s4, s36
	s_addc_u32 s1, s5, s37
	v_mul_lo_u32 v3, v10, s53
	s_load_dword s38, s[38:39], 0x6c
	s_add_i32 s20, s20, -1
	s_load_dword s36, s[0:1], 0x6c
	v_sub_u32_e32 v3, v8, v3
	s_waitcnt lgkmcnt(0)
	v_mad_u64_u32 v[6:7], s[0:1], s38, v3, v[6:7]
	v_mad_u64_u32 v[4:5], s[0:1], s36, v3, v[4:5]
	s_xor_b32 s0, s52, s35
	s_add_i32 s35, s35, 1
	s_cmp_lg_u32 s0, 2
	s_cbranch_scc0 .LBB97_19
; %bb.18:                               ;   in Loop: Header=BB97_13 Depth=2
	v_mov_b32_e32 v8, v10
	v_mov_b32_e32 v9, v11
	s_branch .LBB97_13
.LBB97_19:                              ;   in Loop: Header=BB97_3 Depth=1
	v_mov_b32_e32 v8, v10
	s_mov_b32 s0, s20
	v_mov_b32_e32 v9, v11
.LBB97_20:                              ;   in Loop: Header=BB97_3 Depth=1
	s_and_b64 vcc, exec, s[24:25]
	s_mov_b32 s20, s0
	s_cbranch_vccz .LBB97_39
.LBB97_21:                              ;   Parent Loop BB97_3 Depth=1
                                        ; =>  This Inner Loop Header: Depth=2
	s_lshl_b64 s[36:37], s[20:21], 2
	s_add_u32 s38, s46, s36
	s_addc_u32 s39, s47, s37
	s_load_dword s35, s[38:39], 0x8
                                        ; implicit-def: $vgpr10_vgpr11
	s_waitcnt lgkmcnt(0)
	s_ashr_i32 s0, s35, 31
	v_or_b32_e32 v3, s0, v9
	v_cmp_ne_u64_e32 vcc, 0, v[2:3]
	s_and_saveexec_b64 s[40:41], vcc
	s_xor_b64 s[40:41], exec, s[40:41]
	s_cbranch_execz .LBB97_23
; %bb.22:                               ;   in Loop: Header=BB97_21 Depth=2
	s_ashr_i32 s42, s0, 31
	s_add_u32 s44, s35, s42
	s_mov_b32 s43, s42
	s_addc_u32 s45, s0, s42
	s_xor_b64 s[44:45], s[44:45], s[42:43]
	v_cvt_f32_u32_e32 v3, s44
	v_cvt_f32_u32_e32 v5, s45
	s_sub_u32 s43, 0, s44
	s_subb_u32 s53, 0, s45
	v_mac_f32_e32 v3, 0x4f800000, v5
	v_rcp_f32_e32 v3, v3
	v_mul_f32_e32 v3, 0x5f7ffffc, v3
	v_mul_f32_e32 v5, 0x2f800000, v3
	v_trunc_f32_e32 v5, v5
	v_mac_f32_e32 v3, 0xcf800000, v5
	v_cvt_u32_f32_e32 v5, v5
	v_cvt_u32_f32_e32 v3, v3
	v_readfirstlane_b32 s54, v5
	v_readfirstlane_b32 s0, v3
	s_mul_i32 s1, s43, s54
	s_mul_hi_u32 s56, s43, s0
	s_mul_i32 s55, s53, s0
	s_add_i32 s1, s56, s1
	s_add_i32 s1, s1, s55
	s_mul_i32 s57, s43, s0
	s_mul_i32 s56, s0, s1
	s_mul_hi_u32 s58, s0, s57
	s_mul_hi_u32 s55, s0, s1
	s_add_u32 s56, s58, s56
	s_addc_u32 s55, 0, s55
	s_mul_hi_u32 s59, s54, s57
	s_mul_i32 s57, s54, s57
	s_add_u32 s56, s56, s57
	s_mul_hi_u32 s58, s54, s1
	s_addc_u32 s55, s55, s59
	s_addc_u32 s56, s58, 0
	s_mul_i32 s1, s54, s1
	s_add_u32 s1, s55, s1
	s_addc_u32 s55, 0, s56
	s_add_u32 s56, s0, s1
	s_cselect_b64 s[0:1], -1, 0
	s_cmp_lg_u64 s[0:1], 0
	s_addc_u32 s54, s54, s55
	s_mul_i32 s0, s43, s54
	s_mul_hi_u32 s1, s43, s56
	s_add_i32 s0, s1, s0
	s_mul_i32 s53, s53, s56
	s_add_i32 s0, s0, s53
	s_mul_i32 s43, s43, s56
	s_mul_hi_u32 s53, s54, s43
	s_mul_i32 s55, s54, s43
	s_mul_i32 s58, s56, s0
	s_mul_hi_u32 s43, s56, s43
	s_mul_hi_u32 s57, s56, s0
	s_add_u32 s43, s43, s58
	s_addc_u32 s57, 0, s57
	s_add_u32 s43, s43, s55
	s_mul_hi_u32 s1, s54, s0
	s_addc_u32 s43, s57, s53
	s_addc_u32 s1, s1, 0
	s_mul_i32 s0, s54, s0
	s_add_u32 s0, s43, s0
	s_addc_u32 s43, 0, s1
	s_add_u32 s53, s56, s0
	s_cselect_b64 s[0:1], -1, 0
	v_ashrrev_i32_e32 v3, 31, v9
	s_cmp_lg_u64 s[0:1], 0
	v_add_co_u32_e32 v5, vcc, v8, v3
	s_addc_u32 s43, s54, s43
	v_xor_b32_e32 v5, v5, v3
	v_addc_co_u32_e32 v7, vcc, v9, v3, vcc
	v_mad_u64_u32 v[9:10], s[0:1], v5, s43, 0
	v_mul_hi_u32 v11, v5, s53
	v_xor_b32_e32 v7, v7, v3
	v_xor_b32_e32 v3, s42, v3
	v_add_co_u32_e32 v13, vcc, v11, v9
	v_addc_co_u32_e32 v14, vcc, 0, v10, vcc
	v_mad_u64_u32 v[9:10], s[0:1], v7, s53, 0
	v_mad_u64_u32 v[11:12], s[0:1], v7, s43, 0
	v_add_co_u32_e32 v9, vcc, v13, v9
	v_addc_co_u32_e32 v9, vcc, v14, v10, vcc
	v_addc_co_u32_e32 v10, vcc, 0, v12, vcc
	v_add_co_u32_e32 v11, vcc, v9, v11
	v_addc_co_u32_e32 v12, vcc, 0, v10, vcc
	v_mul_lo_u32 v13, s45, v11
	v_mul_lo_u32 v14, s44, v12
	v_mad_u64_u32 v[9:10], s[0:1], s44, v11, 0
	v_add3_u32 v10, v10, v14, v13
	v_sub_u32_e32 v13, v7, v10
	v_mov_b32_e32 v14, s45
	v_sub_co_u32_e32 v5, vcc, v5, v9
	v_subb_co_u32_e64 v9, s[0:1], v13, v14, vcc
	v_subrev_co_u32_e64 v13, s[0:1], s44, v5
	v_subbrev_co_u32_e64 v9, s[0:1], 0, v9, s[0:1]
	v_cmp_le_u32_e64 s[0:1], s45, v9
	v_cndmask_b32_e64 v14, 0, -1, s[0:1]
	v_cmp_le_u32_e64 s[0:1], s44, v13
	v_cndmask_b32_e64 v13, 0, -1, s[0:1]
	v_cmp_eq_u32_e64 s[0:1], s45, v9
	v_cndmask_b32_e64 v9, v14, v13, s[0:1]
	v_add_co_u32_e64 v13, s[0:1], 2, v11
	v_subb_co_u32_e32 v7, vcc, v7, v10, vcc
	v_addc_co_u32_e64 v14, s[0:1], 0, v12, s[0:1]
	v_cmp_le_u32_e32 vcc, s45, v7
	v_add_co_u32_e64 v15, s[0:1], 1, v11
	v_cndmask_b32_e64 v10, 0, -1, vcc
	v_cmp_le_u32_e32 vcc, s44, v5
	v_addc_co_u32_e64 v16, s[0:1], 0, v12, s[0:1]
	v_cndmask_b32_e64 v5, 0, -1, vcc
	v_cmp_eq_u32_e32 vcc, s45, v7
	v_cmp_ne_u32_e64 s[0:1], 0, v9
	v_cndmask_b32_e32 v5, v10, v5, vcc
	v_cmp_ne_u32_e32 vcc, 0, v5
	v_cndmask_b32_e64 v7, v15, v13, s[0:1]
	v_cndmask_b32_e64 v9, v16, v14, s[0:1]
	v_cndmask_b32_e32 v7, v11, v7, vcc
	v_cndmask_b32_e32 v5, v12, v9, vcc
	v_xor_b32_e32 v7, v7, v3
	v_xor_b32_e32 v5, v5, v3
	v_sub_co_u32_e32 v10, vcc, v7, v3
	v_subb_co_u32_e32 v11, vcc, v5, v3, vcc
.LBB97_23:                              ;   in Loop: Header=BB97_21 Depth=2
	s_andn2_saveexec_b64 s[0:1], s[40:41]
	s_cbranch_execz .LBB97_25
; %bb.24:                               ;   in Loop: Header=BB97_21 Depth=2
	v_cvt_f32_u32_e32 v3, s35
	s_sub_i32 s40, 0, s35
	v_mov_b32_e32 v11, v2
	v_rcp_iflag_f32_e32 v3, v3
	v_mul_f32_e32 v3, 0x4f7ffffe, v3
	v_cvt_u32_f32_e32 v3, v3
	v_mul_lo_u32 v5, s40, v3
	v_mul_hi_u32 v5, v3, v5
	v_add_u32_e32 v3, v3, v5
	v_mul_hi_u32 v3, v8, v3
	v_mul_lo_u32 v5, v3, s35
	v_add_u32_e32 v7, 1, v3
	v_sub_u32_e32 v5, v8, v5
	v_subrev_u32_e32 v9, s35, v5
	v_cmp_le_u32_e32 vcc, s35, v5
	v_cndmask_b32_e32 v5, v5, v9, vcc
	v_cndmask_b32_e32 v3, v3, v7, vcc
	v_add_u32_e32 v7, 1, v3
	v_cmp_le_u32_e32 vcc, s35, v5
	v_cndmask_b32_e32 v10, v3, v7, vcc
.LBB97_25:                              ;   in Loop: Header=BB97_21 Depth=2
	s_or_b64 exec, exec, s[0:1]
	s_add_u32 s0, s4, s36
	s_addc_u32 s1, s5, s37
	s_add_i32 s36, s20, -1
	s_mov_b32 s37, s21
	s_lshl_b64 s[40:41], s[36:37], 2
	s_add_u32 s36, s46, s40
	s_addc_u32 s37, s47, s41
	s_load_dword s55, s[36:37], 0x8
	s_load_dword s54, s[38:39], 0x6c
	;; [unrolled: 1-line block ×3, first 2 shown]
                                        ; implicit-def: $vgpr12_vgpr13
	s_waitcnt lgkmcnt(0)
	s_ashr_i32 s0, s55, 31
	v_or_b32_e32 v3, s0, v11
	v_cmp_ne_u64_e32 vcc, 0, v[2:3]
	s_and_saveexec_b64 s[38:39], vcc
	s_xor_b64 s[38:39], exec, s[38:39]
	s_cbranch_execz .LBB97_27
; %bb.26:                               ;   in Loop: Header=BB97_21 Depth=2
	s_ashr_i32 s42, s0, 31
	s_add_u32 s44, s55, s42
	s_mov_b32 s43, s42
	s_addc_u32 s45, s0, s42
	s_xor_b64 s[44:45], s[44:45], s[42:43]
	v_cvt_f32_u32_e32 v3, s44
	v_cvt_f32_u32_e32 v5, s45
	s_sub_u32 s43, 0, s44
	s_subb_u32 s56, 0, s45
	v_mac_f32_e32 v3, 0x4f800000, v5
	v_rcp_f32_e32 v3, v3
	v_mul_f32_e32 v3, 0x5f7ffffc, v3
	v_mul_f32_e32 v5, 0x2f800000, v3
	v_trunc_f32_e32 v5, v5
	v_mac_f32_e32 v3, 0xcf800000, v5
	v_cvt_u32_f32_e32 v5, v5
	v_cvt_u32_f32_e32 v3, v3
	v_readfirstlane_b32 s57, v5
	v_readfirstlane_b32 s0, v3
	s_mul_i32 s1, s43, s57
	s_mul_hi_u32 s59, s43, s0
	s_mul_i32 s58, s56, s0
	s_add_i32 s1, s59, s1
	s_add_i32 s1, s1, s58
	s_mul_i32 s60, s43, s0
	s_mul_i32 s59, s0, s1
	s_mul_hi_u32 s61, s0, s60
	s_mul_hi_u32 s58, s0, s1
	s_add_u32 s59, s61, s59
	s_addc_u32 s58, 0, s58
	s_mul_hi_u32 s62, s57, s60
	s_mul_i32 s60, s57, s60
	s_add_u32 s59, s59, s60
	s_mul_hi_u32 s61, s57, s1
	s_addc_u32 s58, s58, s62
	s_addc_u32 s59, s61, 0
	s_mul_i32 s1, s57, s1
	s_add_u32 s1, s58, s1
	s_addc_u32 s58, 0, s59
	s_add_u32 s59, s0, s1
	s_cselect_b64 s[0:1], -1, 0
	s_cmp_lg_u64 s[0:1], 0
	s_addc_u32 s57, s57, s58
	s_mul_i32 s0, s43, s57
	s_mul_hi_u32 s1, s43, s59
	s_add_i32 s0, s1, s0
	s_mul_i32 s56, s56, s59
	s_add_i32 s0, s0, s56
	s_mul_i32 s43, s43, s59
	s_mul_hi_u32 s56, s57, s43
	s_mul_i32 s58, s57, s43
	s_mul_i32 s61, s59, s0
	s_mul_hi_u32 s43, s59, s43
	s_mul_hi_u32 s60, s59, s0
	s_add_u32 s43, s43, s61
	s_addc_u32 s60, 0, s60
	s_add_u32 s43, s43, s58
	s_mul_hi_u32 s1, s57, s0
	s_addc_u32 s43, s60, s56
	s_addc_u32 s1, s1, 0
	s_mul_i32 s0, s57, s0
	s_add_u32 s0, s43, s0
	s_addc_u32 s43, 0, s1
	s_add_u32 s56, s59, s0
	s_cselect_b64 s[0:1], -1, 0
	v_ashrrev_i32_e32 v3, 31, v11
	s_cmp_lg_u64 s[0:1], 0
	v_add_co_u32_e32 v5, vcc, v10, v3
	s_addc_u32 s43, s57, s43
	v_xor_b32_e32 v5, v5, v3
	v_addc_co_u32_e32 v7, vcc, v11, v3, vcc
	v_mad_u64_u32 v[11:12], s[0:1], v5, s43, 0
	v_mul_hi_u32 v9, v5, s56
	v_xor_b32_e32 v7, v7, v3
	v_mad_u64_u32 v[13:14], s[0:1], v7, s43, 0
	v_add_co_u32_e32 v9, vcc, v9, v11
	v_addc_co_u32_e32 v15, vcc, 0, v12, vcc
	v_mad_u64_u32 v[11:12], s[0:1], v7, s56, 0
	v_xor_b32_e32 v3, s42, v3
	v_add_co_u32_e32 v9, vcc, v9, v11
	v_addc_co_u32_e32 v9, vcc, v15, v12, vcc
	v_addc_co_u32_e32 v11, vcc, 0, v14, vcc
	v_add_co_u32_e32 v9, vcc, v9, v13
	v_addc_co_u32_e32 v13, vcc, 0, v11, vcc
	v_mul_lo_u32 v14, s45, v9
	v_mul_lo_u32 v15, s44, v13
	v_mad_u64_u32 v[11:12], s[0:1], s44, v9, 0
	v_add3_u32 v12, v12, v15, v14
	v_sub_u32_e32 v14, v7, v12
	v_mov_b32_e32 v15, s45
	v_sub_co_u32_e32 v5, vcc, v5, v11
	v_subb_co_u32_e64 v11, s[0:1], v14, v15, vcc
	v_subrev_co_u32_e64 v14, s[0:1], s44, v5
	v_subbrev_co_u32_e64 v11, s[0:1], 0, v11, s[0:1]
	v_cmp_le_u32_e64 s[0:1], s45, v11
	v_cndmask_b32_e64 v15, 0, -1, s[0:1]
	v_cmp_le_u32_e64 s[0:1], s44, v14
	v_cndmask_b32_e64 v14, 0, -1, s[0:1]
	v_cmp_eq_u32_e64 s[0:1], s45, v11
	v_cndmask_b32_e64 v11, v15, v14, s[0:1]
	v_add_co_u32_e64 v14, s[0:1], 2, v9
	v_subb_co_u32_e32 v7, vcc, v7, v12, vcc
	v_addc_co_u32_e64 v15, s[0:1], 0, v13, s[0:1]
	v_cmp_le_u32_e32 vcc, s45, v7
	v_add_co_u32_e64 v16, s[0:1], 1, v9
	v_cndmask_b32_e64 v12, 0, -1, vcc
	v_cmp_le_u32_e32 vcc, s44, v5
	v_addc_co_u32_e64 v17, s[0:1], 0, v13, s[0:1]
	v_cndmask_b32_e64 v5, 0, -1, vcc
	v_cmp_eq_u32_e32 vcc, s45, v7
	v_cmp_ne_u32_e64 s[0:1], 0, v11
	v_cndmask_b32_e32 v5, v12, v5, vcc
	v_cmp_ne_u32_e32 vcc, 0, v5
	v_cndmask_b32_e64 v7, v16, v14, s[0:1]
	v_cndmask_b32_e64 v11, v17, v15, s[0:1]
	v_cndmask_b32_e32 v7, v9, v7, vcc
	v_cndmask_b32_e32 v5, v13, v11, vcc
	v_xor_b32_e32 v7, v7, v3
	v_xor_b32_e32 v5, v5, v3
	v_sub_co_u32_e32 v12, vcc, v7, v3
	v_subb_co_u32_e32 v13, vcc, v5, v3, vcc
.LBB97_27:                              ;   in Loop: Header=BB97_21 Depth=2
	s_andn2_saveexec_b64 s[0:1], s[38:39]
	s_cbranch_execz .LBB97_29
; %bb.28:                               ;   in Loop: Header=BB97_21 Depth=2
	v_cvt_f32_u32_e32 v3, s55
	s_sub_i32 s38, 0, s55
	v_mov_b32_e32 v13, v2
	v_rcp_iflag_f32_e32 v3, v3
	v_mul_f32_e32 v3, 0x4f7ffffe, v3
	v_cvt_u32_f32_e32 v3, v3
	v_mul_lo_u32 v5, s38, v3
	v_mul_hi_u32 v5, v3, v5
	v_add_u32_e32 v3, v3, v5
	v_mul_hi_u32 v3, v10, v3
	v_mul_lo_u32 v5, v3, s55
	v_add_u32_e32 v7, 1, v3
	v_sub_u32_e32 v5, v10, v5
	v_subrev_u32_e32 v9, s55, v5
	v_cmp_le_u32_e32 vcc, s55, v5
	v_cndmask_b32_e32 v5, v5, v9, vcc
	v_cndmask_b32_e32 v3, v3, v7, vcc
	v_add_u32_e32 v7, 1, v3
	v_cmp_le_u32_e32 vcc, s55, v5
	v_cndmask_b32_e32 v12, v3, v7, vcc
.LBB97_29:                              ;   in Loop: Header=BB97_21 Depth=2
	s_or_b64 exec, exec, s[0:1]
	s_add_u32 s0, s4, s40
	s_addc_u32 s1, s5, s41
	s_add_i32 s38, s20, -2
	s_mov_b32 s39, s21
	s_lshl_b64 s[38:39], s[38:39], 2
	s_add_u32 s40, s46, s38
	s_addc_u32 s41, s47, s39
	s_load_dword s57, s[40:41], 0x8
	s_load_dword s58, s[36:37], 0x6c
	;; [unrolled: 1-line block ×3, first 2 shown]
                                        ; implicit-def: $vgpr14_vgpr15
	s_waitcnt lgkmcnt(0)
	s_ashr_i32 s0, s57, 31
	v_or_b32_e32 v3, s0, v13
	v_cmp_ne_u64_e32 vcc, 0, v[2:3]
	s_and_saveexec_b64 s[36:37], vcc
	s_xor_b64 s[36:37], exec, s[36:37]
	s_cbranch_execz .LBB97_31
; %bb.30:                               ;   in Loop: Header=BB97_21 Depth=2
	s_ashr_i32 s42, s0, 31
	s_add_u32 s44, s57, s42
	s_mov_b32 s43, s42
	s_addc_u32 s45, s0, s42
	s_xor_b64 s[44:45], s[44:45], s[42:43]
	v_cvt_f32_u32_e32 v3, s44
	v_cvt_f32_u32_e32 v5, s45
	s_sub_u32 s43, 0, s44
	s_subb_u32 s59, 0, s45
	v_mac_f32_e32 v3, 0x4f800000, v5
	v_rcp_f32_e32 v3, v3
	v_mul_f32_e32 v3, 0x5f7ffffc, v3
	v_mul_f32_e32 v5, 0x2f800000, v3
	v_trunc_f32_e32 v5, v5
	v_mac_f32_e32 v3, 0xcf800000, v5
	v_cvt_u32_f32_e32 v5, v5
	v_cvt_u32_f32_e32 v3, v3
	v_readfirstlane_b32 s60, v5
	v_readfirstlane_b32 s0, v3
	s_mul_i32 s1, s43, s60
	s_mul_hi_u32 s62, s43, s0
	s_mul_i32 s61, s59, s0
	s_add_i32 s1, s62, s1
	s_add_i32 s1, s1, s61
	s_mul_i32 s63, s43, s0
	s_mul_i32 s62, s0, s1
	s_mul_hi_u32 s64, s0, s63
	s_mul_hi_u32 s61, s0, s1
	s_add_u32 s62, s64, s62
	s_addc_u32 s61, 0, s61
	s_mul_hi_u32 s65, s60, s63
	s_mul_i32 s63, s60, s63
	s_add_u32 s62, s62, s63
	s_mul_hi_u32 s64, s60, s1
	s_addc_u32 s61, s61, s65
	s_addc_u32 s62, s64, 0
	s_mul_i32 s1, s60, s1
	s_add_u32 s1, s61, s1
	s_addc_u32 s61, 0, s62
	s_add_u32 s62, s0, s1
	s_cselect_b64 s[0:1], -1, 0
	s_cmp_lg_u64 s[0:1], 0
	s_addc_u32 s60, s60, s61
	s_mul_i32 s0, s43, s60
	s_mul_hi_u32 s1, s43, s62
	s_add_i32 s0, s1, s0
	s_mul_i32 s59, s59, s62
	s_add_i32 s0, s0, s59
	s_mul_i32 s43, s43, s62
	s_mul_hi_u32 s59, s60, s43
	s_mul_i32 s61, s60, s43
	s_mul_i32 s64, s62, s0
	s_mul_hi_u32 s43, s62, s43
	s_mul_hi_u32 s63, s62, s0
	s_add_u32 s43, s43, s64
	s_addc_u32 s63, 0, s63
	s_add_u32 s43, s43, s61
	s_mul_hi_u32 s1, s60, s0
	s_addc_u32 s43, s63, s59
	s_addc_u32 s1, s1, 0
	s_mul_i32 s0, s60, s0
	s_add_u32 s0, s43, s0
	s_addc_u32 s43, 0, s1
	s_add_u32 s59, s62, s0
	s_cselect_b64 s[0:1], -1, 0
	v_ashrrev_i32_e32 v3, 31, v13
	s_cmp_lg_u64 s[0:1], 0
	v_add_co_u32_e32 v5, vcc, v12, v3
	s_addc_u32 s43, s60, s43
	v_xor_b32_e32 v5, v5, v3
	v_addc_co_u32_e32 v7, vcc, v13, v3, vcc
	v_mad_u64_u32 v[13:14], s[0:1], v5, s43, 0
	v_mul_hi_u32 v9, v5, s59
	v_xor_b32_e32 v7, v7, v3
	v_mad_u64_u32 v[15:16], s[0:1], v7, s43, 0
	v_add_co_u32_e32 v9, vcc, v9, v13
	v_addc_co_u32_e32 v11, vcc, 0, v14, vcc
	v_mad_u64_u32 v[13:14], s[0:1], v7, s59, 0
	v_xor_b32_e32 v3, s42, v3
	v_add_co_u32_e32 v9, vcc, v9, v13
	v_addc_co_u32_e32 v9, vcc, v11, v14, vcc
	v_addc_co_u32_e32 v11, vcc, 0, v16, vcc
	v_add_co_u32_e32 v9, vcc, v9, v15
	v_addc_co_u32_e32 v11, vcc, 0, v11, vcc
	v_mul_lo_u32 v15, s45, v9
	v_mul_lo_u32 v16, s44, v11
	v_mad_u64_u32 v[13:14], s[0:1], s44, v9, 0
	v_add3_u32 v14, v14, v16, v15
	v_sub_u32_e32 v15, v7, v14
	v_mov_b32_e32 v16, s45
	v_sub_co_u32_e32 v5, vcc, v5, v13
	v_subb_co_u32_e64 v13, s[0:1], v15, v16, vcc
	v_subrev_co_u32_e64 v15, s[0:1], s44, v5
	v_subbrev_co_u32_e64 v13, s[0:1], 0, v13, s[0:1]
	v_cmp_le_u32_e64 s[0:1], s45, v13
	v_cndmask_b32_e64 v16, 0, -1, s[0:1]
	v_cmp_le_u32_e64 s[0:1], s44, v15
	v_cndmask_b32_e64 v15, 0, -1, s[0:1]
	v_cmp_eq_u32_e64 s[0:1], s45, v13
	v_cndmask_b32_e64 v13, v16, v15, s[0:1]
	v_add_co_u32_e64 v15, s[0:1], 2, v9
	v_subb_co_u32_e32 v7, vcc, v7, v14, vcc
	v_addc_co_u32_e64 v16, s[0:1], 0, v11, s[0:1]
	v_cmp_le_u32_e32 vcc, s45, v7
	v_add_co_u32_e64 v17, s[0:1], 1, v9
	v_cndmask_b32_e64 v14, 0, -1, vcc
	v_cmp_le_u32_e32 vcc, s44, v5
	v_addc_co_u32_e64 v20, s[0:1], 0, v11, s[0:1]
	v_cndmask_b32_e64 v5, 0, -1, vcc
	v_cmp_eq_u32_e32 vcc, s45, v7
	v_cmp_ne_u32_e64 s[0:1], 0, v13
	v_cndmask_b32_e32 v5, v14, v5, vcc
	v_cmp_ne_u32_e32 vcc, 0, v5
	v_cndmask_b32_e64 v7, v17, v15, s[0:1]
	v_cndmask_b32_e64 v13, v20, v16, s[0:1]
	v_cndmask_b32_e32 v7, v9, v7, vcc
	v_cndmask_b32_e32 v5, v11, v13, vcc
	v_xor_b32_e32 v7, v7, v3
	v_xor_b32_e32 v5, v5, v3
	v_sub_co_u32_e32 v14, vcc, v7, v3
	v_subb_co_u32_e32 v15, vcc, v5, v3, vcc
.LBB97_31:                              ;   in Loop: Header=BB97_21 Depth=2
	s_andn2_saveexec_b64 s[0:1], s[36:37]
	s_cbranch_execz .LBB97_33
; %bb.32:                               ;   in Loop: Header=BB97_21 Depth=2
	v_cvt_f32_u32_e32 v3, s57
	s_sub_i32 s36, 0, s57
	v_mov_b32_e32 v15, v2
	v_rcp_iflag_f32_e32 v3, v3
	v_mul_f32_e32 v3, 0x4f7ffffe, v3
	v_cvt_u32_f32_e32 v3, v3
	v_mul_lo_u32 v5, s36, v3
	v_mul_hi_u32 v5, v3, v5
	v_add_u32_e32 v3, v3, v5
	v_mul_hi_u32 v3, v12, v3
	v_mul_lo_u32 v5, v3, s57
	v_add_u32_e32 v7, 1, v3
	v_sub_u32_e32 v5, v12, v5
	v_subrev_u32_e32 v9, s57, v5
	v_cmp_le_u32_e32 vcc, s57, v5
	v_cndmask_b32_e32 v5, v5, v9, vcc
	v_cndmask_b32_e32 v3, v3, v7, vcc
	v_add_u32_e32 v7, 1, v3
	v_cmp_le_u32_e32 vcc, s57, v5
	v_cndmask_b32_e32 v14, v3, v7, vcc
.LBB97_33:                              ;   in Loop: Header=BB97_21 Depth=2
	s_or_b64 exec, exec, s[0:1]
	s_add_u32 s0, s4, s38
	s_addc_u32 s1, s5, s39
	s_add_i32 s36, s20, -3
	s_mov_b32 s37, s21
	s_lshl_b64 s[36:37], s[36:37], 2
	s_add_u32 s38, s46, s36
	s_addc_u32 s39, s47, s37
	s_load_dword s60, s[38:39], 0x8
	s_load_dword s61, s[40:41], 0x6c
	;; [unrolled: 1-line block ×3, first 2 shown]
                                        ; implicit-def: $vgpr16_vgpr17
	s_waitcnt lgkmcnt(0)
	s_ashr_i32 s0, s60, 31
	v_or_b32_e32 v3, s0, v15
	v_cmp_ne_u64_e32 vcc, 0, v[2:3]
	s_and_saveexec_b64 s[40:41], vcc
	s_xor_b64 s[40:41], exec, s[40:41]
	s_cbranch_execz .LBB97_35
; %bb.34:                               ;   in Loop: Header=BB97_21 Depth=2
	s_ashr_i32 s42, s0, 31
	s_add_u32 s44, s60, s42
	s_mov_b32 s43, s42
	s_addc_u32 s45, s0, s42
	s_xor_b64 s[44:45], s[44:45], s[42:43]
	v_cvt_f32_u32_e32 v3, s44
	v_cvt_f32_u32_e32 v5, s45
	s_sub_u32 s43, 0, s44
	s_subb_u32 s62, 0, s45
	v_mac_f32_e32 v3, 0x4f800000, v5
	v_rcp_f32_e32 v3, v3
	v_mul_f32_e32 v3, 0x5f7ffffc, v3
	v_mul_f32_e32 v5, 0x2f800000, v3
	v_trunc_f32_e32 v5, v5
	v_mac_f32_e32 v3, 0xcf800000, v5
	v_cvt_u32_f32_e32 v5, v5
	v_cvt_u32_f32_e32 v3, v3
	v_readfirstlane_b32 s63, v5
	v_readfirstlane_b32 s0, v3
	s_mul_i32 s1, s43, s63
	s_mul_hi_u32 s65, s43, s0
	s_mul_i32 s64, s62, s0
	s_add_i32 s1, s65, s1
	s_add_i32 s1, s1, s64
	s_mul_i32 s66, s43, s0
	s_mul_i32 s65, s0, s1
	s_mul_hi_u32 s67, s0, s66
	s_mul_hi_u32 s64, s0, s1
	s_add_u32 s65, s67, s65
	s_addc_u32 s64, 0, s64
	s_mul_hi_u32 s68, s63, s66
	s_mul_i32 s66, s63, s66
	s_add_u32 s65, s65, s66
	s_mul_hi_u32 s67, s63, s1
	s_addc_u32 s64, s64, s68
	s_addc_u32 s65, s67, 0
	s_mul_i32 s1, s63, s1
	s_add_u32 s1, s64, s1
	s_addc_u32 s64, 0, s65
	s_add_u32 s65, s0, s1
	s_cselect_b64 s[0:1], -1, 0
	s_cmp_lg_u64 s[0:1], 0
	s_addc_u32 s63, s63, s64
	s_mul_i32 s0, s43, s63
	s_mul_hi_u32 s1, s43, s65
	s_add_i32 s0, s1, s0
	s_mul_i32 s62, s62, s65
	s_add_i32 s0, s0, s62
	s_mul_i32 s43, s43, s65
	s_mul_hi_u32 s62, s63, s43
	s_mul_i32 s64, s63, s43
	s_mul_i32 s67, s65, s0
	s_mul_hi_u32 s43, s65, s43
	s_mul_hi_u32 s66, s65, s0
	s_add_u32 s43, s43, s67
	s_addc_u32 s66, 0, s66
	s_add_u32 s43, s43, s64
	s_mul_hi_u32 s1, s63, s0
	s_addc_u32 s43, s66, s62
	s_addc_u32 s1, s1, 0
	s_mul_i32 s0, s63, s0
	s_add_u32 s0, s43, s0
	s_addc_u32 s43, 0, s1
	s_add_u32 s62, s65, s0
	s_cselect_b64 s[0:1], -1, 0
	v_ashrrev_i32_e32 v3, 31, v15
	s_cmp_lg_u64 s[0:1], 0
	v_add_co_u32_e32 v5, vcc, v14, v3
	s_addc_u32 s43, s63, s43
	v_xor_b32_e32 v5, v5, v3
	v_addc_co_u32_e32 v7, vcc, v15, v3, vcc
	v_mad_u64_u32 v[15:16], s[0:1], v5, s43, 0
	v_mul_hi_u32 v9, v5, s62
	v_xor_b32_e32 v7, v7, v3
	v_mad_u64_u32 v[20:21], s[0:1], v7, s43, 0
	v_add_co_u32_e32 v9, vcc, v9, v15
	v_addc_co_u32_e32 v11, vcc, 0, v16, vcc
	v_mad_u64_u32 v[15:16], s[0:1], v7, s62, 0
	v_xor_b32_e32 v3, s42, v3
	v_add_co_u32_e32 v9, vcc, v9, v15
	v_addc_co_u32_e32 v9, vcc, v11, v16, vcc
	v_addc_co_u32_e32 v11, vcc, 0, v21, vcc
	v_add_co_u32_e32 v9, vcc, v9, v20
	v_addc_co_u32_e32 v11, vcc, 0, v11, vcc
	v_mul_lo_u32 v13, s45, v9
	v_mul_lo_u32 v17, s44, v11
	v_mad_u64_u32 v[15:16], s[0:1], s44, v9, 0
	v_add3_u32 v13, v16, v17, v13
	v_sub_u32_e32 v16, v7, v13
	v_mov_b32_e32 v17, s45
	v_sub_co_u32_e32 v5, vcc, v5, v15
	v_subb_co_u32_e64 v15, s[0:1], v16, v17, vcc
	v_subrev_co_u32_e64 v16, s[0:1], s44, v5
	v_subbrev_co_u32_e64 v15, s[0:1], 0, v15, s[0:1]
	v_cmp_le_u32_e64 s[0:1], s45, v15
	v_cndmask_b32_e64 v17, 0, -1, s[0:1]
	v_cmp_le_u32_e64 s[0:1], s44, v16
	v_cndmask_b32_e64 v16, 0, -1, s[0:1]
	v_cmp_eq_u32_e64 s[0:1], s45, v15
	v_cndmask_b32_e64 v15, v17, v16, s[0:1]
	v_add_co_u32_e64 v16, s[0:1], 2, v9
	v_subb_co_u32_e32 v7, vcc, v7, v13, vcc
	v_addc_co_u32_e64 v17, s[0:1], 0, v11, s[0:1]
	v_cmp_le_u32_e32 vcc, s45, v7
	v_add_co_u32_e64 v20, s[0:1], 1, v9
	v_cndmask_b32_e64 v13, 0, -1, vcc
	v_cmp_le_u32_e32 vcc, s44, v5
	v_addc_co_u32_e64 v21, s[0:1], 0, v11, s[0:1]
	v_cndmask_b32_e64 v5, 0, -1, vcc
	v_cmp_eq_u32_e32 vcc, s45, v7
	v_cmp_ne_u32_e64 s[0:1], 0, v15
	v_cndmask_b32_e32 v5, v13, v5, vcc
	v_cmp_ne_u32_e32 vcc, 0, v5
	v_cndmask_b32_e64 v7, v20, v16, s[0:1]
	v_cndmask_b32_e64 v15, v21, v17, s[0:1]
	v_cndmask_b32_e32 v7, v9, v7, vcc
	v_cndmask_b32_e32 v5, v11, v15, vcc
	v_xor_b32_e32 v7, v7, v3
	v_xor_b32_e32 v5, v5, v3
	v_sub_co_u32_e32 v16, vcc, v7, v3
	v_subb_co_u32_e32 v17, vcc, v5, v3, vcc
.LBB97_35:                              ;   in Loop: Header=BB97_21 Depth=2
	s_andn2_saveexec_b64 s[0:1], s[40:41]
	s_cbranch_execz .LBB97_37
; %bb.36:                               ;   in Loop: Header=BB97_21 Depth=2
	v_cvt_f32_u32_e32 v3, s60
	s_sub_i32 s40, 0, s60
	v_mov_b32_e32 v17, v2
	v_rcp_iflag_f32_e32 v3, v3
	v_mul_f32_e32 v3, 0x4f7ffffe, v3
	v_cvt_u32_f32_e32 v3, v3
	v_mul_lo_u32 v5, s40, v3
	v_mul_hi_u32 v5, v3, v5
	v_add_u32_e32 v3, v3, v5
	v_mul_hi_u32 v3, v14, v3
	v_mul_lo_u32 v5, v3, s60
	v_add_u32_e32 v7, 1, v3
	v_sub_u32_e32 v5, v14, v5
	v_subrev_u32_e32 v9, s60, v5
	v_cmp_le_u32_e32 vcc, s60, v5
	v_cndmask_b32_e32 v5, v5, v9, vcc
	v_cndmask_b32_e32 v3, v3, v7, vcc
	v_add_u32_e32 v7, 1, v3
	v_cmp_le_u32_e32 vcc, s60, v5
	v_cndmask_b32_e32 v16, v3, v7, vcc
.LBB97_37:                              ;   in Loop: Header=BB97_21 Depth=2
	s_or_b64 exec, exec, s[0:1]
	v_mul_lo_u32 v3, v10, s35
	v_mul_lo_u32 v5, v12, s55
	;; [unrolled: 1-line block ×3, first 2 shown]
	s_add_u32 s0, s4, s36
	v_sub_u32_e32 v3, v8, v3
	v_sub_u32_e32 v5, v10, v5
	v_mul_lo_u32 v7, s54, v3
	v_mul_lo_u32 v8, s58, v5
	s_addc_u32 s1, s5, s37
	s_load_dword s35, s[38:39], 0x6c
	v_mul_lo_u32 v3, s53, v3
	v_add3_u32 v6, v7, v6, v8
	v_sub_u32_e32 v7, v12, v9
	v_mul_lo_u32 v9, v16, s60
	s_load_dword s0, s[0:1], 0x6c
	v_mul_lo_u32 v5, s56, v5
	v_mul_lo_u32 v8, s61, v7
	v_sub_u32_e32 v9, v14, v9
	s_waitcnt lgkmcnt(0)
	v_mul_lo_u32 v10, s35, v9
	v_add3_u32 v3, v3, v4, v5
	v_mul_lo_u32 v4, s59, v7
	v_mul_lo_u32 v5, s0, v9
	s_add_i32 s20, s20, -4
	v_add3_u32 v6, v8, v6, v10
	s_cmp_eq_u32 s20, -1
	v_add3_u32 v4, v4, v3, v5
	s_cbranch_scc1 .LBB97_39
; %bb.38:                               ;   in Loop: Header=BB97_21 Depth=2
	v_mov_b32_e32 v8, v16
	v_mov_b32_e32 v9, v17
	s_branch .LBB97_21
.LBB97_39:                              ;   in Loop: Header=BB97_3 Depth=1
	v_sub_u32_e32 v5, v18, v19
	v_add_u32_e32 v7, 4, v5
	v_ashrrev_i32_e32 v8, 31, v7
	v_cmp_le_i64_e32 vcc, s[8:9], v[7:8]
	v_mov_b32_e32 v12, 0
	v_mov_b32_e32 v3, 0
	;; [unrolled: 1-line block ×4, first 2 shown]
	s_and_saveexec_b64 s[0:1], vcc
	s_cbranch_execz .LBB97_49
; %bb.40:                               ;   in Loop: Header=BB97_3 Depth=1
	v_cmp_gt_i32_e32 vcc, s7, v18
	v_mov_b32_e32 v11, 0
	v_mov_b32_e32 v10, 0
	;; [unrolled: 1-line block ×4, first 2 shown]
	s_and_saveexec_b64 s[36:37], vcc
	s_cbranch_execz .LBB97_48
; %bb.41:                               ;   in Loop: Header=BB97_3 Depth=1
	v_ashrrev_i32_e32 v7, 31, v6
	v_lshlrev_b64 v[7:8], 1, v[6:7]
	v_mov_b32_e32 v3, s3
	v_add_co_u32_e32 v7, vcc, s2, v7
	v_addc_co_u32_e32 v8, vcc, v3, v8, vcc
	global_load_ushort v3, v[7:8], off
	v_add_u32_e32 v9, 1, v18
	v_cmp_gt_i32_e32 vcc, s7, v9
	v_mov_b32_e32 v9, 0
	v_mov_b32_e32 v10, 0
	;; [unrolled: 1-line block ×3, first 2 shown]
	s_and_saveexec_b64 s[38:39], vcc
	s_xor_b64 s[38:39], exec, s[38:39]
	s_cbranch_execz .LBB97_47
; %bb.42:                               ;   in Loop: Header=BB97_3 Depth=1
	s_lshl_b64 s[40:41], s[26:27], 1
	v_mov_b32_e32 v9, s41
	v_add_co_u32_e32 v7, vcc, s40, v7
	v_addc_co_u32_e32 v8, vcc, v8, v9, vcc
	global_load_ushort v9, v[7:8], off
	v_add_u32_e32 v7, 2, v18
	v_cmp_gt_i32_e32 vcc, s7, v7
	v_mov_b32_e32 v10, 0
	v_mov_b32_e32 v11, 0
	s_and_saveexec_b64 s[40:41], vcc
	s_xor_b64 s[40:41], exec, s[40:41]
	s_cbranch_execz .LBB97_46
; %bb.43:                               ;   in Loop: Header=BB97_3 Depth=1
	v_add_u32_e32 v6, s15, v6
	v_ashrrev_i32_e32 v7, 31, v6
	v_lshlrev_b64 v[7:8], 1, v[6:7]
	v_mov_b32_e32 v10, s3
	v_add_co_u32_e32 v7, vcc, s2, v7
	v_addc_co_u32_e32 v8, vcc, v10, v8, vcc
	global_load_ushort v10, v[7:8], off
	v_add_u32_e32 v7, 3, v18
	v_cmp_gt_i32_e32 vcc, s7, v7
	v_mov_b32_e32 v11, 0
	s_and_saveexec_b64 s[42:43], vcc
	s_xor_b64 s[42:43], exec, s[42:43]
	s_cbranch_execz .LBB97_45
; %bb.44:                               ;   in Loop: Header=BB97_3 Depth=1
	v_add_u32_e32 v6, s26, v6
	v_ashrrev_i32_e32 v7, 31, v6
	v_lshlrev_b64 v[6:7], 1, v[6:7]
	v_mov_b32_e32 v8, s3
	v_add_co_u32_e32 v6, vcc, s2, v6
	v_addc_co_u32_e32 v7, vcc, v8, v7, vcc
	global_load_ushort v11, v[6:7], off
.LBB97_45:                              ;   in Loop: Header=BB97_3 Depth=1
	s_or_b64 exec, exec, s[42:43]
.LBB97_46:                              ;   in Loop: Header=BB97_3 Depth=1
	s_or_b64 exec, exec, s[40:41]
.LBB97_47:                              ;   in Loop: Header=BB97_3 Depth=1
	s_or_b64 exec, exec, s[38:39]
.LBB97_48:                              ;   in Loop: Header=BB97_3 Depth=1
	s_or_b64 exec, exec, s[36:37]
	v_ashrrev_i32_e32 v6, 31, v5
	v_cmp_le_i64_e32 vcc, s[8:9], v[5:6]
	v_add_u32_e32 v6, 1, v5
	v_ashrrev_i32_e32 v7, 31, v6
	s_waitcnt vmcnt(0)
	v_cndmask_b32_e32 v12, 0, v3, vcc
	v_cmp_le_i64_e32 vcc, s[8:9], v[6:7]
	v_add_u32_e32 v6, 2, v5
	v_ashrrev_i32_e32 v7, 31, v6
	v_cndmask_b32_e32 v3, 0, v9, vcc
	v_cmp_le_i64_e32 vcc, s[8:9], v[6:7]
	v_add_u32_e32 v5, 3, v5
	v_ashrrev_i32_e32 v6, 31, v5
	v_cndmask_b32_e32 v8, 0, v10, vcc
	v_cmp_le_i64_e32 vcc, s[8:9], v[5:6]
	v_cndmask_b32_e32 v7, 0, v11, vcc
.LBB97_49:                              ;   in Loop: Header=BB97_3 Depth=1
	s_or_b64 exec, exec, s[0:1]
	v_cmp_gt_i32_e32 vcc, s7, v18
	s_and_saveexec_b64 s[0:1], vcc
	s_cbranch_execz .LBB97_2
; %bb.50:                               ;   in Loop: Header=BB97_3 Depth=1
	v_ashrrev_i32_e32 v5, 31, v4
	v_lshlrev_b64 v[5:6], 1, v[4:5]
	v_mov_b32_e32 v9, s19
	v_add_co_u32_e32 v5, vcc, s18, v5
	v_addc_co_u32_e32 v6, vcc, v9, v6, vcc
	v_add_u32_e32 v9, 1, v18
	v_cmp_gt_i32_e32 vcc, s7, v9
	global_store_short v[5:6], v12, off
	s_and_saveexec_b64 s[36:37], vcc
	s_xor_b64 s[36:37], exec, s[36:37]
	s_cbranch_execz .LBB97_2
; %bb.51:                               ;   in Loop: Header=BB97_3 Depth=1
	s_lshl_b64 s[36:37], s[28:29], 1
	v_mov_b32_e32 v9, s37
	v_add_co_u32_e32 v5, vcc, s36, v5
	v_addc_co_u32_e32 v6, vcc, v6, v9, vcc
	global_store_short v[5:6], v3, off
	v_add_u32_e32 v3, 2, v18
	v_cmp_gt_i32_e32 vcc, s7, v3
	s_and_saveexec_b64 s[36:37], vcc
	s_xor_b64 s[36:37], exec, s[36:37]
	s_cbranch_execz .LBB97_2
; %bb.52:                               ;   in Loop: Header=BB97_3 Depth=1
	v_add_u32_e32 v3, s17, v4
	v_ashrrev_i32_e32 v4, 31, v3
	v_lshlrev_b64 v[4:5], 1, v[3:4]
	v_mov_b32_e32 v6, s19
	v_add_co_u32_e32 v4, vcc, s18, v4
	v_addc_co_u32_e32 v5, vcc, v6, v5, vcc
	global_store_short v[4:5], v8, off
	v_add_u32_e32 v4, 3, v18
	v_cmp_gt_i32_e32 vcc, s7, v4
	s_and_saveexec_b64 s[36:37], vcc
	s_xor_b64 s[36:37], exec, s[36:37]
	s_cbranch_execz .LBB97_2
; %bb.53:                               ;   in Loop: Header=BB97_3 Depth=1
	v_add_u32_e32 v3, s28, v3
	v_ashrrev_i32_e32 v4, 31, v3
	v_lshlrev_b64 v[3:4], 1, v[3:4]
	v_mov_b32_e32 v5, s19
	v_add_co_u32_e32 v3, vcc, s18, v3
	v_addc_co_u32_e32 v4, vcc, v5, v4, vcc
	global_store_short v[3:4], v7, off
	s_branch .LBB97_2
.LBB97_54:
	s_endpgm
	.section	.rodata,"a",@progbits
	.p2align	6, 0x0
	.amdhsa_kernel _ZN2at6native16triu_tril_kernelIN3c108BFloat16EiLb1ELi4ELb0EEEvNS_4cuda6detail10TensorInfoIT_T0_EENS6_IKS7_S8_EEllS8_
		.amdhsa_group_segment_fixed_size 0
		.amdhsa_private_segment_fixed_size 0
		.amdhsa_kernarg_size 712
		.amdhsa_user_sgpr_count 6
		.amdhsa_user_sgpr_private_segment_buffer 1
		.amdhsa_user_sgpr_dispatch_ptr 0
		.amdhsa_user_sgpr_queue_ptr 0
		.amdhsa_user_sgpr_kernarg_segment_ptr 1
		.amdhsa_user_sgpr_dispatch_id 0
		.amdhsa_user_sgpr_flat_scratch_init 0
		.amdhsa_user_sgpr_private_segment_size 0
		.amdhsa_uses_dynamic_stack 0
		.amdhsa_system_sgpr_private_segment_wavefront_offset 0
		.amdhsa_system_sgpr_workgroup_id_x 1
		.amdhsa_system_sgpr_workgroup_id_y 0
		.amdhsa_system_sgpr_workgroup_id_z 0
		.amdhsa_system_sgpr_workgroup_info 0
		.amdhsa_system_vgpr_workitem_id 0
		.amdhsa_next_free_vgpr 22
		.amdhsa_next_free_sgpr 69
		.amdhsa_reserve_vcc 1
		.amdhsa_reserve_flat_scratch 0
		.amdhsa_float_round_mode_32 0
		.amdhsa_float_round_mode_16_64 0
		.amdhsa_float_denorm_mode_32 3
		.amdhsa_float_denorm_mode_16_64 3
		.amdhsa_dx10_clamp 1
		.amdhsa_ieee_mode 1
		.amdhsa_fp16_overflow 0
		.amdhsa_exception_fp_ieee_invalid_op 0
		.amdhsa_exception_fp_denorm_src 0
		.amdhsa_exception_fp_ieee_div_zero 0
		.amdhsa_exception_fp_ieee_overflow 0
		.amdhsa_exception_fp_ieee_underflow 0
		.amdhsa_exception_fp_ieee_inexact 0
		.amdhsa_exception_int_div_zero 0
	.end_amdhsa_kernel
	.section	.text._ZN2at6native16triu_tril_kernelIN3c108BFloat16EiLb1ELi4ELb0EEEvNS_4cuda6detail10TensorInfoIT_T0_EENS6_IKS7_S8_EEllS8_,"axG",@progbits,_ZN2at6native16triu_tril_kernelIN3c108BFloat16EiLb1ELi4ELb0EEEvNS_4cuda6detail10TensorInfoIT_T0_EENS6_IKS7_S8_EEllS8_,comdat
.Lfunc_end97:
	.size	_ZN2at6native16triu_tril_kernelIN3c108BFloat16EiLb1ELi4ELb0EEEvNS_4cuda6detail10TensorInfoIT_T0_EENS6_IKS7_S8_EEllS8_, .Lfunc_end97-_ZN2at6native16triu_tril_kernelIN3c108BFloat16EiLb1ELi4ELb0EEEvNS_4cuda6detail10TensorInfoIT_T0_EENS6_IKS7_S8_EEllS8_
                                        ; -- End function
	.set _ZN2at6native16triu_tril_kernelIN3c108BFloat16EiLb1ELi4ELb0EEEvNS_4cuda6detail10TensorInfoIT_T0_EENS6_IKS7_S8_EEllS8_.num_vgpr, 22
	.set _ZN2at6native16triu_tril_kernelIN3c108BFloat16EiLb1ELi4ELb0EEEvNS_4cuda6detail10TensorInfoIT_T0_EENS6_IKS7_S8_EEllS8_.num_agpr, 0
	.set _ZN2at6native16triu_tril_kernelIN3c108BFloat16EiLb1ELi4ELb0EEEvNS_4cuda6detail10TensorInfoIT_T0_EENS6_IKS7_S8_EEllS8_.numbered_sgpr, 69
	.set _ZN2at6native16triu_tril_kernelIN3c108BFloat16EiLb1ELi4ELb0EEEvNS_4cuda6detail10TensorInfoIT_T0_EENS6_IKS7_S8_EEllS8_.num_named_barrier, 0
	.set _ZN2at6native16triu_tril_kernelIN3c108BFloat16EiLb1ELi4ELb0EEEvNS_4cuda6detail10TensorInfoIT_T0_EENS6_IKS7_S8_EEllS8_.private_seg_size, 0
	.set _ZN2at6native16triu_tril_kernelIN3c108BFloat16EiLb1ELi4ELb0EEEvNS_4cuda6detail10TensorInfoIT_T0_EENS6_IKS7_S8_EEllS8_.uses_vcc, 1
	.set _ZN2at6native16triu_tril_kernelIN3c108BFloat16EiLb1ELi4ELb0EEEvNS_4cuda6detail10TensorInfoIT_T0_EENS6_IKS7_S8_EEllS8_.uses_flat_scratch, 0
	.set _ZN2at6native16triu_tril_kernelIN3c108BFloat16EiLb1ELi4ELb0EEEvNS_4cuda6detail10TensorInfoIT_T0_EENS6_IKS7_S8_EEllS8_.has_dyn_sized_stack, 0
	.set _ZN2at6native16triu_tril_kernelIN3c108BFloat16EiLb1ELi4ELb0EEEvNS_4cuda6detail10TensorInfoIT_T0_EENS6_IKS7_S8_EEllS8_.has_recursion, 0
	.set _ZN2at6native16triu_tril_kernelIN3c108BFloat16EiLb1ELi4ELb0EEEvNS_4cuda6detail10TensorInfoIT_T0_EENS6_IKS7_S8_EEllS8_.has_indirect_call, 0
	.section	.AMDGPU.csdata,"",@progbits
; Kernel info:
; codeLenInByte = 6656
; TotalNumSgprs: 73
; NumVgprs: 22
; ScratchSize: 0
; MemoryBound: 0
; FloatMode: 240
; IeeeMode: 1
; LDSByteSize: 0 bytes/workgroup (compile time only)
; SGPRBlocks: 9
; VGPRBlocks: 5
; NumSGPRsForWavesPerEU: 73
; NumVGPRsForWavesPerEU: 22
; Occupancy: 10
; WaveLimiterHint : 1
; COMPUTE_PGM_RSRC2:SCRATCH_EN: 0
; COMPUTE_PGM_RSRC2:USER_SGPR: 6
; COMPUTE_PGM_RSRC2:TRAP_HANDLER: 0
; COMPUTE_PGM_RSRC2:TGID_X_EN: 1
; COMPUTE_PGM_RSRC2:TGID_Y_EN: 0
; COMPUTE_PGM_RSRC2:TGID_Z_EN: 0
; COMPUTE_PGM_RSRC2:TIDIG_COMP_CNT: 0
	.section	.text._ZN2at6native16triu_tril_kernelIN3c108BFloat16ElLb1ELi4ELb1EEEvNS_4cuda6detail10TensorInfoIT_T0_EENS6_IKS7_S8_EEllS8_,"axG",@progbits,_ZN2at6native16triu_tril_kernelIN3c108BFloat16ElLb1ELi4ELb1EEEvNS_4cuda6detail10TensorInfoIT_T0_EENS6_IKS7_S8_EEllS8_,comdat
	.protected	_ZN2at6native16triu_tril_kernelIN3c108BFloat16ElLb1ELi4ELb1EEEvNS_4cuda6detail10TensorInfoIT_T0_EENS6_IKS7_S8_EEllS8_ ; -- Begin function _ZN2at6native16triu_tril_kernelIN3c108BFloat16ElLb1ELi4ELb1EEEvNS_4cuda6detail10TensorInfoIT_T0_EENS6_IKS7_S8_EEllS8_
	.globl	_ZN2at6native16triu_tril_kernelIN3c108BFloat16ElLb1ELi4ELb1EEEvNS_4cuda6detail10TensorInfoIT_T0_EENS6_IKS7_S8_EEllS8_
	.p2align	8
	.type	_ZN2at6native16triu_tril_kernelIN3c108BFloat16ElLb1ELi4ELb1EEEvNS_4cuda6detail10TensorInfoIT_T0_EENS6_IKS7_S8_EEllS8_,@function
_ZN2at6native16triu_tril_kernelIN3c108BFloat16ElLb1ELi4ELb1EEEvNS_4cuda6detail10TensorInfoIT_T0_EENS6_IKS7_S8_EEllS8_: ; @_ZN2at6native16triu_tril_kernelIN3c108BFloat16ElLb1ELi4ELb1EEEvNS_4cuda6detail10TensorInfoIT_T0_EENS6_IKS7_S8_EEllS8_
; %bb.0:
	s_load_dword s2, s[4:5], 0x364
	s_load_dwordx4 s[8:11], s[4:5], 0x340
	s_add_u32 s0, s4, 0x358
	v_mov_b32_e32 v2, 0
	s_addc_u32 s1, s5, 0
	s_waitcnt lgkmcnt(0)
	s_and_b32 s2, s2, 0xffff
	v_mov_b32_e32 v1, v2
	v_mov_b32_e32 v3, s6
	v_mad_u64_u32 v[0:1], s[6:7], s2, v3, v[0:1]
	v_lshlrev_b64 v[0:1], 2, v[0:1]
	v_cmp_gt_i64_e32 vcc, s[10:11], v[0:1]
	s_and_saveexec_b64 s[6:7], vcc
	s_cbranch_execz .LBB98_47
; %bb.1:
	s_load_dword s1, s[0:1], 0x0
	s_add_u32 s34, s4, 0x1a0
	s_load_dword s0, s[4:5], 0x338
	s_addc_u32 s35, s5, 0
	s_load_dwordx2 s[6:7], s[4:5], 0x350
	s_load_dwordx2 s[12:13], s[4:5], 0x0
	s_waitcnt lgkmcnt(0)
	s_mul_i32 s24, s1, s2
	s_mov_b32 s25, 0
	s_add_i32 s2, s0, -2
	s_ashr_i32 s3, s2, 31
	s_ashr_i32 s1, s0, 31
	s_lshl_b64 s[16:17], s[2:3], 3
	s_add_u32 s16, s34, s16
	s_addc_u32 s17, s35, s17
	s_lshl_b64 s[22:23], s[0:1], 3
	s_add_u32 s18, s4, s22
	s_addc_u32 s19, s5, s23
	s_add_i32 s20, s0, -3
	s_ashr_i32 s21, s20, 31
	s_add_u32 s22, s34, s22
	v_cmp_gt_i64_e64 s[14:15], s[0:1], 2
	s_addc_u32 s23, s35, s23
	s_lshl_b32 s33, s24, 2
	s_and_b32 s24, s2, 3
	s_and_b32 s0, s20, 3
	s_cmp_lg_u32 s0, 3
	s_cselect_b64 s[26:27], -1, 0
	s_cmp_gt_u32 s20, 2
	s_cselect_b64 s[28:29], -1, 0
	s_lshl_b64 s[0:1], s[20:21], 3
	s_add_u32 s2, s4, s0
	s_addc_u32 s3, s5, s1
	s_add_u32 s30, s2, 0xd0
	s_addc_u32 s31, s3, 0
	;; [unrolled: 2-line block ×3, first 2 shown]
	s_add_u32 s34, s0, 8
	s_load_dwordx2 s[16:17], s[16:17], 0x8
	s_addc_u32 s35, s1, 0
	s_add_u32 s64, s4, 0xb8
	s_addc_u32 s65, s5, 0
	s_add_u32 s66, s4, 0x190
	s_addc_u32 s67, s5, 0
	s_mov_b64 s[4:5], 0
	s_branch .LBB98_3
.LBB98_2:                               ;   in Loop: Header=BB98_3 Depth=1
	s_or_b64 exec, exec, s[36:37]
	v_add_co_u32_e32 v0, vcc, s33, v0
	v_addc_co_u32_e32 v1, vcc, 0, v1, vcc
	v_cmp_le_i64_e32 vcc, s[10:11], v[0:1]
	s_or_b64 s[4:5], vcc, s[4:5]
	s_andn2_b64 exec, exec, s[4:5]
	s_cbranch_execz .LBB98_47
.LBB98_3:                               ; =>This Loop Header: Depth=1
                                        ;     Child Loop BB98_17 Depth 2
                                        ;     Child Loop BB98_22 Depth 2
	v_or_b32_e32 v3, s7, v1
	v_cmp_ne_u64_e32 vcc, 0, v[2:3]
                                        ; implicit-def: $vgpr6_vgpr7
	s_and_saveexec_b64 s[0:1], vcc
	s_xor_b64 s[2:3], exec, s[0:1]
	s_cbranch_execz .LBB98_5
; %bb.4:                                ;   in Loop: Header=BB98_3 Depth=1
	s_ashr_i32 s36, s7, 31
	s_add_u32 s0, s6, s36
	s_mov_b32 s37, s36
	s_addc_u32 s1, s7, s36
	s_xor_b64 s[38:39], s[0:1], s[36:37]
	v_cvt_f32_u32_e32 v3, s38
	v_cvt_f32_u32_e32 v4, s39
	s_sub_u32 s37, 0, s38
	s_subb_u32 s40, 0, s39
	v_ashrrev_i32_e32 v7, 31, v1
	v_mac_f32_e32 v3, 0x4f800000, v4
	v_rcp_f32_e32 v3, v3
	v_mul_f32_e32 v3, 0x5f7ffffc, v3
	v_mul_f32_e32 v4, 0x2f800000, v3
	v_trunc_f32_e32 v4, v4
	v_mac_f32_e32 v3, 0xcf800000, v4
	v_cvt_u32_f32_e32 v4, v4
	v_cvt_u32_f32_e32 v3, v3
	v_readfirstlane_b32 s41, v4
	v_readfirstlane_b32 s0, v3
	s_mul_i32 s1, s37, s41
	s_mul_hi_u32 s43, s37, s0
	s_mul_i32 s42, s40, s0
	s_add_i32 s1, s43, s1
	s_add_i32 s1, s1, s42
	s_mul_i32 s44, s37, s0
	s_mul_i32 s43, s0, s1
	s_mul_hi_u32 s45, s0, s44
	s_mul_hi_u32 s42, s0, s1
	s_add_u32 s43, s45, s43
	s_addc_u32 s42, 0, s42
	s_mul_hi_u32 s46, s41, s44
	s_mul_i32 s44, s41, s44
	s_add_u32 s43, s43, s44
	s_mul_hi_u32 s45, s41, s1
	s_addc_u32 s42, s42, s46
	s_addc_u32 s43, s45, 0
	s_mul_i32 s1, s41, s1
	s_add_u32 s1, s42, s1
	s_addc_u32 s42, 0, s43
	s_add_u32 s43, s0, s1
	s_cselect_b64 s[0:1], -1, 0
	s_cmp_lg_u64 s[0:1], 0
	s_addc_u32 s41, s41, s42
	s_mul_i32 s0, s37, s41
	s_mul_hi_u32 s1, s37, s43
	s_add_i32 s0, s1, s0
	s_mul_i32 s40, s40, s43
	s_add_i32 s0, s0, s40
	s_mul_i32 s37, s37, s43
	s_mul_hi_u32 s40, s41, s37
	s_mul_i32 s42, s41, s37
	s_mul_i32 s45, s43, s0
	s_mul_hi_u32 s37, s43, s37
	s_mul_hi_u32 s44, s43, s0
	s_add_u32 s37, s37, s45
	s_addc_u32 s44, 0, s44
	s_add_u32 s37, s37, s42
	s_mul_hi_u32 s1, s41, s0
	s_addc_u32 s37, s44, s40
	s_addc_u32 s1, s1, 0
	s_mul_i32 s0, s41, s0
	s_add_u32 s0, s37, s0
	s_addc_u32 s37, 0, s1
	s_add_u32 s40, s43, s0
	s_cselect_b64 s[0:1], -1, 0
	s_cmp_lg_u64 s[0:1], 0
	v_add_co_u32_e32 v3, vcc, v0, v7
	s_addc_u32 s37, s41, s37
	v_xor_b32_e32 v8, v3, v7
	v_mad_u64_u32 v[3:4], s[0:1], v8, s37, 0
	v_mul_hi_u32 v6, v8, s40
	v_addc_co_u32_e32 v5, vcc, v1, v7, vcc
	v_xor_b32_e32 v9, v5, v7
	v_add_co_u32_e32 v10, vcc, v6, v3
	v_addc_co_u32_e32 v11, vcc, 0, v4, vcc
	v_mad_u64_u32 v[3:4], s[0:1], v9, s40, 0
	v_mad_u64_u32 v[5:6], s[0:1], v9, s37, 0
	v_add_co_u32_e32 v3, vcc, v10, v3
	v_addc_co_u32_e32 v3, vcc, v11, v4, vcc
	v_addc_co_u32_e32 v4, vcc, 0, v6, vcc
	v_add_co_u32_e32 v5, vcc, v3, v5
	v_addc_co_u32_e32 v6, vcc, 0, v4, vcc
	v_mul_lo_u32 v10, s39, v5
	v_mul_lo_u32 v11, s38, v6
	v_mad_u64_u32 v[3:4], s[0:1], s38, v5, 0
	v_add3_u32 v4, v4, v11, v10
	v_sub_u32_e32 v10, v9, v4
	v_mov_b32_e32 v11, s39
	v_sub_co_u32_e32 v3, vcc, v8, v3
	v_subb_co_u32_e64 v8, s[0:1], v10, v11, vcc
	v_subrev_co_u32_e64 v10, s[0:1], s38, v3
	v_subbrev_co_u32_e64 v8, s[0:1], 0, v8, s[0:1]
	v_cmp_le_u32_e64 s[0:1], s39, v8
	v_cndmask_b32_e64 v11, 0, -1, s[0:1]
	v_cmp_le_u32_e64 s[0:1], s38, v10
	v_cndmask_b32_e64 v10, 0, -1, s[0:1]
	v_cmp_eq_u32_e64 s[0:1], s39, v8
	v_cndmask_b32_e64 v8, v11, v10, s[0:1]
	v_add_co_u32_e64 v10, s[0:1], 2, v5
	v_subb_co_u32_e32 v4, vcc, v9, v4, vcc
	v_addc_co_u32_e64 v11, s[0:1], 0, v6, s[0:1]
	v_cmp_le_u32_e32 vcc, s39, v4
	v_add_co_u32_e64 v12, s[0:1], 1, v5
	v_cndmask_b32_e64 v9, 0, -1, vcc
	v_cmp_le_u32_e32 vcc, s38, v3
	v_addc_co_u32_e64 v13, s[0:1], 0, v6, s[0:1]
	v_cndmask_b32_e64 v3, 0, -1, vcc
	v_cmp_eq_u32_e32 vcc, s39, v4
	v_cmp_ne_u32_e64 s[0:1], 0, v8
	v_cndmask_b32_e32 v3, v9, v3, vcc
	v_cmp_ne_u32_e32 vcc, 0, v3
	v_cndmask_b32_e64 v4, v12, v10, s[0:1]
	v_cndmask_b32_e64 v8, v13, v11, s[0:1]
	v_cndmask_b32_e32 v4, v5, v4, vcc
	v_xor_b32_e32 v5, s36, v7
	v_cndmask_b32_e32 v3, v6, v8, vcc
	v_xor_b32_e32 v4, v4, v5
	v_xor_b32_e32 v3, v3, v5
	v_sub_co_u32_e32 v6, vcc, v4, v5
	v_subb_co_u32_e32 v7, vcc, v3, v5, vcc
.LBB98_5:                               ;   in Loop: Header=BB98_3 Depth=1
	s_andn2_saveexec_b64 s[0:1], s[2:3]
	s_cbranch_execz .LBB98_7
; %bb.6:                                ;   in Loop: Header=BB98_3 Depth=1
	v_cvt_f32_u32_e32 v3, s6
	s_sub_i32 s2, 0, s6
	v_mov_b32_e32 v7, v2
	v_rcp_iflag_f32_e32 v3, v3
	v_mul_f32_e32 v3, 0x4f7ffffe, v3
	v_cvt_u32_f32_e32 v3, v3
	v_mul_lo_u32 v4, s2, v3
	v_mul_hi_u32 v4, v3, v4
	v_add_u32_e32 v3, v3, v4
	v_mul_hi_u32 v3, v0, v3
	v_mul_lo_u32 v4, v3, s6
	v_add_u32_e32 v5, 1, v3
	v_sub_u32_e32 v4, v0, v4
	v_subrev_u32_e32 v6, s6, v4
	v_cmp_le_u32_e32 vcc, s6, v4
	v_cndmask_b32_e32 v4, v4, v6, vcc
	v_cndmask_b32_e32 v3, v3, v5, vcc
	v_add_u32_e32 v5, 1, v3
	v_cmp_le_u32_e32 vcc, s6, v4
	v_cndmask_b32_e32 v6, v3, v5, vcc
.LBB98_7:                               ;   in Loop: Header=BB98_3 Depth=1
	s_or_b64 exec, exec, s[0:1]
	s_waitcnt lgkmcnt(0)
	v_or_b32_e32 v3, s17, v7
	v_cmp_ne_u64_e32 vcc, 0, v[2:3]
                                        ; implicit-def: $vgpr8_vgpr9
	s_and_saveexec_b64 s[0:1], vcc
	s_xor_b64 s[2:3], exec, s[0:1]
	s_cbranch_execz .LBB98_9
; %bb.8:                                ;   in Loop: Header=BB98_3 Depth=1
	s_ashr_i32 s36, s17, 31
	s_add_u32 s0, s16, s36
	s_mov_b32 s37, s36
	s_addc_u32 s1, s17, s36
	s_xor_b64 s[38:39], s[0:1], s[36:37]
	v_cvt_f32_u32_e32 v3, s38
	v_cvt_f32_u32_e32 v4, s39
	s_sub_u32 s37, 0, s38
	s_subb_u32 s40, 0, s39
	v_ashrrev_i32_e32 v5, 31, v7
	v_mac_f32_e32 v3, 0x4f800000, v4
	v_rcp_f32_e32 v3, v3
	v_mul_f32_e32 v3, 0x5f7ffffc, v3
	v_mul_f32_e32 v4, 0x2f800000, v3
	v_trunc_f32_e32 v4, v4
	v_mac_f32_e32 v3, 0xcf800000, v4
	v_cvt_u32_f32_e32 v4, v4
	v_cvt_u32_f32_e32 v3, v3
	v_readfirstlane_b32 s41, v4
	v_readfirstlane_b32 s0, v3
	s_mul_i32 s1, s37, s41
	s_mul_hi_u32 s43, s37, s0
	s_mul_i32 s42, s40, s0
	s_add_i32 s1, s43, s1
	s_add_i32 s1, s1, s42
	s_mul_i32 s44, s37, s0
	s_mul_i32 s43, s0, s1
	s_mul_hi_u32 s45, s0, s44
	s_mul_hi_u32 s42, s0, s1
	s_add_u32 s43, s45, s43
	s_addc_u32 s42, 0, s42
	s_mul_hi_u32 s46, s41, s44
	s_mul_i32 s44, s41, s44
	s_add_u32 s43, s43, s44
	s_mul_hi_u32 s45, s41, s1
	s_addc_u32 s42, s42, s46
	s_addc_u32 s43, s45, 0
	s_mul_i32 s1, s41, s1
	s_add_u32 s1, s42, s1
	s_addc_u32 s42, 0, s43
	s_add_u32 s43, s0, s1
	s_cselect_b64 s[0:1], -1, 0
	s_cmp_lg_u64 s[0:1], 0
	s_addc_u32 s41, s41, s42
	s_mul_i32 s0, s37, s41
	s_mul_hi_u32 s1, s37, s43
	s_add_i32 s0, s1, s0
	s_mul_i32 s40, s40, s43
	s_add_i32 s0, s0, s40
	s_mul_i32 s37, s37, s43
	s_mul_hi_u32 s40, s41, s37
	s_mul_i32 s42, s41, s37
	s_mul_i32 s45, s43, s0
	s_mul_hi_u32 s37, s43, s37
	s_mul_hi_u32 s44, s43, s0
	s_add_u32 s37, s37, s45
	s_addc_u32 s44, 0, s44
	s_add_u32 s37, s37, s42
	s_mul_hi_u32 s1, s41, s0
	s_addc_u32 s37, s44, s40
	s_addc_u32 s1, s1, 0
	s_mul_i32 s0, s41, s0
	s_add_u32 s0, s37, s0
	s_addc_u32 s37, 0, s1
	s_add_u32 s40, s43, s0
	s_cselect_b64 s[0:1], -1, 0
	s_cmp_lg_u64 s[0:1], 0
	v_add_co_u32_e32 v3, vcc, v6, v5
	s_addc_u32 s37, s41, s37
	v_xor_b32_e32 v10, v3, v5
	v_mad_u64_u32 v[3:4], s[0:1], v10, s37, 0
	v_mul_hi_u32 v9, v10, s40
	v_addc_co_u32_e32 v8, vcc, v7, v5, vcc
	v_xor_b32_e32 v11, v8, v5
	v_add_co_u32_e32 v12, vcc, v9, v3
	v_addc_co_u32_e32 v13, vcc, 0, v4, vcc
	v_mad_u64_u32 v[3:4], s[0:1], v11, s40, 0
	v_mad_u64_u32 v[8:9], s[0:1], v11, s37, 0
	v_add_co_u32_e32 v3, vcc, v12, v3
	v_addc_co_u32_e32 v3, vcc, v13, v4, vcc
	v_addc_co_u32_e32 v4, vcc, 0, v9, vcc
	v_add_co_u32_e32 v8, vcc, v3, v8
	v_addc_co_u32_e32 v9, vcc, 0, v4, vcc
	v_mul_lo_u32 v12, s39, v8
	v_mul_lo_u32 v13, s38, v9
	v_mad_u64_u32 v[3:4], s[0:1], s38, v8, 0
	v_xor_b32_e32 v5, s36, v5
	v_add3_u32 v4, v4, v13, v12
	v_sub_u32_e32 v12, v11, v4
	v_mov_b32_e32 v13, s39
	v_sub_co_u32_e32 v3, vcc, v10, v3
	v_subb_co_u32_e64 v10, s[0:1], v12, v13, vcc
	v_subrev_co_u32_e64 v12, s[0:1], s38, v3
	v_subbrev_co_u32_e64 v10, s[0:1], 0, v10, s[0:1]
	v_cmp_le_u32_e64 s[0:1], s39, v10
	v_cndmask_b32_e64 v13, 0, -1, s[0:1]
	v_cmp_le_u32_e64 s[0:1], s38, v12
	v_cndmask_b32_e64 v12, 0, -1, s[0:1]
	v_cmp_eq_u32_e64 s[0:1], s39, v10
	v_cndmask_b32_e64 v10, v13, v12, s[0:1]
	v_add_co_u32_e64 v12, s[0:1], 2, v8
	v_subb_co_u32_e32 v4, vcc, v11, v4, vcc
	v_addc_co_u32_e64 v13, s[0:1], 0, v9, s[0:1]
	v_cmp_le_u32_e32 vcc, s39, v4
	v_add_co_u32_e64 v14, s[0:1], 1, v8
	v_cndmask_b32_e64 v11, 0, -1, vcc
	v_cmp_le_u32_e32 vcc, s38, v3
	v_addc_co_u32_e64 v15, s[0:1], 0, v9, s[0:1]
	v_cndmask_b32_e64 v3, 0, -1, vcc
	v_cmp_eq_u32_e32 vcc, s39, v4
	v_cmp_ne_u32_e64 s[0:1], 0, v10
	v_cndmask_b32_e32 v3, v11, v3, vcc
	v_cmp_ne_u32_e32 vcc, 0, v3
	v_cndmask_b32_e64 v4, v14, v12, s[0:1]
	v_cndmask_b32_e64 v10, v15, v13, s[0:1]
	v_cndmask_b32_e32 v4, v8, v4, vcc
	v_cndmask_b32_e32 v3, v9, v10, vcc
	v_xor_b32_e32 v4, v4, v5
	v_xor_b32_e32 v3, v3, v5
	v_sub_co_u32_e32 v8, vcc, v4, v5
	v_subb_co_u32_e32 v9, vcc, v3, v5, vcc
.LBB98_9:                               ;   in Loop: Header=BB98_3 Depth=1
	s_andn2_saveexec_b64 s[0:1], s[2:3]
	s_cbranch_execz .LBB98_11
; %bb.10:                               ;   in Loop: Header=BB98_3 Depth=1
	v_cvt_f32_u32_e32 v3, s16
	s_sub_i32 s2, 0, s16
	v_mov_b32_e32 v9, v2
	v_rcp_iflag_f32_e32 v3, v3
	v_mul_f32_e32 v3, 0x4f7ffffe, v3
	v_cvt_u32_f32_e32 v3, v3
	v_mul_lo_u32 v4, s2, v3
	v_mul_hi_u32 v4, v3, v4
	v_add_u32_e32 v3, v3, v4
	v_mul_hi_u32 v3, v6, v3
	v_mul_lo_u32 v4, v3, s16
	v_add_u32_e32 v5, 1, v3
	v_sub_u32_e32 v4, v6, v4
	v_subrev_u32_e32 v8, s16, v4
	v_cmp_le_u32_e32 vcc, s16, v4
	v_cndmask_b32_e32 v4, v4, v8, vcc
	v_cndmask_b32_e32 v3, v3, v5, vcc
	v_add_u32_e32 v5, 1, v3
	v_cmp_le_u32_e32 vcc, s16, v4
	v_cndmask_b32_e32 v8, v3, v5, vcc
.LBB98_11:                              ;   in Loop: Header=BB98_3 Depth=1
	s_or_b64 exec, exec, s[0:1]
	v_mul_lo_u32 v5, v7, s6
	v_mul_lo_u32 v10, v6, s7
	v_mad_u64_u32 v[3:4], s[0:1], v6, s6, 0
	v_mul_lo_u32 v12, v9, s16
	v_mul_lo_u32 v13, v8, s17
	v_add3_u32 v5, v4, v10, v5
	v_mad_u64_u32 v[10:11], s[0:1], v8, s16, 0
	v_sub_co_u32_e32 v4, vcc, v0, v3
	v_subb_co_u32_e32 v5, vcc, v1, v5, vcc
	v_add3_u32 v3, v11, v13, v12
	v_sub_co_u32_e32 v18, vcc, v6, v10
	v_subb_co_u32_e32 v19, vcc, v7, v3, vcc
	v_sub_co_u32_e32 v6, vcc, v4, v18
	v_subb_co_u32_e32 v7, vcc, v5, v19, vcc
	v_cmp_gt_i64_e32 vcc, s[8:9], v[6:7]
	s_and_saveexec_b64 s[36:37], vcc
	s_cbranch_execz .LBB98_2
; %bb.12:                               ;   in Loop: Header=BB98_3 Depth=1
	s_load_dwordx4 s[0:3], s[18:19], 0xc0
	s_andn2_b64 vcc, exec, s[14:15]
	s_waitcnt lgkmcnt(0)
	v_mul_lo_u32 v3, s3, v4
	v_mul_lo_u32 v10, s2, v5
	v_mad_u64_u32 v[6:7], s[38:39], s2, v4, 0
	v_mul_lo_u32 v11, s0, v19
	v_add3_u32 v7, v7, v10, v3
	v_mad_u64_u32 v[6:7], s[38:39], s0, v18, v[6:7]
	v_mul_lo_u32 v3, s1, v18
	v_add3_u32 v7, v3, v7, v11
	s_cbranch_vccnz .LBB98_38
; %bb.13:                               ;   in Loop: Header=BB98_3 Depth=1
	s_andn2_b64 vcc, exec, s[26:27]
	s_mov_b64 s[38:39], s[24:25]
	s_mov_b64 s[40:41], s[34:35]
	;; [unrolled: 1-line block ×4, first 2 shown]
	s_cbranch_vccz .LBB98_17
.LBB98_14:                              ;   in Loop: Header=BB98_3 Depth=1
	s_andn2_b64 vcc, exec, s[28:29]
	s_cbranch_vccnz .LBB98_38
; %bb.15:                               ;   in Loop: Header=BB98_3 Depth=1
	s_lshl_b64 s[0:1], s[42:43], 3
	s_add_u32 s38, s64, s0
	s_addc_u32 s39, s65, s1
	s_add_u32 s40, s66, s0
	s_addc_u32 s41, s67, s1
	;; [unrolled: 2-line block ×3, first 2 shown]
	s_branch .LBB98_22
.LBB98_16:                              ;   in Loop: Header=BB98_17 Depth=2
	s_or_b64 exec, exec, s[0:1]
	v_mul_lo_u32 v3, v11, s46
	v_mul_lo_u32 v14, v10, s47
	v_mad_u64_u32 v[12:13], s[0:1], v10, s46, 0
	s_load_dwordx2 s[0:1], s[44:45], 0x0
	s_add_u32 s42, s42, -1
	v_add3_u32 v3, v13, v14, v3
	v_sub_co_u32_e32 v8, vcc, v8, v12
	s_addc_u32 s43, s43, -1
	v_subb_co_u32_e32 v3, vcc, v9, v3, vcc
	s_add_u32 s44, s44, -8
	s_waitcnt lgkmcnt(0)
	v_mul_lo_u32 v3, s0, v3
	v_mul_lo_u32 v9, s1, v8
	v_mad_u64_u32 v[6:7], s[0:1], s0, v8, v[6:7]
	s_addc_u32 s45, s45, -1
	s_add_u32 s40, s40, -8
	s_addc_u32 s41, s41, -1
	s_add_u32 s38, s38, -1
	s_addc_u32 s39, s39, -1
	v_add3_u32 v7, v9, v7, v3
	v_mov_b32_e32 v8, v10
	s_cmp_lg_u64 s[38:39], 0
	v_mov_b32_e32 v9, v11
	s_cbranch_scc0 .LBB98_14
.LBB98_17:                              ;   Parent Loop BB98_3 Depth=1
                                        ; =>  This Inner Loop Header: Depth=2
	s_load_dwordx2 s[46:47], s[40:41], 0x0
                                        ; implicit-def: $vgpr10_vgpr11
	s_waitcnt lgkmcnt(0)
	v_or_b32_e32 v3, s47, v9
	v_cmp_ne_u64_e32 vcc, 0, v[2:3]
	s_and_saveexec_b64 s[0:1], vcc
	s_xor_b64 s[48:49], exec, s[0:1]
	s_cbranch_execz .LBB98_19
; %bb.18:                               ;   in Loop: Header=BB98_17 Depth=2
	s_ashr_i32 s50, s47, 31
	s_add_u32 s0, s46, s50
	s_mov_b32 s51, s50
	s_addc_u32 s1, s47, s50
	s_xor_b64 s[52:53], s[0:1], s[50:51]
	v_cvt_f32_u32_e32 v3, s52
	v_cvt_f32_u32_e32 v10, s53
	s_sub_u32 s51, 0, s52
	s_subb_u32 s54, 0, s53
	v_mac_f32_e32 v3, 0x4f800000, v10
	v_rcp_f32_e32 v3, v3
	v_mul_f32_e32 v3, 0x5f7ffffc, v3
	v_mul_f32_e32 v10, 0x2f800000, v3
	v_trunc_f32_e32 v10, v10
	v_mac_f32_e32 v3, 0xcf800000, v10
	v_cvt_u32_f32_e32 v10, v10
	v_cvt_u32_f32_e32 v3, v3
	v_readfirstlane_b32 s55, v10
	v_readfirstlane_b32 s0, v3
	s_mul_i32 s1, s51, s55
	s_mul_hi_u32 s57, s51, s0
	s_mul_i32 s56, s54, s0
	s_add_i32 s1, s57, s1
	s_add_i32 s1, s1, s56
	s_mul_i32 s58, s51, s0
	s_mul_i32 s57, s0, s1
	s_mul_hi_u32 s59, s0, s58
	s_mul_hi_u32 s56, s0, s1
	s_add_u32 s57, s59, s57
	s_addc_u32 s56, 0, s56
	s_mul_hi_u32 s60, s55, s58
	s_mul_i32 s58, s55, s58
	s_add_u32 s57, s57, s58
	s_mul_hi_u32 s59, s55, s1
	s_addc_u32 s56, s56, s60
	s_addc_u32 s57, s59, 0
	s_mul_i32 s1, s55, s1
	s_add_u32 s1, s56, s1
	s_addc_u32 s56, 0, s57
	s_add_u32 s57, s0, s1
	s_cselect_b64 s[0:1], -1, 0
	s_cmp_lg_u64 s[0:1], 0
	s_addc_u32 s55, s55, s56
	s_mul_i32 s0, s51, s55
	s_mul_hi_u32 s1, s51, s57
	s_add_i32 s0, s1, s0
	s_mul_i32 s54, s54, s57
	s_add_i32 s0, s0, s54
	s_mul_i32 s51, s51, s57
	s_mul_hi_u32 s54, s55, s51
	s_mul_i32 s56, s55, s51
	s_mul_i32 s59, s57, s0
	s_mul_hi_u32 s51, s57, s51
	s_mul_hi_u32 s58, s57, s0
	s_add_u32 s51, s51, s59
	s_addc_u32 s58, 0, s58
	s_add_u32 s51, s51, s56
	s_mul_hi_u32 s1, s55, s0
	s_addc_u32 s51, s58, s54
	s_addc_u32 s1, s1, 0
	s_mul_i32 s0, s55, s0
	s_add_u32 s0, s51, s0
	s_addc_u32 s51, 0, s1
	s_add_u32 s54, s57, s0
	s_cselect_b64 s[0:1], -1, 0
	v_ashrrev_i32_e32 v3, 31, v9
	s_cmp_lg_u64 s[0:1], 0
	v_add_co_u32_e32 v10, vcc, v8, v3
	s_addc_u32 s51, s55, s51
	v_xor_b32_e32 v14, v10, v3
	v_mad_u64_u32 v[10:11], s[0:1], v14, s51, 0
	v_mul_hi_u32 v13, v14, s54
	v_addc_co_u32_e32 v12, vcc, v9, v3, vcc
	v_xor_b32_e32 v15, v12, v3
	v_add_co_u32_e32 v16, vcc, v13, v10
	v_addc_co_u32_e32 v17, vcc, 0, v11, vcc
	v_mad_u64_u32 v[10:11], s[0:1], v15, s54, 0
	v_mad_u64_u32 v[12:13], s[0:1], v15, s51, 0
	v_add_co_u32_e32 v10, vcc, v16, v10
	v_addc_co_u32_e32 v10, vcc, v17, v11, vcc
	v_addc_co_u32_e32 v11, vcc, 0, v13, vcc
	v_add_co_u32_e32 v12, vcc, v10, v12
	v_addc_co_u32_e32 v13, vcc, 0, v11, vcc
	v_mul_lo_u32 v16, s53, v12
	v_mul_lo_u32 v17, s52, v13
	v_mad_u64_u32 v[10:11], s[0:1], s52, v12, 0
	v_xor_b32_e32 v3, s50, v3
	v_add3_u32 v11, v11, v17, v16
	v_sub_u32_e32 v16, v15, v11
	v_mov_b32_e32 v17, s53
	v_sub_co_u32_e32 v10, vcc, v14, v10
	v_subb_co_u32_e64 v14, s[0:1], v16, v17, vcc
	v_subrev_co_u32_e64 v16, s[0:1], s52, v10
	v_subbrev_co_u32_e64 v14, s[0:1], 0, v14, s[0:1]
	v_cmp_le_u32_e64 s[0:1], s53, v14
	v_cndmask_b32_e64 v17, 0, -1, s[0:1]
	v_cmp_le_u32_e64 s[0:1], s52, v16
	v_cndmask_b32_e64 v16, 0, -1, s[0:1]
	v_cmp_eq_u32_e64 s[0:1], s53, v14
	v_cndmask_b32_e64 v14, v17, v16, s[0:1]
	v_add_co_u32_e64 v16, s[0:1], 2, v12
	v_subb_co_u32_e32 v11, vcc, v15, v11, vcc
	v_addc_co_u32_e64 v17, s[0:1], 0, v13, s[0:1]
	v_cmp_le_u32_e32 vcc, s53, v11
	v_add_co_u32_e64 v20, s[0:1], 1, v12
	v_cndmask_b32_e64 v15, 0, -1, vcc
	v_cmp_le_u32_e32 vcc, s52, v10
	v_addc_co_u32_e64 v21, s[0:1], 0, v13, s[0:1]
	v_cndmask_b32_e64 v10, 0, -1, vcc
	v_cmp_eq_u32_e32 vcc, s53, v11
	v_cmp_ne_u32_e64 s[0:1], 0, v14
	v_cndmask_b32_e32 v10, v15, v10, vcc
	v_cndmask_b32_e64 v14, v21, v17, s[0:1]
	v_cmp_ne_u32_e32 vcc, 0, v10
	v_cndmask_b32_e64 v11, v20, v16, s[0:1]
	v_cndmask_b32_e32 v10, v13, v14, vcc
	v_cndmask_b32_e32 v11, v12, v11, vcc
	v_xor_b32_e32 v12, v10, v3
	v_xor_b32_e32 v10, v11, v3
	v_sub_co_u32_e32 v10, vcc, v10, v3
	v_subb_co_u32_e32 v11, vcc, v12, v3, vcc
.LBB98_19:                              ;   in Loop: Header=BB98_17 Depth=2
	s_andn2_saveexec_b64 s[0:1], s[48:49]
	s_cbranch_execz .LBB98_16
; %bb.20:                               ;   in Loop: Header=BB98_17 Depth=2
	v_cvt_f32_u32_e32 v3, s46
	s_sub_i32 s48, 0, s46
	v_rcp_iflag_f32_e32 v3, v3
	v_mul_f32_e32 v3, 0x4f7ffffe, v3
	v_cvt_u32_f32_e32 v3, v3
	v_mul_lo_u32 v10, s48, v3
	v_mul_hi_u32 v10, v3, v10
	v_add_u32_e32 v3, v3, v10
	v_mul_hi_u32 v3, v8, v3
	v_mul_lo_u32 v10, v3, s46
	v_add_u32_e32 v11, 1, v3
	v_sub_u32_e32 v10, v8, v10
	v_subrev_u32_e32 v12, s46, v10
	v_cmp_le_u32_e32 vcc, s46, v10
	v_cndmask_b32_e32 v10, v10, v12, vcc
	v_cndmask_b32_e32 v3, v3, v11, vcc
	v_add_u32_e32 v11, 1, v3
	v_cmp_le_u32_e32 vcc, s46, v10
	v_cndmask_b32_e32 v10, v3, v11, vcc
	v_mov_b32_e32 v11, v2
	s_branch .LBB98_16
.LBB98_21:                              ;   in Loop: Header=BB98_22 Depth=2
	s_or_b64 exec, exec, s[0:1]
	v_mul_lo_u32 v3, v11, s44
	v_mul_lo_u32 v22, v10, s45
	v_mad_u64_u32 v[20:21], s[0:1], v10, s44, 0
	v_add3_u32 v3, v21, v22, v3
	v_sub_co_u32_e32 v8, vcc, v8, v20
	v_subb_co_u32_e32 v3, vcc, v9, v3, vcc
	v_mul_lo_u32 v3, s48, v3
	v_mul_lo_u32 v20, s49, v8
	v_mad_u64_u32 v[6:7], s[0:1], s48, v8, v[6:7]
	v_mul_lo_u32 v21, v13, s46
	v_mul_lo_u32 v22, v12, s47
	v_mad_u64_u32 v[8:9], s[0:1], v12, s46, 0
	v_add3_u32 v7, v20, v7, v3
	v_mul_lo_u32 v20, v14, s51
	v_add3_u32 v3, v9, v22, v21
	v_sub_co_u32_e32 v8, vcc, v10, v8
	v_subb_co_u32_e32 v3, vcc, v11, v3, vcc
	v_mad_u64_u32 v[6:7], s[0:1], s52, v8, v[6:7]
	v_mul_lo_u32 v3, s52, v3
	v_mul_lo_u32 v10, s53, v8
	;; [unrolled: 1-line block ×3, first 2 shown]
	v_mad_u64_u32 v[8:9], s[0:1], v14, s50, 0
	v_add3_u32 v7, v10, v7, v3
	v_add3_u32 v3, v9, v20, v11
	v_sub_co_u32_e32 v8, vcc, v12, v8
	v_subb_co_u32_e32 v3, vcc, v13, v3, vcc
	v_mad_u64_u32 v[6:7], s[0:1], s56, v8, v[6:7]
	v_mul_lo_u32 v3, s56, v3
	v_mul_lo_u32 v10, s57, v8
	;; [unrolled: 1-line block ×4, first 2 shown]
	v_mad_u64_u32 v[8:9], s[0:1], v16, s54, 0
	s_load_dwordx2 s[0:1], s[38:39], 0x0
	v_add3_u32 v7, v10, v7, v3
	v_add3_u32 v3, v9, v12, v11
	v_sub_co_u32_e32 v8, vcc, v14, v8
	v_subb_co_u32_e32 v3, vcc, v15, v3, vcc
	s_add_u32 s38, s38, 0xffffffe0
	s_waitcnt lgkmcnt(0)
	v_mad_u64_u32 v[6:7], s[44:45], s0, v8, v[6:7]
	v_mul_lo_u32 v3, s0, v3
	v_mul_lo_u32 v8, s1, v8
	s_addc_u32 s39, s39, -1
	s_add_u32 s40, s40, 0xffffffe0
	s_addc_u32 s41, s41, -1
	s_add_u32 s42, s42, -4
	v_add3_u32 v7, v8, v7, v3
	s_addc_u32 s43, s43, -1
	v_mov_b32_e32 v8, v16
	s_cmp_eq_u64 s[42:43], 0
	v_mov_b32_e32 v9, v17
	s_cbranch_scc1 .LBB98_38
.LBB98_22:                              ;   Parent Loop BB98_3 Depth=1
                                        ; =>  This Inner Loop Header: Depth=2
	s_load_dwordx2 s[44:45], s[40:41], 0x18
                                        ; implicit-def: $vgpr10_vgpr11
	s_waitcnt lgkmcnt(0)
	v_or_b32_e32 v3, s45, v9
	v_cmp_ne_u64_e32 vcc, 0, v[2:3]
	s_and_saveexec_b64 s[0:1], vcc
	s_xor_b64 s[46:47], exec, s[0:1]
	s_cbranch_execz .LBB98_24
; %bb.23:                               ;   in Loop: Header=BB98_22 Depth=2
	s_ashr_i32 s48, s45, 31
	s_add_u32 s0, s44, s48
	s_mov_b32 s49, s48
	s_addc_u32 s1, s45, s48
	s_xor_b64 s[50:51], s[0:1], s[48:49]
	v_cvt_f32_u32_e32 v3, s50
	v_cvt_f32_u32_e32 v10, s51
	s_sub_u32 s49, 0, s50
	s_subb_u32 s52, 0, s51
	v_mac_f32_e32 v3, 0x4f800000, v10
	v_rcp_f32_e32 v3, v3
	v_mul_f32_e32 v3, 0x5f7ffffc, v3
	v_mul_f32_e32 v10, 0x2f800000, v3
	v_trunc_f32_e32 v10, v10
	v_mac_f32_e32 v3, 0xcf800000, v10
	v_cvt_u32_f32_e32 v10, v10
	v_cvt_u32_f32_e32 v3, v3
	v_readfirstlane_b32 s53, v10
	v_readfirstlane_b32 s0, v3
	s_mul_i32 s1, s49, s53
	s_mul_hi_u32 s55, s49, s0
	s_mul_i32 s54, s52, s0
	s_add_i32 s1, s55, s1
	s_add_i32 s1, s1, s54
	s_mul_i32 s56, s49, s0
	s_mul_i32 s55, s0, s1
	s_mul_hi_u32 s57, s0, s56
	s_mul_hi_u32 s54, s0, s1
	s_add_u32 s55, s57, s55
	s_addc_u32 s54, 0, s54
	s_mul_hi_u32 s58, s53, s56
	s_mul_i32 s56, s53, s56
	s_add_u32 s55, s55, s56
	s_mul_hi_u32 s57, s53, s1
	s_addc_u32 s54, s54, s58
	s_addc_u32 s55, s57, 0
	s_mul_i32 s1, s53, s1
	s_add_u32 s1, s54, s1
	s_addc_u32 s54, 0, s55
	s_add_u32 s55, s0, s1
	s_cselect_b64 s[0:1], -1, 0
	s_cmp_lg_u64 s[0:1], 0
	s_addc_u32 s53, s53, s54
	s_mul_i32 s0, s49, s53
	s_mul_hi_u32 s1, s49, s55
	s_add_i32 s0, s1, s0
	s_mul_i32 s52, s52, s55
	s_add_i32 s0, s0, s52
	s_mul_i32 s49, s49, s55
	s_mul_hi_u32 s52, s53, s49
	s_mul_i32 s54, s53, s49
	s_mul_i32 s57, s55, s0
	s_mul_hi_u32 s49, s55, s49
	s_mul_hi_u32 s56, s55, s0
	s_add_u32 s49, s49, s57
	s_addc_u32 s56, 0, s56
	s_add_u32 s49, s49, s54
	s_mul_hi_u32 s1, s53, s0
	s_addc_u32 s49, s56, s52
	s_addc_u32 s1, s1, 0
	s_mul_i32 s0, s53, s0
	s_add_u32 s0, s49, s0
	s_addc_u32 s49, 0, s1
	s_add_u32 s52, s55, s0
	s_cselect_b64 s[0:1], -1, 0
	v_ashrrev_i32_e32 v3, 31, v9
	s_cmp_lg_u64 s[0:1], 0
	v_add_co_u32_e32 v10, vcc, v8, v3
	s_addc_u32 s49, s53, s49
	v_xor_b32_e32 v14, v10, v3
	v_mad_u64_u32 v[10:11], s[0:1], v14, s49, 0
	v_mul_hi_u32 v13, v14, s52
	v_addc_co_u32_e32 v12, vcc, v9, v3, vcc
	v_xor_b32_e32 v15, v12, v3
	v_add_co_u32_e32 v16, vcc, v13, v10
	v_addc_co_u32_e32 v17, vcc, 0, v11, vcc
	v_mad_u64_u32 v[10:11], s[0:1], v15, s52, 0
	v_mad_u64_u32 v[12:13], s[0:1], v15, s49, 0
	v_add_co_u32_e32 v10, vcc, v16, v10
	v_addc_co_u32_e32 v10, vcc, v17, v11, vcc
	v_addc_co_u32_e32 v11, vcc, 0, v13, vcc
	v_add_co_u32_e32 v12, vcc, v10, v12
	v_addc_co_u32_e32 v13, vcc, 0, v11, vcc
	v_mul_lo_u32 v16, s51, v12
	v_mul_lo_u32 v17, s50, v13
	v_mad_u64_u32 v[10:11], s[0:1], s50, v12, 0
	v_xor_b32_e32 v3, s48, v3
	v_add3_u32 v11, v11, v17, v16
	v_sub_u32_e32 v16, v15, v11
	v_mov_b32_e32 v17, s51
	v_sub_co_u32_e32 v10, vcc, v14, v10
	v_subb_co_u32_e64 v14, s[0:1], v16, v17, vcc
	v_subrev_co_u32_e64 v16, s[0:1], s50, v10
	v_subbrev_co_u32_e64 v14, s[0:1], 0, v14, s[0:1]
	v_cmp_le_u32_e64 s[0:1], s51, v14
	v_cndmask_b32_e64 v17, 0, -1, s[0:1]
	v_cmp_le_u32_e64 s[0:1], s50, v16
	v_cndmask_b32_e64 v16, 0, -1, s[0:1]
	v_cmp_eq_u32_e64 s[0:1], s51, v14
	v_cndmask_b32_e64 v14, v17, v16, s[0:1]
	v_add_co_u32_e64 v16, s[0:1], 2, v12
	v_subb_co_u32_e32 v11, vcc, v15, v11, vcc
	v_addc_co_u32_e64 v17, s[0:1], 0, v13, s[0:1]
	v_cmp_le_u32_e32 vcc, s51, v11
	v_add_co_u32_e64 v20, s[0:1], 1, v12
	v_cndmask_b32_e64 v15, 0, -1, vcc
	v_cmp_le_u32_e32 vcc, s50, v10
	v_addc_co_u32_e64 v21, s[0:1], 0, v13, s[0:1]
	v_cndmask_b32_e64 v10, 0, -1, vcc
	v_cmp_eq_u32_e32 vcc, s51, v11
	v_cmp_ne_u32_e64 s[0:1], 0, v14
	v_cndmask_b32_e32 v10, v15, v10, vcc
	v_cndmask_b32_e64 v14, v21, v17, s[0:1]
	v_cmp_ne_u32_e32 vcc, 0, v10
	v_cndmask_b32_e64 v11, v20, v16, s[0:1]
	v_cndmask_b32_e32 v10, v13, v14, vcc
	v_cndmask_b32_e32 v11, v12, v11, vcc
	v_xor_b32_e32 v12, v10, v3
	v_xor_b32_e32 v10, v11, v3
	v_sub_co_u32_e32 v10, vcc, v10, v3
	v_subb_co_u32_e32 v11, vcc, v12, v3, vcc
.LBB98_24:                              ;   in Loop: Header=BB98_22 Depth=2
	s_andn2_saveexec_b64 s[0:1], s[46:47]
	s_cbranch_execz .LBB98_26
; %bb.25:                               ;   in Loop: Header=BB98_22 Depth=2
	v_cvt_f32_u32_e32 v3, s44
	s_sub_i32 s46, 0, s44
	v_rcp_iflag_f32_e32 v3, v3
	v_mul_f32_e32 v3, 0x4f7ffffe, v3
	v_cvt_u32_f32_e32 v3, v3
	v_mul_lo_u32 v10, s46, v3
	v_mul_hi_u32 v10, v3, v10
	v_add_u32_e32 v3, v3, v10
	v_mul_hi_u32 v3, v8, v3
	v_mul_lo_u32 v10, v3, s44
	v_add_u32_e32 v11, 1, v3
	v_sub_u32_e32 v10, v8, v10
	v_subrev_u32_e32 v12, s44, v10
	v_cmp_le_u32_e32 vcc, s44, v10
	v_cndmask_b32_e32 v10, v10, v12, vcc
	v_cndmask_b32_e32 v3, v3, v11, vcc
	v_add_u32_e32 v11, 1, v3
	v_cmp_le_u32_e32 vcc, s44, v10
	v_cndmask_b32_e32 v10, v3, v11, vcc
	v_mov_b32_e32 v11, v2
.LBB98_26:                              ;   in Loop: Header=BB98_22 Depth=2
	s_or_b64 exec, exec, s[0:1]
	s_load_dwordx2 s[46:47], s[40:41], 0x10
	s_load_dwordx2 s[48:49], s[38:39], 0x18
                                        ; implicit-def: $vgpr12_vgpr13
	s_waitcnt lgkmcnt(0)
	v_or_b32_e32 v3, s47, v11
	v_cmp_ne_u64_e32 vcc, 0, v[2:3]
	s_and_saveexec_b64 s[0:1], vcc
	s_xor_b64 s[50:51], exec, s[0:1]
	s_cbranch_execz .LBB98_28
; %bb.27:                               ;   in Loop: Header=BB98_22 Depth=2
	s_ashr_i32 s52, s47, 31
	s_add_u32 s0, s46, s52
	s_mov_b32 s53, s52
	s_addc_u32 s1, s47, s52
	s_xor_b64 s[54:55], s[0:1], s[52:53]
	v_cvt_f32_u32_e32 v3, s54
	v_cvt_f32_u32_e32 v12, s55
	s_sub_u32 s53, 0, s54
	s_subb_u32 s56, 0, s55
	v_mac_f32_e32 v3, 0x4f800000, v12
	v_rcp_f32_e32 v3, v3
	v_mul_f32_e32 v3, 0x5f7ffffc, v3
	v_mul_f32_e32 v12, 0x2f800000, v3
	v_trunc_f32_e32 v12, v12
	v_mac_f32_e32 v3, 0xcf800000, v12
	v_cvt_u32_f32_e32 v12, v12
	v_cvt_u32_f32_e32 v3, v3
	v_readfirstlane_b32 s57, v12
	v_readfirstlane_b32 s0, v3
	s_mul_i32 s1, s53, s57
	s_mul_hi_u32 s59, s53, s0
	s_mul_i32 s58, s56, s0
	s_add_i32 s1, s59, s1
	s_add_i32 s1, s1, s58
	s_mul_i32 s60, s53, s0
	s_mul_i32 s59, s0, s1
	s_mul_hi_u32 s61, s0, s60
	s_mul_hi_u32 s58, s0, s1
	s_add_u32 s59, s61, s59
	s_addc_u32 s58, 0, s58
	s_mul_hi_u32 s62, s57, s60
	s_mul_i32 s60, s57, s60
	s_add_u32 s59, s59, s60
	s_mul_hi_u32 s61, s57, s1
	s_addc_u32 s58, s58, s62
	s_addc_u32 s59, s61, 0
	s_mul_i32 s1, s57, s1
	s_add_u32 s1, s58, s1
	s_addc_u32 s58, 0, s59
	s_add_u32 s59, s0, s1
	s_cselect_b64 s[0:1], -1, 0
	s_cmp_lg_u64 s[0:1], 0
	s_addc_u32 s57, s57, s58
	s_mul_i32 s0, s53, s57
	s_mul_hi_u32 s1, s53, s59
	s_add_i32 s0, s1, s0
	s_mul_i32 s56, s56, s59
	s_add_i32 s0, s0, s56
	s_mul_i32 s53, s53, s59
	s_mul_hi_u32 s56, s57, s53
	s_mul_i32 s58, s57, s53
	s_mul_i32 s61, s59, s0
	s_mul_hi_u32 s53, s59, s53
	s_mul_hi_u32 s60, s59, s0
	s_add_u32 s53, s53, s61
	s_addc_u32 s60, 0, s60
	s_add_u32 s53, s53, s58
	s_mul_hi_u32 s1, s57, s0
	s_addc_u32 s53, s60, s56
	s_addc_u32 s1, s1, 0
	s_mul_i32 s0, s57, s0
	s_add_u32 s0, s53, s0
	s_addc_u32 s53, 0, s1
	s_add_u32 s56, s59, s0
	s_cselect_b64 s[0:1], -1, 0
	v_ashrrev_i32_e32 v3, 31, v11
	s_cmp_lg_u64 s[0:1], 0
	v_add_co_u32_e32 v12, vcc, v10, v3
	s_addc_u32 s53, s57, s53
	v_xor_b32_e32 v16, v12, v3
	v_mad_u64_u32 v[12:13], s[0:1], v16, s53, 0
	v_mul_hi_u32 v15, v16, s56
	v_addc_co_u32_e32 v14, vcc, v11, v3, vcc
	v_xor_b32_e32 v17, v14, v3
	v_add_co_u32_e32 v20, vcc, v15, v12
	v_addc_co_u32_e32 v21, vcc, 0, v13, vcc
	v_mad_u64_u32 v[12:13], s[0:1], v17, s56, 0
	v_mad_u64_u32 v[14:15], s[0:1], v17, s53, 0
	v_add_co_u32_e32 v12, vcc, v20, v12
	v_addc_co_u32_e32 v12, vcc, v21, v13, vcc
	v_addc_co_u32_e32 v13, vcc, 0, v15, vcc
	v_add_co_u32_e32 v14, vcc, v12, v14
	v_addc_co_u32_e32 v15, vcc, 0, v13, vcc
	v_mul_lo_u32 v20, s55, v14
	v_mul_lo_u32 v21, s54, v15
	v_mad_u64_u32 v[12:13], s[0:1], s54, v14, 0
	v_xor_b32_e32 v3, s52, v3
	v_add3_u32 v13, v13, v21, v20
	v_sub_u32_e32 v20, v17, v13
	v_mov_b32_e32 v21, s55
	v_sub_co_u32_e32 v12, vcc, v16, v12
	v_subb_co_u32_e64 v16, s[0:1], v20, v21, vcc
	v_subrev_co_u32_e64 v20, s[0:1], s54, v12
	v_subbrev_co_u32_e64 v16, s[0:1], 0, v16, s[0:1]
	v_cmp_le_u32_e64 s[0:1], s55, v16
	v_cndmask_b32_e64 v21, 0, -1, s[0:1]
	v_cmp_le_u32_e64 s[0:1], s54, v20
	v_cndmask_b32_e64 v20, 0, -1, s[0:1]
	v_cmp_eq_u32_e64 s[0:1], s55, v16
	v_cndmask_b32_e64 v16, v21, v20, s[0:1]
	v_add_co_u32_e64 v20, s[0:1], 2, v14
	v_subb_co_u32_e32 v13, vcc, v17, v13, vcc
	v_addc_co_u32_e64 v21, s[0:1], 0, v15, s[0:1]
	v_cmp_le_u32_e32 vcc, s55, v13
	v_add_co_u32_e64 v22, s[0:1], 1, v14
	v_cndmask_b32_e64 v17, 0, -1, vcc
	v_cmp_le_u32_e32 vcc, s54, v12
	v_addc_co_u32_e64 v23, s[0:1], 0, v15, s[0:1]
	v_cndmask_b32_e64 v12, 0, -1, vcc
	v_cmp_eq_u32_e32 vcc, s55, v13
	v_cmp_ne_u32_e64 s[0:1], 0, v16
	v_cndmask_b32_e32 v12, v17, v12, vcc
	v_cndmask_b32_e64 v16, v23, v21, s[0:1]
	v_cmp_ne_u32_e32 vcc, 0, v12
	v_cndmask_b32_e64 v13, v22, v20, s[0:1]
	v_cndmask_b32_e32 v12, v15, v16, vcc
	v_cndmask_b32_e32 v13, v14, v13, vcc
	v_xor_b32_e32 v14, v12, v3
	v_xor_b32_e32 v12, v13, v3
	v_sub_co_u32_e32 v12, vcc, v12, v3
	v_subb_co_u32_e32 v13, vcc, v14, v3, vcc
.LBB98_28:                              ;   in Loop: Header=BB98_22 Depth=2
	s_andn2_saveexec_b64 s[0:1], s[50:51]
	s_cbranch_execz .LBB98_30
; %bb.29:                               ;   in Loop: Header=BB98_22 Depth=2
	v_cvt_f32_u32_e32 v3, s46
	s_sub_i32 s50, 0, s46
	v_rcp_iflag_f32_e32 v3, v3
	v_mul_f32_e32 v3, 0x4f7ffffe, v3
	v_cvt_u32_f32_e32 v3, v3
	v_mul_lo_u32 v12, s50, v3
	v_mul_hi_u32 v12, v3, v12
	v_add_u32_e32 v3, v3, v12
	v_mul_hi_u32 v3, v10, v3
	v_mul_lo_u32 v12, v3, s46
	v_add_u32_e32 v13, 1, v3
	v_sub_u32_e32 v12, v10, v12
	v_subrev_u32_e32 v14, s46, v12
	v_cmp_le_u32_e32 vcc, s46, v12
	v_cndmask_b32_e32 v12, v12, v14, vcc
	v_cndmask_b32_e32 v3, v3, v13, vcc
	v_add_u32_e32 v13, 1, v3
	v_cmp_le_u32_e32 vcc, s46, v12
	v_cndmask_b32_e32 v12, v3, v13, vcc
	v_mov_b32_e32 v13, v2
.LBB98_30:                              ;   in Loop: Header=BB98_22 Depth=2
	s_or_b64 exec, exec, s[0:1]
	s_load_dwordx2 s[50:51], s[40:41], 0x8
	s_load_dwordx2 s[52:53], s[38:39], 0x10
                                        ; implicit-def: $vgpr14_vgpr15
	s_waitcnt lgkmcnt(0)
	v_or_b32_e32 v3, s51, v13
	v_cmp_ne_u64_e32 vcc, 0, v[2:3]
	s_and_saveexec_b64 s[0:1], vcc
	s_xor_b64 s[54:55], exec, s[0:1]
	s_cbranch_execz .LBB98_32
; %bb.31:                               ;   in Loop: Header=BB98_22 Depth=2
	s_ashr_i32 s56, s51, 31
	s_add_u32 s0, s50, s56
	s_mov_b32 s57, s56
	s_addc_u32 s1, s51, s56
	s_xor_b64 s[58:59], s[0:1], s[56:57]
	v_cvt_f32_u32_e32 v3, s58
	v_cvt_f32_u32_e32 v14, s59
	s_sub_u32 s57, 0, s58
	s_subb_u32 s60, 0, s59
	v_mac_f32_e32 v3, 0x4f800000, v14
	v_rcp_f32_e32 v3, v3
	v_mul_f32_e32 v3, 0x5f7ffffc, v3
	v_mul_f32_e32 v14, 0x2f800000, v3
	v_trunc_f32_e32 v14, v14
	v_mac_f32_e32 v3, 0xcf800000, v14
	v_cvt_u32_f32_e32 v14, v14
	v_cvt_u32_f32_e32 v3, v3
	v_readfirstlane_b32 s61, v14
	v_readfirstlane_b32 s0, v3
	s_mul_i32 s1, s57, s61
	s_mul_hi_u32 s63, s57, s0
	s_mul_i32 s62, s60, s0
	s_add_i32 s1, s63, s1
	s_add_i32 s1, s1, s62
	s_mul_i32 s68, s57, s0
	s_mul_i32 s63, s0, s1
	s_mul_hi_u32 s69, s0, s68
	s_mul_hi_u32 s62, s0, s1
	s_add_u32 s63, s69, s63
	s_addc_u32 s62, 0, s62
	s_mul_hi_u32 s70, s61, s68
	s_mul_i32 s68, s61, s68
	s_add_u32 s63, s63, s68
	s_mul_hi_u32 s69, s61, s1
	s_addc_u32 s62, s62, s70
	s_addc_u32 s63, s69, 0
	s_mul_i32 s1, s61, s1
	s_add_u32 s1, s62, s1
	s_addc_u32 s62, 0, s63
	s_add_u32 s63, s0, s1
	s_cselect_b64 s[0:1], -1, 0
	s_cmp_lg_u64 s[0:1], 0
	s_addc_u32 s61, s61, s62
	s_mul_i32 s0, s57, s61
	s_mul_hi_u32 s1, s57, s63
	s_add_i32 s0, s1, s0
	s_mul_i32 s60, s60, s63
	s_add_i32 s0, s0, s60
	s_mul_i32 s57, s57, s63
	s_mul_hi_u32 s60, s61, s57
	s_mul_i32 s62, s61, s57
	s_mul_i32 s69, s63, s0
	s_mul_hi_u32 s57, s63, s57
	s_mul_hi_u32 s68, s63, s0
	s_add_u32 s57, s57, s69
	s_addc_u32 s68, 0, s68
	s_add_u32 s57, s57, s62
	s_mul_hi_u32 s1, s61, s0
	s_addc_u32 s57, s68, s60
	s_addc_u32 s1, s1, 0
	s_mul_i32 s0, s61, s0
	s_add_u32 s0, s57, s0
	s_addc_u32 s57, 0, s1
	s_add_u32 s60, s63, s0
	s_cselect_b64 s[0:1], -1, 0
	v_ashrrev_i32_e32 v3, 31, v13
	s_cmp_lg_u64 s[0:1], 0
	v_add_co_u32_e32 v14, vcc, v12, v3
	s_addc_u32 s57, s61, s57
	v_xor_b32_e32 v20, v14, v3
	v_mad_u64_u32 v[14:15], s[0:1], v20, s57, 0
	v_mul_hi_u32 v17, v20, s60
	v_addc_co_u32_e32 v16, vcc, v13, v3, vcc
	v_xor_b32_e32 v21, v16, v3
	v_add_co_u32_e32 v22, vcc, v17, v14
	v_addc_co_u32_e32 v23, vcc, 0, v15, vcc
	v_mad_u64_u32 v[14:15], s[0:1], v21, s60, 0
	v_mad_u64_u32 v[16:17], s[0:1], v21, s57, 0
	v_add_co_u32_e32 v14, vcc, v22, v14
	v_addc_co_u32_e32 v14, vcc, v23, v15, vcc
	v_addc_co_u32_e32 v15, vcc, 0, v17, vcc
	v_add_co_u32_e32 v16, vcc, v14, v16
	v_addc_co_u32_e32 v17, vcc, 0, v15, vcc
	v_mul_lo_u32 v22, s59, v16
	v_mul_lo_u32 v23, s58, v17
	v_mad_u64_u32 v[14:15], s[0:1], s58, v16, 0
	v_xor_b32_e32 v3, s56, v3
	v_add3_u32 v15, v15, v23, v22
	v_sub_u32_e32 v22, v21, v15
	v_mov_b32_e32 v23, s59
	v_sub_co_u32_e32 v14, vcc, v20, v14
	v_subb_co_u32_e64 v20, s[0:1], v22, v23, vcc
	v_subrev_co_u32_e64 v22, s[0:1], s58, v14
	v_subbrev_co_u32_e64 v20, s[0:1], 0, v20, s[0:1]
	v_cmp_le_u32_e64 s[0:1], s59, v20
	v_cndmask_b32_e64 v23, 0, -1, s[0:1]
	v_cmp_le_u32_e64 s[0:1], s58, v22
	v_cndmask_b32_e64 v22, 0, -1, s[0:1]
	v_cmp_eq_u32_e64 s[0:1], s59, v20
	v_cndmask_b32_e64 v20, v23, v22, s[0:1]
	v_add_co_u32_e64 v22, s[0:1], 2, v16
	v_subb_co_u32_e32 v15, vcc, v21, v15, vcc
	v_addc_co_u32_e64 v23, s[0:1], 0, v17, s[0:1]
	v_cmp_le_u32_e32 vcc, s59, v15
	v_add_co_u32_e64 v24, s[0:1], 1, v16
	v_cndmask_b32_e64 v21, 0, -1, vcc
	v_cmp_le_u32_e32 vcc, s58, v14
	v_addc_co_u32_e64 v25, s[0:1], 0, v17, s[0:1]
	v_cndmask_b32_e64 v14, 0, -1, vcc
	v_cmp_eq_u32_e32 vcc, s59, v15
	v_cmp_ne_u32_e64 s[0:1], 0, v20
	v_cndmask_b32_e32 v14, v21, v14, vcc
	v_cndmask_b32_e64 v20, v25, v23, s[0:1]
	v_cmp_ne_u32_e32 vcc, 0, v14
	v_cndmask_b32_e64 v15, v24, v22, s[0:1]
	v_cndmask_b32_e32 v14, v17, v20, vcc
	v_cndmask_b32_e32 v15, v16, v15, vcc
	v_xor_b32_e32 v16, v14, v3
	v_xor_b32_e32 v14, v15, v3
	v_sub_co_u32_e32 v14, vcc, v14, v3
	v_subb_co_u32_e32 v15, vcc, v16, v3, vcc
.LBB98_32:                              ;   in Loop: Header=BB98_22 Depth=2
	s_andn2_saveexec_b64 s[0:1], s[54:55]
	s_cbranch_execz .LBB98_34
; %bb.33:                               ;   in Loop: Header=BB98_22 Depth=2
	v_cvt_f32_u32_e32 v3, s50
	s_sub_i32 s54, 0, s50
	v_rcp_iflag_f32_e32 v3, v3
	v_mul_f32_e32 v3, 0x4f7ffffe, v3
	v_cvt_u32_f32_e32 v3, v3
	v_mul_lo_u32 v14, s54, v3
	v_mul_hi_u32 v14, v3, v14
	v_add_u32_e32 v3, v3, v14
	v_mul_hi_u32 v3, v12, v3
	v_mul_lo_u32 v14, v3, s50
	v_add_u32_e32 v15, 1, v3
	v_sub_u32_e32 v14, v12, v14
	v_subrev_u32_e32 v16, s50, v14
	v_cmp_le_u32_e32 vcc, s50, v14
	v_cndmask_b32_e32 v14, v14, v16, vcc
	v_cndmask_b32_e32 v3, v3, v15, vcc
	v_add_u32_e32 v15, 1, v3
	v_cmp_le_u32_e32 vcc, s50, v14
	v_cndmask_b32_e32 v14, v3, v15, vcc
	v_mov_b32_e32 v15, v2
.LBB98_34:                              ;   in Loop: Header=BB98_22 Depth=2
	s_or_b64 exec, exec, s[0:1]
	s_load_dwordx2 s[54:55], s[40:41], 0x0
	s_load_dwordx2 s[56:57], s[38:39], 0x8
                                        ; implicit-def: $vgpr16_vgpr17
	s_waitcnt lgkmcnt(0)
	v_or_b32_e32 v3, s55, v15
	v_cmp_ne_u64_e32 vcc, 0, v[2:3]
	s_and_saveexec_b64 s[0:1], vcc
	s_xor_b64 s[58:59], exec, s[0:1]
	s_cbranch_execz .LBB98_36
; %bb.35:                               ;   in Loop: Header=BB98_22 Depth=2
	s_ashr_i32 s60, s55, 31
	s_add_u32 s0, s54, s60
	s_mov_b32 s61, s60
	s_addc_u32 s1, s55, s60
	s_xor_b64 s[62:63], s[0:1], s[60:61]
	v_cvt_f32_u32_e32 v3, s62
	v_cvt_f32_u32_e32 v16, s63
	s_sub_u32 s61, 0, s62
	s_subb_u32 s68, 0, s63
	v_mac_f32_e32 v3, 0x4f800000, v16
	v_rcp_f32_e32 v3, v3
	v_mul_f32_e32 v3, 0x5f7ffffc, v3
	v_mul_f32_e32 v16, 0x2f800000, v3
	v_trunc_f32_e32 v16, v16
	v_mac_f32_e32 v3, 0xcf800000, v16
	v_cvt_u32_f32_e32 v16, v16
	v_cvt_u32_f32_e32 v3, v3
	v_readfirstlane_b32 s69, v16
	v_readfirstlane_b32 s0, v3
	s_mul_i32 s1, s61, s69
	s_mul_hi_u32 s71, s61, s0
	s_mul_i32 s70, s68, s0
	s_add_i32 s1, s71, s1
	s_add_i32 s1, s1, s70
	s_mul_i32 s72, s61, s0
	s_mul_i32 s71, s0, s1
	s_mul_hi_u32 s73, s0, s72
	s_mul_hi_u32 s70, s0, s1
	s_add_u32 s71, s73, s71
	s_addc_u32 s70, 0, s70
	s_mul_hi_u32 s74, s69, s72
	s_mul_i32 s72, s69, s72
	s_add_u32 s71, s71, s72
	s_mul_hi_u32 s73, s69, s1
	s_addc_u32 s70, s70, s74
	s_addc_u32 s71, s73, 0
	s_mul_i32 s1, s69, s1
	s_add_u32 s1, s70, s1
	s_addc_u32 s70, 0, s71
	s_add_u32 s71, s0, s1
	s_cselect_b64 s[0:1], -1, 0
	s_cmp_lg_u64 s[0:1], 0
	s_addc_u32 s69, s69, s70
	s_mul_i32 s0, s61, s69
	s_mul_hi_u32 s1, s61, s71
	s_add_i32 s0, s1, s0
	s_mul_i32 s68, s68, s71
	s_add_i32 s0, s0, s68
	s_mul_i32 s61, s61, s71
	s_mul_hi_u32 s68, s69, s61
	s_mul_i32 s70, s69, s61
	s_mul_i32 s73, s71, s0
	s_mul_hi_u32 s61, s71, s61
	s_mul_hi_u32 s72, s71, s0
	s_add_u32 s61, s61, s73
	s_addc_u32 s72, 0, s72
	s_add_u32 s61, s61, s70
	s_mul_hi_u32 s1, s69, s0
	s_addc_u32 s61, s72, s68
	s_addc_u32 s1, s1, 0
	s_mul_i32 s0, s69, s0
	s_add_u32 s0, s61, s0
	s_addc_u32 s61, 0, s1
	s_add_u32 s68, s71, s0
	s_cselect_b64 s[0:1], -1, 0
	v_ashrrev_i32_e32 v3, 31, v15
	s_cmp_lg_u64 s[0:1], 0
	v_add_co_u32_e32 v16, vcc, v14, v3
	s_addc_u32 s61, s69, s61
	v_xor_b32_e32 v22, v16, v3
	v_mad_u64_u32 v[16:17], s[0:1], v22, s61, 0
	v_mul_hi_u32 v21, v22, s68
	v_addc_co_u32_e32 v20, vcc, v15, v3, vcc
	v_xor_b32_e32 v23, v20, v3
	v_add_co_u32_e32 v24, vcc, v21, v16
	v_addc_co_u32_e32 v25, vcc, 0, v17, vcc
	v_mad_u64_u32 v[16:17], s[0:1], v23, s68, 0
	v_mad_u64_u32 v[20:21], s[0:1], v23, s61, 0
	v_add_co_u32_e32 v16, vcc, v24, v16
	v_addc_co_u32_e32 v16, vcc, v25, v17, vcc
	v_addc_co_u32_e32 v17, vcc, 0, v21, vcc
	v_add_co_u32_e32 v20, vcc, v16, v20
	v_addc_co_u32_e32 v21, vcc, 0, v17, vcc
	v_mul_lo_u32 v24, s63, v20
	v_mul_lo_u32 v25, s62, v21
	v_mad_u64_u32 v[16:17], s[0:1], s62, v20, 0
	v_xor_b32_e32 v3, s60, v3
	v_add3_u32 v17, v17, v25, v24
	v_sub_u32_e32 v24, v23, v17
	v_mov_b32_e32 v25, s63
	v_sub_co_u32_e32 v16, vcc, v22, v16
	v_subb_co_u32_e64 v22, s[0:1], v24, v25, vcc
	v_subrev_co_u32_e64 v24, s[0:1], s62, v16
	v_subbrev_co_u32_e64 v22, s[0:1], 0, v22, s[0:1]
	v_cmp_le_u32_e64 s[0:1], s63, v22
	v_cndmask_b32_e64 v25, 0, -1, s[0:1]
	v_cmp_le_u32_e64 s[0:1], s62, v24
	v_cndmask_b32_e64 v24, 0, -1, s[0:1]
	v_cmp_eq_u32_e64 s[0:1], s63, v22
	v_cndmask_b32_e64 v22, v25, v24, s[0:1]
	v_add_co_u32_e64 v24, s[0:1], 2, v20
	v_subb_co_u32_e32 v17, vcc, v23, v17, vcc
	v_addc_co_u32_e64 v25, s[0:1], 0, v21, s[0:1]
	v_cmp_le_u32_e32 vcc, s63, v17
	v_add_co_u32_e64 v26, s[0:1], 1, v20
	v_cndmask_b32_e64 v23, 0, -1, vcc
	v_cmp_le_u32_e32 vcc, s62, v16
	v_addc_co_u32_e64 v27, s[0:1], 0, v21, s[0:1]
	v_cndmask_b32_e64 v16, 0, -1, vcc
	v_cmp_eq_u32_e32 vcc, s63, v17
	v_cmp_ne_u32_e64 s[0:1], 0, v22
	v_cndmask_b32_e32 v16, v23, v16, vcc
	v_cndmask_b32_e64 v22, v27, v25, s[0:1]
	v_cmp_ne_u32_e32 vcc, 0, v16
	v_cndmask_b32_e64 v17, v26, v24, s[0:1]
	v_cndmask_b32_e32 v16, v21, v22, vcc
	v_cndmask_b32_e32 v17, v20, v17, vcc
	v_xor_b32_e32 v20, v16, v3
	v_xor_b32_e32 v16, v17, v3
	v_sub_co_u32_e32 v16, vcc, v16, v3
	v_subb_co_u32_e32 v17, vcc, v20, v3, vcc
.LBB98_36:                              ;   in Loop: Header=BB98_22 Depth=2
	s_andn2_saveexec_b64 s[0:1], s[58:59]
	s_cbranch_execz .LBB98_21
; %bb.37:                               ;   in Loop: Header=BB98_22 Depth=2
	v_cvt_f32_u32_e32 v3, s54
	s_sub_i32 s58, 0, s54
	v_rcp_iflag_f32_e32 v3, v3
	v_mul_f32_e32 v3, 0x4f7ffffe, v3
	v_cvt_u32_f32_e32 v3, v3
	v_mul_lo_u32 v16, s58, v3
	v_mul_hi_u32 v16, v3, v16
	v_add_u32_e32 v3, v3, v16
	v_mul_hi_u32 v3, v14, v3
	v_mul_lo_u32 v16, v3, s54
	v_add_u32_e32 v17, 1, v3
	v_sub_u32_e32 v16, v14, v16
	v_subrev_u32_e32 v20, s54, v16
	v_cmp_le_u32_e32 vcc, s54, v16
	v_cndmask_b32_e32 v16, v16, v20, vcc
	v_cndmask_b32_e32 v3, v3, v17, vcc
	v_add_u32_e32 v17, 1, v3
	v_cmp_le_u32_e32 vcc, s54, v16
	v_cndmask_b32_e32 v16, v3, v17, vcc
	v_mov_b32_e32 v17, v2
	s_branch .LBB98_21
.LBB98_38:                              ;   in Loop: Header=BB98_3 Depth=1
	s_load_dwordx2 s[0:1], s[22:23], 0x0
	s_waitcnt lgkmcnt(0)
	v_cmp_gt_i64_e32 vcc, s[0:1], v[4:5]
	s_and_b64 exec, exec, vcc
	s_cbranch_execz .LBB98_2
; %bb.39:                               ;   in Loop: Header=BB98_3 Depth=1
	v_lshlrev_b64 v[6:7], 1, v[6:7]
	v_mov_b32_e32 v3, s13
	v_add_co_u32_e32 v6, vcc, s12, v6
	v_addc_co_u32_e32 v7, vcc, v3, v7, vcc
	v_add_co_u32_e32 v8, vcc, 1, v4
	v_addc_co_u32_e32 v9, vcc, 0, v5, vcc
	v_cmp_gt_i64_e32 vcc, s[0:1], v[8:9]
	global_store_short v[6:7], v2, off
	s_and_b64 exec, exec, vcc
	s_cbranch_execz .LBB98_2
; %bb.40:                               ;   in Loop: Header=BB98_3 Depth=1
	v_sub_co_u32_e32 v8, vcc, v8, v18
	v_subb_co_u32_e32 v9, vcc, v9, v19, vcc
	v_cmp_gt_i64_e32 vcc, s[8:9], v[8:9]
	s_and_saveexec_b64 s[38:39], vcc
	s_cbranch_execz .LBB98_42
; %bb.41:                               ;   in Loop: Header=BB98_3 Depth=1
	s_lshl_b64 s[40:41], s[2:3], 1
	v_mov_b32_e32 v3, s41
	v_add_co_u32_e32 v8, vcc, s40, v6
	v_addc_co_u32_e32 v9, vcc, v7, v3, vcc
	global_store_short v[8:9], v2, off
.LBB98_42:                              ;   in Loop: Header=BB98_3 Depth=1
	s_or_b64 exec, exec, s[38:39]
	v_add_co_u32_e32 v8, vcc, 2, v4
	v_addc_co_u32_e32 v9, vcc, 0, v5, vcc
	v_cmp_gt_i64_e32 vcc, s[0:1], v[8:9]
	s_and_b64 exec, exec, vcc
	s_cbranch_execz .LBB98_2
; %bb.43:                               ;   in Loop: Header=BB98_3 Depth=1
	v_sub_co_u32_e32 v8, vcc, v8, v18
	v_subb_co_u32_e32 v9, vcc, v9, v19, vcc
	v_cmp_gt_i64_e32 vcc, s[8:9], v[8:9]
	s_and_saveexec_b64 s[38:39], vcc
	s_cbranch_execz .LBB98_45
; %bb.44:                               ;   in Loop: Header=BB98_3 Depth=1
	s_lshl_b64 s[40:41], s[2:3], 2
	v_mov_b32_e32 v3, s41
	v_add_co_u32_e32 v8, vcc, s40, v6
	v_addc_co_u32_e32 v9, vcc, v7, v3, vcc
	global_store_short v[8:9], v2, off
.LBB98_45:                              ;   in Loop: Header=BB98_3 Depth=1
	s_or_b64 exec, exec, s[38:39]
	v_add_co_u32_e32 v3, vcc, 3, v4
	v_addc_co_u32_e32 v4, vcc, 0, v5, vcc
	v_cmp_gt_i64_e32 vcc, s[0:1], v[3:4]
	v_sub_co_u32_e64 v3, s[0:1], v3, v18
	v_subb_co_u32_e64 v4, s[0:1], v4, v19, s[0:1]
	v_cmp_gt_i64_e64 s[0:1], s[8:9], v[3:4]
	s_and_b64 s[0:1], vcc, s[0:1]
	s_and_b64 exec, exec, s[0:1]
	s_cbranch_execz .LBB98_2
; %bb.46:                               ;   in Loop: Header=BB98_3 Depth=1
	v_mad_u64_u32 v[3:4], s[0:1], s2, 6, v[6:7]
	v_mad_u64_u32 v[4:5], s[0:1], s3, 6, v[4:5]
	global_store_short v[3:4], v2, off
	s_branch .LBB98_2
.LBB98_47:
	s_endpgm
	.section	.rodata,"a",@progbits
	.p2align	6, 0x0
	.amdhsa_kernel _ZN2at6native16triu_tril_kernelIN3c108BFloat16ElLb1ELi4ELb1EEEvNS_4cuda6detail10TensorInfoIT_T0_EENS6_IKS7_S8_EEllS8_
		.amdhsa_group_segment_fixed_size 0
		.amdhsa_private_segment_fixed_size 0
		.amdhsa_kernarg_size 1112
		.amdhsa_user_sgpr_count 6
		.amdhsa_user_sgpr_private_segment_buffer 1
		.amdhsa_user_sgpr_dispatch_ptr 0
		.amdhsa_user_sgpr_queue_ptr 0
		.amdhsa_user_sgpr_kernarg_segment_ptr 1
		.amdhsa_user_sgpr_dispatch_id 0
		.amdhsa_user_sgpr_flat_scratch_init 0
		.amdhsa_user_sgpr_private_segment_size 0
		.amdhsa_uses_dynamic_stack 0
		.amdhsa_system_sgpr_private_segment_wavefront_offset 0
		.amdhsa_system_sgpr_workgroup_id_x 1
		.amdhsa_system_sgpr_workgroup_id_y 0
		.amdhsa_system_sgpr_workgroup_id_z 0
		.amdhsa_system_sgpr_workgroup_info 0
		.amdhsa_system_vgpr_workitem_id 0
		.amdhsa_next_free_vgpr 28
		.amdhsa_next_free_sgpr 75
		.amdhsa_reserve_vcc 1
		.amdhsa_reserve_flat_scratch 0
		.amdhsa_float_round_mode_32 0
		.amdhsa_float_round_mode_16_64 0
		.amdhsa_float_denorm_mode_32 3
		.amdhsa_float_denorm_mode_16_64 3
		.amdhsa_dx10_clamp 1
		.amdhsa_ieee_mode 1
		.amdhsa_fp16_overflow 0
		.amdhsa_exception_fp_ieee_invalid_op 0
		.amdhsa_exception_fp_denorm_src 0
		.amdhsa_exception_fp_ieee_div_zero 0
		.amdhsa_exception_fp_ieee_overflow 0
		.amdhsa_exception_fp_ieee_underflow 0
		.amdhsa_exception_fp_ieee_inexact 0
		.amdhsa_exception_int_div_zero 0
	.end_amdhsa_kernel
	.section	.text._ZN2at6native16triu_tril_kernelIN3c108BFloat16ElLb1ELi4ELb1EEEvNS_4cuda6detail10TensorInfoIT_T0_EENS6_IKS7_S8_EEllS8_,"axG",@progbits,_ZN2at6native16triu_tril_kernelIN3c108BFloat16ElLb1ELi4ELb1EEEvNS_4cuda6detail10TensorInfoIT_T0_EENS6_IKS7_S8_EEllS8_,comdat
.Lfunc_end98:
	.size	_ZN2at6native16triu_tril_kernelIN3c108BFloat16ElLb1ELi4ELb1EEEvNS_4cuda6detail10TensorInfoIT_T0_EENS6_IKS7_S8_EEllS8_, .Lfunc_end98-_ZN2at6native16triu_tril_kernelIN3c108BFloat16ElLb1ELi4ELb1EEEvNS_4cuda6detail10TensorInfoIT_T0_EENS6_IKS7_S8_EEllS8_
                                        ; -- End function
	.set _ZN2at6native16triu_tril_kernelIN3c108BFloat16ElLb1ELi4ELb1EEEvNS_4cuda6detail10TensorInfoIT_T0_EENS6_IKS7_S8_EEllS8_.num_vgpr, 28
	.set _ZN2at6native16triu_tril_kernelIN3c108BFloat16ElLb1ELi4ELb1EEEvNS_4cuda6detail10TensorInfoIT_T0_EENS6_IKS7_S8_EEllS8_.num_agpr, 0
	.set _ZN2at6native16triu_tril_kernelIN3c108BFloat16ElLb1ELi4ELb1EEEvNS_4cuda6detail10TensorInfoIT_T0_EENS6_IKS7_S8_EEllS8_.numbered_sgpr, 75
	.set _ZN2at6native16triu_tril_kernelIN3c108BFloat16ElLb1ELi4ELb1EEEvNS_4cuda6detail10TensorInfoIT_T0_EENS6_IKS7_S8_EEllS8_.num_named_barrier, 0
	.set _ZN2at6native16triu_tril_kernelIN3c108BFloat16ElLb1ELi4ELb1EEEvNS_4cuda6detail10TensorInfoIT_T0_EENS6_IKS7_S8_EEllS8_.private_seg_size, 0
	.set _ZN2at6native16triu_tril_kernelIN3c108BFloat16ElLb1ELi4ELb1EEEvNS_4cuda6detail10TensorInfoIT_T0_EENS6_IKS7_S8_EEllS8_.uses_vcc, 1
	.set _ZN2at6native16triu_tril_kernelIN3c108BFloat16ElLb1ELi4ELb1EEEvNS_4cuda6detail10TensorInfoIT_T0_EENS6_IKS7_S8_EEllS8_.uses_flat_scratch, 0
	.set _ZN2at6native16triu_tril_kernelIN3c108BFloat16ElLb1ELi4ELb1EEEvNS_4cuda6detail10TensorInfoIT_T0_EENS6_IKS7_S8_EEllS8_.has_dyn_sized_stack, 0
	.set _ZN2at6native16triu_tril_kernelIN3c108BFloat16ElLb1ELi4ELb1EEEvNS_4cuda6detail10TensorInfoIT_T0_EENS6_IKS7_S8_EEllS8_.has_recursion, 0
	.set _ZN2at6native16triu_tril_kernelIN3c108BFloat16ElLb1ELi4ELb1EEEvNS_4cuda6detail10TensorInfoIT_T0_EENS6_IKS7_S8_EEllS8_.has_indirect_call, 0
	.section	.AMDGPU.csdata,"",@progbits
; Kernel info:
; codeLenInByte = 6576
; TotalNumSgprs: 79
; NumVgprs: 28
; ScratchSize: 0
; MemoryBound: 0
; FloatMode: 240
; IeeeMode: 1
; LDSByteSize: 0 bytes/workgroup (compile time only)
; SGPRBlocks: 9
; VGPRBlocks: 6
; NumSGPRsForWavesPerEU: 79
; NumVGPRsForWavesPerEU: 28
; Occupancy: 9
; WaveLimiterHint : 0
; COMPUTE_PGM_RSRC2:SCRATCH_EN: 0
; COMPUTE_PGM_RSRC2:USER_SGPR: 6
; COMPUTE_PGM_RSRC2:TRAP_HANDLER: 0
; COMPUTE_PGM_RSRC2:TGID_X_EN: 1
; COMPUTE_PGM_RSRC2:TGID_Y_EN: 0
; COMPUTE_PGM_RSRC2:TGID_Z_EN: 0
; COMPUTE_PGM_RSRC2:TIDIG_COMP_CNT: 0
	.section	.text._ZN2at6native16triu_tril_kernelIN3c108BFloat16ElLb1ELi4ELb0EEEvNS_4cuda6detail10TensorInfoIT_T0_EENS6_IKS7_S8_EEllS8_,"axG",@progbits,_ZN2at6native16triu_tril_kernelIN3c108BFloat16ElLb1ELi4ELb0EEEvNS_4cuda6detail10TensorInfoIT_T0_EENS6_IKS7_S8_EEllS8_,comdat
	.protected	_ZN2at6native16triu_tril_kernelIN3c108BFloat16ElLb1ELi4ELb0EEEvNS_4cuda6detail10TensorInfoIT_T0_EENS6_IKS7_S8_EEllS8_ ; -- Begin function _ZN2at6native16triu_tril_kernelIN3c108BFloat16ElLb1ELi4ELb0EEEvNS_4cuda6detail10TensorInfoIT_T0_EENS6_IKS7_S8_EEllS8_
	.globl	_ZN2at6native16triu_tril_kernelIN3c108BFloat16ElLb1ELi4ELb0EEEvNS_4cuda6detail10TensorInfoIT_T0_EENS6_IKS7_S8_EEllS8_
	.p2align	8
	.type	_ZN2at6native16triu_tril_kernelIN3c108BFloat16ElLb1ELi4ELb0EEEvNS_4cuda6detail10TensorInfoIT_T0_EENS6_IKS7_S8_EEllS8_,@function
_ZN2at6native16triu_tril_kernelIN3c108BFloat16ElLb1ELi4ELb0EEEvNS_4cuda6detail10TensorInfoIT_T0_EENS6_IKS7_S8_EEllS8_: ; @_ZN2at6native16triu_tril_kernelIN3c108BFloat16ElLb1ELi4ELb0EEEvNS_4cuda6detail10TensorInfoIT_T0_EENS6_IKS7_S8_EEllS8_
; %bb.0:
	s_load_dword s2, s[4:5], 0x364
	s_load_dwordx4 s[8:11], s[4:5], 0x340
	s_add_u32 s0, s4, 0x358
	v_mov_b32_e32 v2, 0
	s_addc_u32 s1, s5, 0
	s_waitcnt lgkmcnt(0)
	s_and_b32 s7, s2, 0xffff
	v_mov_b32_e32 v1, v2
	v_mov_b32_e32 v3, s6
	v_mad_u64_u32 v[0:1], s[2:3], s7, v3, v[0:1]
	v_lshlrev_b64 v[0:1], 2, v[0:1]
	v_cmp_gt_i64_e32 vcc, s[10:11], v[0:1]
	s_and_saveexec_b64 s[2:3], vcc
	s_cbranch_execz .LBB99_44
; %bb.1:
	s_load_dword s6, s[0:1], 0x0
	s_load_dword s24, s[4:5], 0x338
	s_add_u32 s33, s4, 0x1a0
	s_addc_u32 s66, s5, 0
	s_load_dwordx2 s[2:3], s[4:5], 0x1a0
	s_waitcnt lgkmcnt(0)
	s_mul_i32 s30, s6, s7
	s_ashr_i32 s25, s24, 31
	s_lshl_b64 s[0:1], s[24:25], 3
	s_add_u32 s20, s33, s0
	s_addc_u32 s21, s66, s1
	s_add_u32 s22, s20, -8
	s_addc_u32 s23, s21, -1
	s_add_u32 s0, s4, s0
	s_load_dwordx4 s[12:15], s[22:23], 0x0
	s_load_dwordx4 s[16:19], s[20:21], 0xc0
	s_addc_u32 s1, s5, s1
	s_load_dwordx4 s[20:23], s[0:1], 0xc0
	v_cmp_gt_i64_e64 s[6:7], s[24:25], 2
	s_add_i32 s24, s24, -3
	s_waitcnt lgkmcnt(0)
	s_mul_i32 s0, s19, 6
	s_mul_hi_u32 s1, s18, 6
	s_add_i32 s68, s1, s0
	s_mul_i32 s0, s23, 6
	s_mul_hi_u32 s1, s22, 6
	s_ashr_i32 s25, s24, 31
	s_lshl_b32 s67, s30, 2
	s_lshl_b64 s[30:31], s[18:19], 2
	s_lshl_b64 s[34:35], s[22:23], 2
	s_add_i32 s70, s1, s0
	s_bitcmp0_b32 s24, 0
	s_cselect_b64 s[36:37], -1, 0
	s_lshl_b64 s[0:1], s[24:25], 3
	s_add_u32 s38, s33, s0
	s_addc_u32 s39, s66, s1
	s_add_u32 s40, s4, s0
	s_addc_u32 s41, s5, s1
	s_load_dwordx2 s[26:27], s[4:5], 0x350
	s_load_dwordx2 s[28:29], s[4:5], 0x0
	s_add_u32 s42, s24, -1
	s_addc_u32 s43, s25, -1
	s_cmp_lg_u32 s24, 0
	s_cselect_b64 s[44:45], -1, 0
	s_add_u32 s72, s4, 0xc8
	s_mul_i32 s69, s18, 6
	s_mul_i32 s71, s22, 6
	s_addc_u32 s73, s5, 0
	s_mov_b64 s[4:5], 0
	s_branch .LBB99_3
.LBB99_2:                               ;   in Loop: Header=BB99_3 Depth=1
	s_or_b64 exec, exec, s[0:1]
	v_add_co_u32_e32 v0, vcc, s67, v0
	v_addc_co_u32_e32 v1, vcc, 0, v1, vcc
	v_cmp_le_i64_e32 vcc, s[10:11], v[0:1]
	s_or_b64 s[4:5], vcc, s[4:5]
	s_andn2_b64 exec, exec, s[4:5]
	s_cbranch_execz .LBB99_44
.LBB99_3:                               ; =>This Loop Header: Depth=1
                                        ;     Child Loop BB99_21 Depth 2
	s_waitcnt lgkmcnt(0)
	v_or_b32_e32 v3, s27, v1
	v_cmp_ne_u64_e32 vcc, 0, v[2:3]
                                        ; implicit-def: $vgpr6_vgpr7
	s_and_saveexec_b64 s[0:1], vcc
	s_xor_b64 s[46:47], exec, s[0:1]
	s_cbranch_execz .LBB99_5
; %bb.4:                                ;   in Loop: Header=BB99_3 Depth=1
	s_ashr_i32 s48, s27, 31
	s_add_u32 s0, s26, s48
	s_mov_b32 s49, s48
	s_addc_u32 s1, s27, s48
	s_xor_b64 s[50:51], s[0:1], s[48:49]
	v_cvt_f32_u32_e32 v3, s50
	v_cvt_f32_u32_e32 v4, s51
	s_sub_u32 s49, 0, s50
	s_subb_u32 s52, 0, s51
	v_ashrrev_i32_e32 v7, 31, v1
	v_mac_f32_e32 v3, 0x4f800000, v4
	v_rcp_f32_e32 v3, v3
	v_mul_f32_e32 v3, 0x5f7ffffc, v3
	v_mul_f32_e32 v4, 0x2f800000, v3
	v_trunc_f32_e32 v4, v4
	v_mac_f32_e32 v3, 0xcf800000, v4
	v_cvt_u32_f32_e32 v4, v4
	v_cvt_u32_f32_e32 v3, v3
	v_readfirstlane_b32 s53, v4
	v_readfirstlane_b32 s0, v3
	s_mul_i32 s1, s49, s53
	s_mul_hi_u32 s55, s49, s0
	s_mul_i32 s54, s52, s0
	s_add_i32 s1, s55, s1
	s_add_i32 s1, s1, s54
	s_mul_i32 s56, s49, s0
	s_mul_i32 s55, s0, s1
	s_mul_hi_u32 s57, s0, s56
	s_mul_hi_u32 s54, s0, s1
	s_add_u32 s55, s57, s55
	s_addc_u32 s54, 0, s54
	s_mul_hi_u32 s58, s53, s56
	s_mul_i32 s56, s53, s56
	s_add_u32 s55, s55, s56
	s_mul_hi_u32 s57, s53, s1
	s_addc_u32 s54, s54, s58
	s_addc_u32 s55, s57, 0
	s_mul_i32 s1, s53, s1
	s_add_u32 s1, s54, s1
	s_addc_u32 s54, 0, s55
	s_add_u32 s55, s0, s1
	s_cselect_b64 s[0:1], -1, 0
	s_cmp_lg_u64 s[0:1], 0
	s_addc_u32 s53, s53, s54
	s_mul_i32 s0, s49, s53
	s_mul_hi_u32 s1, s49, s55
	s_add_i32 s0, s1, s0
	s_mul_i32 s52, s52, s55
	s_add_i32 s0, s0, s52
	s_mul_i32 s49, s49, s55
	s_mul_hi_u32 s52, s53, s49
	s_mul_i32 s54, s53, s49
	s_mul_i32 s57, s55, s0
	s_mul_hi_u32 s49, s55, s49
	s_mul_hi_u32 s56, s55, s0
	s_add_u32 s49, s49, s57
	s_addc_u32 s56, 0, s56
	s_add_u32 s49, s49, s54
	s_mul_hi_u32 s1, s53, s0
	s_addc_u32 s49, s56, s52
	s_addc_u32 s1, s1, 0
	s_mul_i32 s0, s53, s0
	s_add_u32 s0, s49, s0
	s_addc_u32 s49, 0, s1
	s_add_u32 s52, s55, s0
	s_cselect_b64 s[0:1], -1, 0
	s_cmp_lg_u64 s[0:1], 0
	v_add_co_u32_e32 v3, vcc, v0, v7
	s_addc_u32 s49, s53, s49
	v_xor_b32_e32 v8, v3, v7
	v_mad_u64_u32 v[3:4], s[0:1], v8, s49, 0
	v_mul_hi_u32 v6, v8, s52
	v_addc_co_u32_e32 v5, vcc, v1, v7, vcc
	v_xor_b32_e32 v9, v5, v7
	v_add_co_u32_e32 v10, vcc, v6, v3
	v_addc_co_u32_e32 v11, vcc, 0, v4, vcc
	v_mad_u64_u32 v[3:4], s[0:1], v9, s52, 0
	v_mad_u64_u32 v[5:6], s[0:1], v9, s49, 0
	v_add_co_u32_e32 v3, vcc, v10, v3
	v_addc_co_u32_e32 v3, vcc, v11, v4, vcc
	v_addc_co_u32_e32 v4, vcc, 0, v6, vcc
	v_add_co_u32_e32 v5, vcc, v3, v5
	v_addc_co_u32_e32 v6, vcc, 0, v4, vcc
	v_mul_lo_u32 v10, s51, v5
	v_mul_lo_u32 v11, s50, v6
	v_mad_u64_u32 v[3:4], s[0:1], s50, v5, 0
	v_add3_u32 v4, v4, v11, v10
	v_sub_u32_e32 v10, v9, v4
	v_mov_b32_e32 v11, s51
	v_sub_co_u32_e32 v3, vcc, v8, v3
	v_subb_co_u32_e64 v8, s[0:1], v10, v11, vcc
	v_subrev_co_u32_e64 v10, s[0:1], s50, v3
	v_subbrev_co_u32_e64 v8, s[0:1], 0, v8, s[0:1]
	v_cmp_le_u32_e64 s[0:1], s51, v8
	v_cndmask_b32_e64 v11, 0, -1, s[0:1]
	v_cmp_le_u32_e64 s[0:1], s50, v10
	v_cndmask_b32_e64 v10, 0, -1, s[0:1]
	v_cmp_eq_u32_e64 s[0:1], s51, v8
	v_cndmask_b32_e64 v8, v11, v10, s[0:1]
	v_add_co_u32_e64 v10, s[0:1], 2, v5
	v_subb_co_u32_e32 v4, vcc, v9, v4, vcc
	v_addc_co_u32_e64 v11, s[0:1], 0, v6, s[0:1]
	v_cmp_le_u32_e32 vcc, s51, v4
	v_add_co_u32_e64 v12, s[0:1], 1, v5
	v_cndmask_b32_e64 v9, 0, -1, vcc
	v_cmp_le_u32_e32 vcc, s50, v3
	v_addc_co_u32_e64 v13, s[0:1], 0, v6, s[0:1]
	v_cndmask_b32_e64 v3, 0, -1, vcc
	v_cmp_eq_u32_e32 vcc, s51, v4
	v_cmp_ne_u32_e64 s[0:1], 0, v8
	v_cndmask_b32_e32 v3, v9, v3, vcc
	v_cmp_ne_u32_e32 vcc, 0, v3
	v_cndmask_b32_e64 v4, v12, v10, s[0:1]
	v_cndmask_b32_e64 v8, v13, v11, s[0:1]
	v_cndmask_b32_e32 v4, v5, v4, vcc
	v_xor_b32_e32 v5, s48, v7
	v_cndmask_b32_e32 v3, v6, v8, vcc
	v_xor_b32_e32 v4, v4, v5
	v_xor_b32_e32 v3, v3, v5
	v_sub_co_u32_e32 v6, vcc, v4, v5
	v_subb_co_u32_e32 v7, vcc, v3, v5, vcc
.LBB99_5:                               ;   in Loop: Header=BB99_3 Depth=1
	s_andn2_saveexec_b64 s[0:1], s[46:47]
	s_cbranch_execz .LBB99_7
; %bb.6:                                ;   in Loop: Header=BB99_3 Depth=1
	v_cvt_f32_u32_e32 v3, s26
	s_sub_i32 s46, 0, s26
	v_mov_b32_e32 v7, v2
	v_rcp_iflag_f32_e32 v3, v3
	v_mul_f32_e32 v3, 0x4f7ffffe, v3
	v_cvt_u32_f32_e32 v3, v3
	v_mul_lo_u32 v4, s46, v3
	v_mul_hi_u32 v4, v3, v4
	v_add_u32_e32 v3, v3, v4
	v_mul_hi_u32 v3, v0, v3
	v_mul_lo_u32 v4, v3, s26
	v_add_u32_e32 v5, 1, v3
	v_sub_u32_e32 v4, v0, v4
	v_subrev_u32_e32 v6, s26, v4
	v_cmp_le_u32_e32 vcc, s26, v4
	v_cndmask_b32_e32 v4, v4, v6, vcc
	v_cndmask_b32_e32 v3, v3, v5, vcc
	v_add_u32_e32 v5, 1, v3
	v_cmp_le_u32_e32 vcc, s26, v4
	v_cndmask_b32_e32 v6, v3, v5, vcc
.LBB99_7:                               ;   in Loop: Header=BB99_3 Depth=1
	s_or_b64 exec, exec, s[0:1]
	v_or_b32_e32 v3, s13, v7
	v_cmp_ne_u64_e32 vcc, 0, v[2:3]
                                        ; implicit-def: $vgpr10_vgpr11
	s_and_saveexec_b64 s[0:1], vcc
	s_xor_b64 s[46:47], exec, s[0:1]
	s_cbranch_execz .LBB99_9
; %bb.8:                                ;   in Loop: Header=BB99_3 Depth=1
	s_ashr_i32 s48, s13, 31
	s_add_u32 s0, s12, s48
	s_mov_b32 s49, s48
	s_addc_u32 s1, s13, s48
	s_xor_b64 s[50:51], s[0:1], s[48:49]
	v_cvt_f32_u32_e32 v3, s50
	v_cvt_f32_u32_e32 v4, s51
	s_sub_u32 s49, 0, s50
	s_subb_u32 s52, 0, s51
	v_ashrrev_i32_e32 v5, 31, v7
	v_mac_f32_e32 v3, 0x4f800000, v4
	v_rcp_f32_e32 v3, v3
	v_mul_f32_e32 v3, 0x5f7ffffc, v3
	v_mul_f32_e32 v4, 0x2f800000, v3
	v_trunc_f32_e32 v4, v4
	v_mac_f32_e32 v3, 0xcf800000, v4
	v_cvt_u32_f32_e32 v4, v4
	v_cvt_u32_f32_e32 v3, v3
	v_readfirstlane_b32 s53, v4
	v_readfirstlane_b32 s0, v3
	s_mul_i32 s1, s49, s53
	s_mul_hi_u32 s55, s49, s0
	s_mul_i32 s54, s52, s0
	s_add_i32 s1, s55, s1
	s_add_i32 s1, s1, s54
	s_mul_i32 s56, s49, s0
	s_mul_i32 s55, s0, s1
	s_mul_hi_u32 s57, s0, s56
	s_mul_hi_u32 s54, s0, s1
	s_add_u32 s55, s57, s55
	s_addc_u32 s54, 0, s54
	s_mul_hi_u32 s58, s53, s56
	s_mul_i32 s56, s53, s56
	s_add_u32 s55, s55, s56
	s_mul_hi_u32 s57, s53, s1
	s_addc_u32 s54, s54, s58
	s_addc_u32 s55, s57, 0
	s_mul_i32 s1, s53, s1
	s_add_u32 s1, s54, s1
	s_addc_u32 s54, 0, s55
	s_add_u32 s55, s0, s1
	s_cselect_b64 s[0:1], -1, 0
	s_cmp_lg_u64 s[0:1], 0
	s_addc_u32 s53, s53, s54
	s_mul_i32 s0, s49, s53
	s_mul_hi_u32 s1, s49, s55
	s_add_i32 s0, s1, s0
	s_mul_i32 s52, s52, s55
	s_add_i32 s0, s0, s52
	s_mul_i32 s49, s49, s55
	s_mul_hi_u32 s52, s53, s49
	s_mul_i32 s54, s53, s49
	s_mul_i32 s57, s55, s0
	s_mul_hi_u32 s49, s55, s49
	s_mul_hi_u32 s56, s55, s0
	s_add_u32 s49, s49, s57
	s_addc_u32 s56, 0, s56
	s_add_u32 s49, s49, s54
	s_mul_hi_u32 s1, s53, s0
	s_addc_u32 s49, s56, s52
	s_addc_u32 s1, s1, 0
	s_mul_i32 s0, s53, s0
	s_add_u32 s0, s49, s0
	s_addc_u32 s49, 0, s1
	s_add_u32 s52, s55, s0
	s_cselect_b64 s[0:1], -1, 0
	s_cmp_lg_u64 s[0:1], 0
	v_add_co_u32_e32 v3, vcc, v6, v5
	s_addc_u32 s49, s53, s49
	v_xor_b32_e32 v10, v3, v5
	v_mad_u64_u32 v[3:4], s[0:1], v10, s49, 0
	v_mul_hi_u32 v9, v10, s52
	v_addc_co_u32_e32 v8, vcc, v7, v5, vcc
	v_xor_b32_e32 v11, v8, v5
	v_add_co_u32_e32 v12, vcc, v9, v3
	v_addc_co_u32_e32 v13, vcc, 0, v4, vcc
	v_mad_u64_u32 v[3:4], s[0:1], v11, s52, 0
	v_mad_u64_u32 v[8:9], s[0:1], v11, s49, 0
	v_add_co_u32_e32 v3, vcc, v12, v3
	v_addc_co_u32_e32 v3, vcc, v13, v4, vcc
	v_addc_co_u32_e32 v4, vcc, 0, v9, vcc
	v_add_co_u32_e32 v8, vcc, v3, v8
	v_addc_co_u32_e32 v9, vcc, 0, v4, vcc
	v_mul_lo_u32 v12, s51, v8
	v_mul_lo_u32 v13, s50, v9
	v_mad_u64_u32 v[3:4], s[0:1], s50, v8, 0
	v_xor_b32_e32 v5, s48, v5
	v_add3_u32 v4, v4, v13, v12
	v_sub_u32_e32 v12, v11, v4
	v_mov_b32_e32 v13, s51
	v_sub_co_u32_e32 v3, vcc, v10, v3
	v_subb_co_u32_e64 v10, s[0:1], v12, v13, vcc
	v_subrev_co_u32_e64 v12, s[0:1], s50, v3
	v_subbrev_co_u32_e64 v10, s[0:1], 0, v10, s[0:1]
	v_cmp_le_u32_e64 s[0:1], s51, v10
	v_cndmask_b32_e64 v13, 0, -1, s[0:1]
	v_cmp_le_u32_e64 s[0:1], s50, v12
	v_cndmask_b32_e64 v12, 0, -1, s[0:1]
	v_cmp_eq_u32_e64 s[0:1], s51, v10
	v_cndmask_b32_e64 v10, v13, v12, s[0:1]
	v_add_co_u32_e64 v12, s[0:1], 2, v8
	v_subb_co_u32_e32 v4, vcc, v11, v4, vcc
	v_addc_co_u32_e64 v13, s[0:1], 0, v9, s[0:1]
	v_cmp_le_u32_e32 vcc, s51, v4
	v_add_co_u32_e64 v14, s[0:1], 1, v8
	v_cndmask_b32_e64 v11, 0, -1, vcc
	v_cmp_le_u32_e32 vcc, s50, v3
	v_addc_co_u32_e64 v15, s[0:1], 0, v9, s[0:1]
	v_cndmask_b32_e64 v3, 0, -1, vcc
	v_cmp_eq_u32_e32 vcc, s51, v4
	v_cmp_ne_u32_e64 s[0:1], 0, v10
	v_cndmask_b32_e32 v3, v11, v3, vcc
	v_cmp_ne_u32_e32 vcc, 0, v3
	v_cndmask_b32_e64 v4, v14, v12, s[0:1]
	v_cndmask_b32_e64 v10, v15, v13, s[0:1]
	v_cndmask_b32_e32 v4, v8, v4, vcc
	v_cndmask_b32_e32 v3, v9, v10, vcc
	v_xor_b32_e32 v4, v4, v5
	v_xor_b32_e32 v3, v3, v5
	v_sub_co_u32_e32 v10, vcc, v4, v5
	v_subb_co_u32_e32 v11, vcc, v3, v5, vcc
.LBB99_9:                               ;   in Loop: Header=BB99_3 Depth=1
	s_andn2_saveexec_b64 s[0:1], s[46:47]
	s_cbranch_execz .LBB99_11
; %bb.10:                               ;   in Loop: Header=BB99_3 Depth=1
	v_cvt_f32_u32_e32 v3, s12
	s_sub_i32 s46, 0, s12
	v_mov_b32_e32 v11, v2
	v_rcp_iflag_f32_e32 v3, v3
	v_mul_f32_e32 v3, 0x4f7ffffe, v3
	v_cvt_u32_f32_e32 v3, v3
	v_mul_lo_u32 v4, s46, v3
	v_mul_hi_u32 v4, v3, v4
	v_add_u32_e32 v3, v3, v4
	v_mul_hi_u32 v3, v6, v3
	v_mul_lo_u32 v4, v3, s12
	v_add_u32_e32 v5, 1, v3
	v_sub_u32_e32 v4, v6, v4
	v_subrev_u32_e32 v8, s12, v4
	v_cmp_le_u32_e32 vcc, s12, v4
	v_cndmask_b32_e32 v4, v4, v8, vcc
	v_cndmask_b32_e32 v3, v3, v5, vcc
	v_add_u32_e32 v5, 1, v3
	v_cmp_le_u32_e32 vcc, s12, v4
	v_cndmask_b32_e32 v10, v3, v5, vcc
.LBB99_11:                              ;   in Loop: Header=BB99_3 Depth=1
	s_or_b64 exec, exec, s[0:1]
	v_mul_lo_u32 v5, v7, s26
	v_mul_lo_u32 v8, v6, s27
	v_mad_u64_u32 v[3:4], s[0:1], v6, s26, 0
	v_mul_lo_u32 v12, v11, s12
	v_mul_lo_u32 v13, v10, s13
	v_add3_u32 v5, v4, v8, v5
	v_mad_u64_u32 v[8:9], s[0:1], v10, s12, 0
	v_sub_co_u32_e32 v4, vcc, v0, v3
	v_subb_co_u32_e32 v5, vcc, v1, v5, vcc
	v_add3_u32 v3, v9, v13, v12
	v_mul_lo_u32 v9, s19, v4
	v_mul_lo_u32 v14, s18, v5
	v_mad_u64_u32 v[12:13], s[0:1], s18, v4, 0
	v_sub_co_u32_e32 v16, vcc, v6, v8
	v_subb_co_u32_e32 v17, vcc, v7, v3, vcc
	v_add3_u32 v13, v13, v14, v9
	v_mul_lo_u32 v3, s23, v4
	v_mul_lo_u32 v14, s22, v5
	v_mad_u64_u32 v[6:7], s[0:1], s22, v4, 0
	v_mad_u64_u32 v[8:9], s[0:1], s16, v16, v[12:13]
	v_mul_lo_u32 v12, s16, v17
	v_mul_lo_u32 v13, s17, v16
	v_add3_u32 v7, v7, v14, v3
	v_mad_u64_u32 v[6:7], s[0:1], s20, v16, v[6:7]
	v_add3_u32 v9, v13, v9, v12
	v_mul_lo_u32 v3, s20, v17
	v_mul_lo_u32 v12, s21, v16
	s_andn2_b64 vcc, exec, s[6:7]
	v_add3_u32 v7, v12, v7, v3
	s_cbranch_vccnz .LBB99_29
; %bb.12:                               ;   in Loop: Header=BB99_3 Depth=1
	s_andn2_b64 vcc, exec, s[36:37]
	s_cbranch_vccnz .LBB99_18
; %bb.13:                               ;   in Loop: Header=BB99_3 Depth=1
	s_load_dwordx2 s[46:47], s[38:39], 0x8
                                        ; implicit-def: $vgpr12_vgpr13
	s_waitcnt lgkmcnt(0)
	v_or_b32_e32 v3, s47, v11
	v_cmp_ne_u64_e32 vcc, 0, v[2:3]
	s_and_saveexec_b64 s[0:1], vcc
	s_xor_b64 s[48:49], exec, s[0:1]
	s_cbranch_execz .LBB99_15
; %bb.14:                               ;   in Loop: Header=BB99_3 Depth=1
	s_ashr_i32 s50, s47, 31
	s_add_u32 s0, s46, s50
	s_mov_b32 s51, s50
	s_addc_u32 s1, s47, s50
	s_xor_b64 s[52:53], s[0:1], s[50:51]
	v_cvt_f32_u32_e32 v3, s52
	v_cvt_f32_u32_e32 v12, s53
	s_sub_u32 s51, 0, s52
	s_subb_u32 s54, 0, s53
	v_mac_f32_e32 v3, 0x4f800000, v12
	v_rcp_f32_e32 v3, v3
	v_mul_f32_e32 v3, 0x5f7ffffc, v3
	v_mul_f32_e32 v12, 0x2f800000, v3
	v_trunc_f32_e32 v12, v12
	v_mac_f32_e32 v3, 0xcf800000, v12
	v_cvt_u32_f32_e32 v12, v12
	v_cvt_u32_f32_e32 v3, v3
	v_readfirstlane_b32 s55, v12
	v_readfirstlane_b32 s0, v3
	s_mul_i32 s1, s51, s55
	s_mul_hi_u32 s57, s51, s0
	s_mul_i32 s56, s54, s0
	s_add_i32 s1, s57, s1
	s_add_i32 s1, s1, s56
	s_mul_i32 s58, s51, s0
	s_mul_i32 s57, s0, s1
	s_mul_hi_u32 s59, s0, s58
	s_mul_hi_u32 s56, s0, s1
	s_add_u32 s57, s59, s57
	s_addc_u32 s56, 0, s56
	s_mul_hi_u32 s60, s55, s58
	s_mul_i32 s58, s55, s58
	s_add_u32 s57, s57, s58
	s_mul_hi_u32 s59, s55, s1
	s_addc_u32 s56, s56, s60
	s_addc_u32 s57, s59, 0
	s_mul_i32 s1, s55, s1
	s_add_u32 s1, s56, s1
	s_addc_u32 s56, 0, s57
	s_add_u32 s57, s0, s1
	s_cselect_b64 s[0:1], -1, 0
	s_cmp_lg_u64 s[0:1], 0
	s_addc_u32 s55, s55, s56
	s_mul_i32 s0, s51, s55
	s_mul_hi_u32 s1, s51, s57
	s_add_i32 s0, s1, s0
	s_mul_i32 s54, s54, s57
	s_add_i32 s0, s0, s54
	s_mul_i32 s51, s51, s57
	s_mul_hi_u32 s54, s55, s51
	s_mul_i32 s56, s55, s51
	s_mul_i32 s59, s57, s0
	s_mul_hi_u32 s51, s57, s51
	s_mul_hi_u32 s58, s57, s0
	s_add_u32 s51, s51, s59
	s_addc_u32 s58, 0, s58
	s_add_u32 s51, s51, s56
	s_mul_hi_u32 s1, s55, s0
	s_addc_u32 s51, s58, s54
	s_addc_u32 s1, s1, 0
	s_mul_i32 s0, s55, s0
	s_add_u32 s0, s51, s0
	s_addc_u32 s51, 0, s1
	s_add_u32 s54, s57, s0
	s_cselect_b64 s[0:1], -1, 0
	v_ashrrev_i32_e32 v3, 31, v11
	s_cmp_lg_u64 s[0:1], 0
	v_add_co_u32_e32 v12, vcc, v10, v3
	s_addc_u32 s51, s55, s51
	v_xor_b32_e32 v18, v12, v3
	v_mad_u64_u32 v[12:13], s[0:1], v18, s51, 0
	v_mul_hi_u32 v15, v18, s54
	v_addc_co_u32_e32 v14, vcc, v11, v3, vcc
	v_xor_b32_e32 v19, v14, v3
	v_add_co_u32_e32 v20, vcc, v15, v12
	v_addc_co_u32_e32 v21, vcc, 0, v13, vcc
	v_mad_u64_u32 v[12:13], s[0:1], v19, s54, 0
	v_mad_u64_u32 v[14:15], s[0:1], v19, s51, 0
	v_add_co_u32_e32 v12, vcc, v20, v12
	v_addc_co_u32_e32 v12, vcc, v21, v13, vcc
	v_addc_co_u32_e32 v13, vcc, 0, v15, vcc
	v_add_co_u32_e32 v14, vcc, v12, v14
	v_addc_co_u32_e32 v15, vcc, 0, v13, vcc
	v_mul_lo_u32 v20, s53, v14
	v_mul_lo_u32 v21, s52, v15
	v_mad_u64_u32 v[12:13], s[0:1], s52, v14, 0
	v_xor_b32_e32 v3, s50, v3
	v_add3_u32 v13, v13, v21, v20
	v_sub_u32_e32 v20, v19, v13
	v_mov_b32_e32 v21, s53
	v_sub_co_u32_e32 v12, vcc, v18, v12
	v_subb_co_u32_e64 v18, s[0:1], v20, v21, vcc
	v_subrev_co_u32_e64 v20, s[0:1], s52, v12
	v_subbrev_co_u32_e64 v18, s[0:1], 0, v18, s[0:1]
	v_cmp_le_u32_e64 s[0:1], s53, v18
	v_cndmask_b32_e64 v21, 0, -1, s[0:1]
	v_cmp_le_u32_e64 s[0:1], s52, v20
	v_cndmask_b32_e64 v20, 0, -1, s[0:1]
	v_cmp_eq_u32_e64 s[0:1], s53, v18
	v_cndmask_b32_e64 v18, v21, v20, s[0:1]
	v_add_co_u32_e64 v20, s[0:1], 2, v14
	v_subb_co_u32_e32 v13, vcc, v19, v13, vcc
	v_addc_co_u32_e64 v21, s[0:1], 0, v15, s[0:1]
	v_cmp_le_u32_e32 vcc, s53, v13
	v_add_co_u32_e64 v22, s[0:1], 1, v14
	v_cndmask_b32_e64 v19, 0, -1, vcc
	v_cmp_le_u32_e32 vcc, s52, v12
	v_addc_co_u32_e64 v23, s[0:1], 0, v15, s[0:1]
	v_cndmask_b32_e64 v12, 0, -1, vcc
	v_cmp_eq_u32_e32 vcc, s53, v13
	v_cmp_ne_u32_e64 s[0:1], 0, v18
	v_cndmask_b32_e32 v12, v19, v12, vcc
	v_cndmask_b32_e64 v18, v23, v21, s[0:1]
	v_cmp_ne_u32_e32 vcc, 0, v12
	v_cndmask_b32_e64 v13, v22, v20, s[0:1]
	v_cndmask_b32_e32 v12, v15, v18, vcc
	v_cndmask_b32_e32 v13, v14, v13, vcc
	v_xor_b32_e32 v14, v12, v3
	v_xor_b32_e32 v12, v13, v3
	v_sub_co_u32_e32 v12, vcc, v12, v3
	v_subb_co_u32_e32 v13, vcc, v14, v3, vcc
.LBB99_15:                              ;   in Loop: Header=BB99_3 Depth=1
	s_andn2_saveexec_b64 s[0:1], s[48:49]
	s_cbranch_execz .LBB99_17
; %bb.16:                               ;   in Loop: Header=BB99_3 Depth=1
	v_cvt_f32_u32_e32 v3, s46
	s_sub_i32 s48, 0, s46
	v_rcp_iflag_f32_e32 v3, v3
	v_mul_f32_e32 v3, 0x4f7ffffe, v3
	v_cvt_u32_f32_e32 v3, v3
	v_mul_lo_u32 v12, s48, v3
	v_mul_hi_u32 v12, v3, v12
	v_add_u32_e32 v3, v3, v12
	v_mul_hi_u32 v3, v10, v3
	v_mul_lo_u32 v12, v3, s46
	v_add_u32_e32 v13, 1, v3
	v_sub_u32_e32 v12, v10, v12
	v_subrev_u32_e32 v14, s46, v12
	v_cmp_le_u32_e32 vcc, s46, v12
	v_cndmask_b32_e32 v12, v12, v14, vcc
	v_cndmask_b32_e32 v3, v3, v13, vcc
	v_add_u32_e32 v13, 1, v3
	v_cmp_le_u32_e32 vcc, s46, v12
	v_cndmask_b32_e32 v12, v3, v13, vcc
	v_mov_b32_e32 v13, v2
.LBB99_17:                              ;   in Loop: Header=BB99_3 Depth=1
	s_or_b64 exec, exec, s[0:1]
	v_mul_lo_u32 v3, v13, s46
	v_mul_lo_u32 v18, v12, s47
	v_mad_u64_u32 v[14:15], s[0:1], v12, s46, 0
	s_load_dwordx2 s[0:1], s[38:39], 0xd0
	s_load_dwordx2 s[46:47], s[40:41], 0xd0
	v_add3_u32 v3, v15, v18, v3
	v_sub_co_u32_e32 v10, vcc, v10, v14
	v_subb_co_u32_e32 v3, vcc, v11, v3, vcc
	s_waitcnt lgkmcnt(0)
	v_mul_lo_u32 v11, s0, v3
	v_mul_lo_u32 v14, s1, v10
	v_mad_u64_u32 v[8:9], s[0:1], s0, v10, v[8:9]
	v_mul_lo_u32 v3, s46, v3
	v_mul_lo_u32 v15, s47, v10
	v_mad_u64_u32 v[6:7], s[0:1], s46, v10, v[6:7]
	v_add3_u32 v9, v14, v9, v11
	v_mov_b32_e32 v10, v12
	v_add3_u32 v7, v15, v7, v3
	v_mov_b32_e32 v11, v13
	s_mov_b64 s[0:1], s[42:43]
	s_andn2_b64 vcc, exec, s[44:45]
	s_cbranch_vccz .LBB99_19
	s_branch .LBB99_29
.LBB99_18:                              ;   in Loop: Header=BB99_3 Depth=1
	s_mov_b64 s[0:1], s[24:25]
	s_andn2_b64 vcc, exec, s[44:45]
	s_cbranch_vccnz .LBB99_29
.LBB99_19:                              ;   in Loop: Header=BB99_3 Depth=1
	s_lshl_b64 s[48:49], s[0:1], 3
	s_add_u32 s46, s72, s48
	s_addc_u32 s47, s73, s49
	s_add_u32 s48, s33, s48
	s_addc_u32 s49, s66, s49
	;; [unrolled: 2-line block ×3, first 2 shown]
	s_branch .LBB99_21
.LBB99_20:                              ;   in Loop: Header=BB99_21 Depth=2
	s_or_b64 exec, exec, s[0:1]
	v_mul_lo_u32 v3, v13, s52
	v_mul_lo_u32 v20, v12, s53
	v_mad_u64_u32 v[18:19], s[0:1], v12, s52, 0
	v_mul_lo_u32 v21, v15, s54
	v_mul_lo_u32 v22, v14, s55
	v_add3_u32 v3, v19, v20, v3
	v_sub_co_u32_e32 v10, vcc, v10, v18
	v_subb_co_u32_e32 v3, vcc, v11, v3, vcc
	v_mul_lo_u32 v18, s58, v3
	v_mul_lo_u32 v19, s59, v10
	v_mad_u64_u32 v[8:9], s[0:1], s58, v10, v[8:9]
	v_mul_lo_u32 v3, s56, v3
	v_mul_lo_u32 v20, s57, v10
	v_mad_u64_u32 v[6:7], s[0:1], s56, v10, v[6:7]
	v_mad_u64_u32 v[10:11], s[0:1], v14, s54, 0
	s_load_dwordx2 s[0:1], s[48:49], 0xc8
	s_load_dwordx2 s[52:53], s[46:47], 0x0
	v_add3_u32 v7, v20, v7, v3
	v_add3_u32 v3, v11, v22, v21
	v_sub_co_u32_e32 v10, vcc, v12, v10
	v_add3_u32 v9, v19, v9, v18
	v_subb_co_u32_e32 v3, vcc, v13, v3, vcc
	s_add_u32 s46, s46, -16
	s_waitcnt lgkmcnt(0)
	v_mad_u64_u32 v[8:9], s[54:55], s0, v10, v[8:9]
	v_mul_lo_u32 v11, s0, v3
	v_mul_lo_u32 v12, s1, v10
	v_mad_u64_u32 v[6:7], s[0:1], s52, v10, v[6:7]
	v_mul_lo_u32 v3, s52, v3
	v_mul_lo_u32 v10, s53, v10
	s_addc_u32 s47, s47, -1
	s_add_u32 s48, s48, -16
	s_addc_u32 s49, s49, -1
	s_add_u32 s50, s50, -2
	v_add3_u32 v9, v12, v9, v11
	v_add3_u32 v7, v10, v7, v3
	s_addc_u32 s51, s51, -1
	v_mov_b32_e32 v10, v14
	s_cmp_eq_u64 s[50:51], 0
	v_mov_b32_e32 v11, v15
	s_cbranch_scc1 .LBB99_29
.LBB99_21:                              ;   Parent Loop BB99_3 Depth=1
                                        ; =>  This Inner Loop Header: Depth=2
	s_load_dwordx2 s[52:53], s[48:49], 0x8
                                        ; implicit-def: $vgpr12_vgpr13
	s_waitcnt lgkmcnt(0)
	v_or_b32_e32 v3, s53, v11
	v_cmp_ne_u64_e32 vcc, 0, v[2:3]
	s_and_saveexec_b64 s[0:1], vcc
	s_xor_b64 s[54:55], exec, s[0:1]
	s_cbranch_execz .LBB99_23
; %bb.22:                               ;   in Loop: Header=BB99_21 Depth=2
	s_ashr_i32 s56, s53, 31
	s_add_u32 s0, s52, s56
	s_mov_b32 s57, s56
	s_addc_u32 s1, s53, s56
	s_xor_b64 s[58:59], s[0:1], s[56:57]
	v_cvt_f32_u32_e32 v3, s58
	v_cvt_f32_u32_e32 v12, s59
	s_sub_u32 s57, 0, s58
	s_subb_u32 s60, 0, s59
	v_mac_f32_e32 v3, 0x4f800000, v12
	v_rcp_f32_e32 v3, v3
	v_mul_f32_e32 v3, 0x5f7ffffc, v3
	v_mul_f32_e32 v12, 0x2f800000, v3
	v_trunc_f32_e32 v12, v12
	v_mac_f32_e32 v3, 0xcf800000, v12
	v_cvt_u32_f32_e32 v12, v12
	v_cvt_u32_f32_e32 v3, v3
	v_readfirstlane_b32 s61, v12
	v_readfirstlane_b32 s0, v3
	s_mul_i32 s1, s57, s61
	s_mul_hi_u32 s63, s57, s0
	s_mul_i32 s62, s60, s0
	s_add_i32 s1, s63, s1
	s_add_i32 s1, s1, s62
	s_mul_i32 s64, s57, s0
	s_mul_i32 s63, s0, s1
	s_mul_hi_u32 s65, s0, s64
	s_mul_hi_u32 s62, s0, s1
	s_add_u32 s63, s65, s63
	s_addc_u32 s62, 0, s62
	s_mul_hi_u32 s74, s61, s64
	s_mul_i32 s64, s61, s64
	s_add_u32 s63, s63, s64
	s_mul_hi_u32 s65, s61, s1
	s_addc_u32 s62, s62, s74
	s_addc_u32 s63, s65, 0
	s_mul_i32 s1, s61, s1
	s_add_u32 s1, s62, s1
	s_addc_u32 s62, 0, s63
	s_add_u32 s63, s0, s1
	s_cselect_b64 s[0:1], -1, 0
	s_cmp_lg_u64 s[0:1], 0
	s_addc_u32 s61, s61, s62
	s_mul_i32 s0, s57, s61
	s_mul_hi_u32 s1, s57, s63
	s_add_i32 s0, s1, s0
	s_mul_i32 s60, s60, s63
	s_add_i32 s0, s0, s60
	s_mul_i32 s57, s57, s63
	s_mul_hi_u32 s60, s61, s57
	s_mul_i32 s62, s61, s57
	s_mul_i32 s65, s63, s0
	s_mul_hi_u32 s57, s63, s57
	s_mul_hi_u32 s64, s63, s0
	s_add_u32 s57, s57, s65
	s_addc_u32 s64, 0, s64
	s_add_u32 s57, s57, s62
	s_mul_hi_u32 s1, s61, s0
	s_addc_u32 s57, s64, s60
	s_addc_u32 s1, s1, 0
	s_mul_i32 s0, s61, s0
	s_add_u32 s0, s57, s0
	s_addc_u32 s57, 0, s1
	s_add_u32 s60, s63, s0
	s_cselect_b64 s[0:1], -1, 0
	v_ashrrev_i32_e32 v3, 31, v11
	s_cmp_lg_u64 s[0:1], 0
	v_add_co_u32_e32 v12, vcc, v10, v3
	s_addc_u32 s57, s61, s57
	v_xor_b32_e32 v18, v12, v3
	v_mad_u64_u32 v[12:13], s[0:1], v18, s57, 0
	v_mul_hi_u32 v15, v18, s60
	v_addc_co_u32_e32 v14, vcc, v11, v3, vcc
	v_xor_b32_e32 v19, v14, v3
	v_add_co_u32_e32 v20, vcc, v15, v12
	v_addc_co_u32_e32 v21, vcc, 0, v13, vcc
	v_mad_u64_u32 v[12:13], s[0:1], v19, s60, 0
	v_mad_u64_u32 v[14:15], s[0:1], v19, s57, 0
	v_add_co_u32_e32 v12, vcc, v20, v12
	v_addc_co_u32_e32 v12, vcc, v21, v13, vcc
	v_addc_co_u32_e32 v13, vcc, 0, v15, vcc
	v_add_co_u32_e32 v14, vcc, v12, v14
	v_addc_co_u32_e32 v15, vcc, 0, v13, vcc
	v_mul_lo_u32 v20, s59, v14
	v_mul_lo_u32 v21, s58, v15
	v_mad_u64_u32 v[12:13], s[0:1], s58, v14, 0
	v_xor_b32_e32 v3, s56, v3
	v_add3_u32 v13, v13, v21, v20
	v_sub_u32_e32 v20, v19, v13
	v_mov_b32_e32 v21, s59
	v_sub_co_u32_e32 v12, vcc, v18, v12
	v_subb_co_u32_e64 v18, s[0:1], v20, v21, vcc
	v_subrev_co_u32_e64 v20, s[0:1], s58, v12
	v_subbrev_co_u32_e64 v18, s[0:1], 0, v18, s[0:1]
	v_cmp_le_u32_e64 s[0:1], s59, v18
	v_cndmask_b32_e64 v21, 0, -1, s[0:1]
	v_cmp_le_u32_e64 s[0:1], s58, v20
	v_cndmask_b32_e64 v20, 0, -1, s[0:1]
	v_cmp_eq_u32_e64 s[0:1], s59, v18
	v_cndmask_b32_e64 v18, v21, v20, s[0:1]
	v_add_co_u32_e64 v20, s[0:1], 2, v14
	v_subb_co_u32_e32 v13, vcc, v19, v13, vcc
	v_addc_co_u32_e64 v21, s[0:1], 0, v15, s[0:1]
	v_cmp_le_u32_e32 vcc, s59, v13
	v_add_co_u32_e64 v22, s[0:1], 1, v14
	v_cndmask_b32_e64 v19, 0, -1, vcc
	v_cmp_le_u32_e32 vcc, s58, v12
	v_addc_co_u32_e64 v23, s[0:1], 0, v15, s[0:1]
	v_cndmask_b32_e64 v12, 0, -1, vcc
	v_cmp_eq_u32_e32 vcc, s59, v13
	v_cmp_ne_u32_e64 s[0:1], 0, v18
	v_cndmask_b32_e32 v12, v19, v12, vcc
	v_cndmask_b32_e64 v18, v23, v21, s[0:1]
	v_cmp_ne_u32_e32 vcc, 0, v12
	v_cndmask_b32_e64 v13, v22, v20, s[0:1]
	v_cndmask_b32_e32 v12, v15, v18, vcc
	v_cndmask_b32_e32 v13, v14, v13, vcc
	v_xor_b32_e32 v14, v12, v3
	v_xor_b32_e32 v12, v13, v3
	v_sub_co_u32_e32 v12, vcc, v12, v3
	v_subb_co_u32_e32 v13, vcc, v14, v3, vcc
.LBB99_23:                              ;   in Loop: Header=BB99_21 Depth=2
	s_andn2_saveexec_b64 s[0:1], s[54:55]
	s_cbranch_execz .LBB99_25
; %bb.24:                               ;   in Loop: Header=BB99_21 Depth=2
	v_cvt_f32_u32_e32 v3, s52
	s_sub_i32 s54, 0, s52
	v_rcp_iflag_f32_e32 v3, v3
	v_mul_f32_e32 v3, 0x4f7ffffe, v3
	v_cvt_u32_f32_e32 v3, v3
	v_mul_lo_u32 v12, s54, v3
	v_mul_hi_u32 v12, v3, v12
	v_add_u32_e32 v3, v3, v12
	v_mul_hi_u32 v3, v10, v3
	v_mul_lo_u32 v12, v3, s52
	v_add_u32_e32 v13, 1, v3
	v_sub_u32_e32 v12, v10, v12
	v_subrev_u32_e32 v14, s52, v12
	v_cmp_le_u32_e32 vcc, s52, v12
	v_cndmask_b32_e32 v12, v12, v14, vcc
	v_cndmask_b32_e32 v3, v3, v13, vcc
	v_add_u32_e32 v13, 1, v3
	v_cmp_le_u32_e32 vcc, s52, v12
	v_cndmask_b32_e32 v12, v3, v13, vcc
	v_mov_b32_e32 v13, v2
.LBB99_25:                              ;   in Loop: Header=BB99_21 Depth=2
	s_or_b64 exec, exec, s[0:1]
	s_load_dwordx2 s[54:55], s[48:49], 0x0
	s_load_dwordx2 s[58:59], s[48:49], 0xd0
	;; [unrolled: 1-line block ×3, first 2 shown]
                                        ; implicit-def: $vgpr14_vgpr15
	s_waitcnt lgkmcnt(0)
	v_or_b32_e32 v3, s55, v13
	v_cmp_ne_u64_e32 vcc, 0, v[2:3]
	s_and_saveexec_b64 s[0:1], vcc
	s_xor_b64 s[60:61], exec, s[0:1]
	s_cbranch_execz .LBB99_27
; %bb.26:                               ;   in Loop: Header=BB99_21 Depth=2
	s_ashr_i32 s62, s55, 31
	s_add_u32 s0, s54, s62
	s_mov_b32 s63, s62
	s_addc_u32 s1, s55, s62
	s_xor_b64 s[64:65], s[0:1], s[62:63]
	v_cvt_f32_u32_e32 v3, s64
	v_cvt_f32_u32_e32 v14, s65
	s_sub_u32 s63, 0, s64
	s_subb_u32 s74, 0, s65
	v_mac_f32_e32 v3, 0x4f800000, v14
	v_rcp_f32_e32 v3, v3
	v_mul_f32_e32 v3, 0x5f7ffffc, v3
	v_mul_f32_e32 v14, 0x2f800000, v3
	v_trunc_f32_e32 v14, v14
	v_mac_f32_e32 v3, 0xcf800000, v14
	v_cvt_u32_f32_e32 v14, v14
	v_cvt_u32_f32_e32 v3, v3
	v_readfirstlane_b32 s75, v14
	v_readfirstlane_b32 s0, v3
	s_mul_i32 s1, s63, s75
	s_mul_hi_u32 s77, s63, s0
	s_mul_i32 s76, s74, s0
	s_add_i32 s1, s77, s1
	s_add_i32 s1, s1, s76
	s_mul_i32 s78, s63, s0
	s_mul_i32 s77, s0, s1
	s_mul_hi_u32 s79, s0, s78
	s_mul_hi_u32 s76, s0, s1
	s_add_u32 s77, s79, s77
	s_addc_u32 s76, 0, s76
	s_mul_hi_u32 s80, s75, s78
	s_mul_i32 s78, s75, s78
	s_add_u32 s77, s77, s78
	s_mul_hi_u32 s79, s75, s1
	s_addc_u32 s76, s76, s80
	s_addc_u32 s77, s79, 0
	s_mul_i32 s1, s75, s1
	s_add_u32 s1, s76, s1
	s_addc_u32 s76, 0, s77
	s_add_u32 s77, s0, s1
	s_cselect_b64 s[0:1], -1, 0
	s_cmp_lg_u64 s[0:1], 0
	s_addc_u32 s75, s75, s76
	s_mul_i32 s0, s63, s75
	s_mul_hi_u32 s1, s63, s77
	s_add_i32 s0, s1, s0
	s_mul_i32 s74, s74, s77
	s_add_i32 s0, s0, s74
	s_mul_i32 s63, s63, s77
	s_mul_hi_u32 s74, s75, s63
	s_mul_i32 s76, s75, s63
	s_mul_i32 s79, s77, s0
	s_mul_hi_u32 s63, s77, s63
	s_mul_hi_u32 s78, s77, s0
	s_add_u32 s63, s63, s79
	s_addc_u32 s78, 0, s78
	s_add_u32 s63, s63, s76
	s_mul_hi_u32 s1, s75, s0
	s_addc_u32 s63, s78, s74
	s_addc_u32 s1, s1, 0
	s_mul_i32 s0, s75, s0
	s_add_u32 s0, s63, s0
	s_addc_u32 s63, 0, s1
	s_add_u32 s74, s77, s0
	s_cselect_b64 s[0:1], -1, 0
	v_ashrrev_i32_e32 v3, 31, v13
	s_cmp_lg_u64 s[0:1], 0
	v_add_co_u32_e32 v14, vcc, v12, v3
	s_addc_u32 s63, s75, s63
	v_xor_b32_e32 v20, v14, v3
	v_mad_u64_u32 v[14:15], s[0:1], v20, s63, 0
	v_mul_hi_u32 v19, v20, s74
	v_addc_co_u32_e32 v18, vcc, v13, v3, vcc
	v_xor_b32_e32 v21, v18, v3
	v_add_co_u32_e32 v22, vcc, v19, v14
	v_addc_co_u32_e32 v23, vcc, 0, v15, vcc
	v_mad_u64_u32 v[14:15], s[0:1], v21, s74, 0
	v_mad_u64_u32 v[18:19], s[0:1], v21, s63, 0
	v_add_co_u32_e32 v14, vcc, v22, v14
	v_addc_co_u32_e32 v14, vcc, v23, v15, vcc
	v_addc_co_u32_e32 v15, vcc, 0, v19, vcc
	v_add_co_u32_e32 v18, vcc, v14, v18
	v_addc_co_u32_e32 v19, vcc, 0, v15, vcc
	v_mul_lo_u32 v22, s65, v18
	v_mul_lo_u32 v23, s64, v19
	v_mad_u64_u32 v[14:15], s[0:1], s64, v18, 0
	v_xor_b32_e32 v3, s62, v3
	v_add3_u32 v15, v15, v23, v22
	v_sub_u32_e32 v22, v21, v15
	v_mov_b32_e32 v23, s65
	v_sub_co_u32_e32 v14, vcc, v20, v14
	v_subb_co_u32_e64 v20, s[0:1], v22, v23, vcc
	v_subrev_co_u32_e64 v22, s[0:1], s64, v14
	v_subbrev_co_u32_e64 v20, s[0:1], 0, v20, s[0:1]
	v_cmp_le_u32_e64 s[0:1], s65, v20
	v_cndmask_b32_e64 v23, 0, -1, s[0:1]
	v_cmp_le_u32_e64 s[0:1], s64, v22
	v_cndmask_b32_e64 v22, 0, -1, s[0:1]
	v_cmp_eq_u32_e64 s[0:1], s65, v20
	v_cndmask_b32_e64 v20, v23, v22, s[0:1]
	v_add_co_u32_e64 v22, s[0:1], 2, v18
	v_subb_co_u32_e32 v15, vcc, v21, v15, vcc
	v_addc_co_u32_e64 v23, s[0:1], 0, v19, s[0:1]
	v_cmp_le_u32_e32 vcc, s65, v15
	v_add_co_u32_e64 v24, s[0:1], 1, v18
	v_cndmask_b32_e64 v21, 0, -1, vcc
	v_cmp_le_u32_e32 vcc, s64, v14
	v_addc_co_u32_e64 v25, s[0:1], 0, v19, s[0:1]
	v_cndmask_b32_e64 v14, 0, -1, vcc
	v_cmp_eq_u32_e32 vcc, s65, v15
	v_cmp_ne_u32_e64 s[0:1], 0, v20
	v_cndmask_b32_e32 v14, v21, v14, vcc
	v_cndmask_b32_e64 v20, v25, v23, s[0:1]
	v_cmp_ne_u32_e32 vcc, 0, v14
	v_cndmask_b32_e64 v15, v24, v22, s[0:1]
	v_cndmask_b32_e32 v14, v19, v20, vcc
	v_cndmask_b32_e32 v15, v18, v15, vcc
	v_xor_b32_e32 v18, v14, v3
	v_xor_b32_e32 v14, v15, v3
	v_sub_co_u32_e32 v14, vcc, v14, v3
	v_subb_co_u32_e32 v15, vcc, v18, v3, vcc
.LBB99_27:                              ;   in Loop: Header=BB99_21 Depth=2
	s_andn2_saveexec_b64 s[0:1], s[60:61]
	s_cbranch_execz .LBB99_20
; %bb.28:                               ;   in Loop: Header=BB99_21 Depth=2
	v_cvt_f32_u32_e32 v3, s54
	s_sub_i32 s60, 0, s54
	v_rcp_iflag_f32_e32 v3, v3
	v_mul_f32_e32 v3, 0x4f7ffffe, v3
	v_cvt_u32_f32_e32 v3, v3
	v_mul_lo_u32 v14, s60, v3
	v_mul_hi_u32 v14, v3, v14
	v_add_u32_e32 v3, v3, v14
	v_mul_hi_u32 v3, v12, v3
	v_mul_lo_u32 v14, v3, s54
	v_add_u32_e32 v15, 1, v3
	v_sub_u32_e32 v14, v12, v14
	v_subrev_u32_e32 v18, s54, v14
	v_cmp_le_u32_e32 vcc, s54, v14
	v_cndmask_b32_e32 v14, v14, v18, vcc
	v_cndmask_b32_e32 v3, v3, v15, vcc
	v_add_u32_e32 v15, 1, v3
	v_cmp_le_u32_e32 vcc, s54, v14
	v_cndmask_b32_e32 v14, v3, v15, vcc
	v_mov_b32_e32 v15, v2
	s_branch .LBB99_20
.LBB99_29:                              ;   in Loop: Header=BB99_3 Depth=1
	v_sub_co_u32_e32 v10, vcc, v4, v16
	v_subb_co_u32_e32 v11, vcc, v5, v17, vcc
	v_add_co_u32_e32 v12, vcc, 4, v10
	v_addc_co_u32_e32 v13, vcc, 0, v11, vcc
	v_cmp_le_i64_e32 vcc, s[8:9], v[12:13]
	v_mov_b32_e32 v16, 0
	v_mov_b32_e32 v15, 0
	;; [unrolled: 1-line block ×4, first 2 shown]
	s_and_saveexec_b64 s[0:1], vcc
	s_cbranch_execz .LBB99_39
; %bb.30:                               ;   in Loop: Header=BB99_3 Depth=1
	v_cmp_gt_i64_e32 vcc, s[14:15], v[4:5]
	v_mov_b32_e32 v14, 0
	v_mov_b32_e32 v13, 0
	;; [unrolled: 1-line block ×4, first 2 shown]
	s_and_saveexec_b64 s[46:47], vcc
	s_cbranch_execz .LBB99_38
; %bb.31:                               ;   in Loop: Header=BB99_3 Depth=1
	v_lshlrev_b64 v[8:9], 1, v[8:9]
	v_mov_b32_e32 v3, s3
	v_add_co_u32_e32 v8, vcc, s2, v8
	v_addc_co_u32_e32 v9, vcc, v3, v9, vcc
	global_load_ushort v3, v[8:9], off
	v_add_co_u32_e32 v12, vcc, 1, v4
	v_addc_co_u32_e32 v13, vcc, 0, v5, vcc
	v_cmp_gt_i64_e32 vcc, s[14:15], v[12:13]
	v_mov_b32_e32 v12, 0
	v_mov_b32_e32 v13, 0
	;; [unrolled: 1-line block ×3, first 2 shown]
	s_and_saveexec_b64 s[48:49], vcc
	s_xor_b64 s[48:49], exec, s[48:49]
	s_cbranch_execz .LBB99_37
; %bb.32:                               ;   in Loop: Header=BB99_3 Depth=1
	s_lshl_b64 s[50:51], s[18:19], 1
	v_mov_b32_e32 v13, s51
	v_add_co_u32_e32 v12, vcc, s50, v8
	v_addc_co_u32_e32 v13, vcc, v9, v13, vcc
	global_load_ushort v12, v[12:13], off
	v_add_co_u32_e32 v13, vcc, 2, v4
	v_addc_co_u32_e32 v14, vcc, 0, v5, vcc
	v_cmp_gt_i64_e32 vcc, s[14:15], v[13:14]
	v_mov_b32_e32 v13, 0
	v_mov_b32_e32 v14, 0
	s_and_saveexec_b64 s[50:51], vcc
	s_xor_b64 s[50:51], exec, s[50:51]
	s_cbranch_execz .LBB99_36
; %bb.33:                               ;   in Loop: Header=BB99_3 Depth=1
	v_mov_b32_e32 v14, s31
	v_add_co_u32_e32 v13, vcc, s30, v8
	v_addc_co_u32_e32 v14, vcc, v9, v14, vcc
	global_load_ushort v13, v[13:14], off
	v_add_co_u32_e32 v14, vcc, 3, v4
	v_addc_co_u32_e32 v15, vcc, 0, v5, vcc
	v_cmp_gt_i64_e32 vcc, s[14:15], v[14:15]
	v_mov_b32_e32 v14, 0
	s_and_saveexec_b64 s[52:53], vcc
	s_xor_b64 s[52:53], exec, s[52:53]
	s_cbranch_execz .LBB99_35
; %bb.34:                               ;   in Loop: Header=BB99_3 Depth=1
	v_mov_b32_e32 v14, s68
	v_add_co_u32_e32 v8, vcc, s69, v8
	v_addc_co_u32_e32 v9, vcc, v9, v14, vcc
	global_load_ushort v14, v[8:9], off
.LBB99_35:                              ;   in Loop: Header=BB99_3 Depth=1
	s_or_b64 exec, exec, s[52:53]
.LBB99_36:                              ;   in Loop: Header=BB99_3 Depth=1
	s_or_b64 exec, exec, s[50:51]
.LBB99_37:                              ;   in Loop: Header=BB99_3 Depth=1
	s_or_b64 exec, exec, s[48:49]
.LBB99_38:                              ;   in Loop: Header=BB99_3 Depth=1
	s_or_b64 exec, exec, s[46:47]
	v_cmp_le_i64_e32 vcc, s[8:9], v[10:11]
	s_waitcnt vmcnt(0)
	v_cndmask_b32_e32 v16, 0, v3, vcc
	v_add_co_u32_e32 v8, vcc, 1, v10
	v_addc_co_u32_e32 v9, vcc, 0, v11, vcc
	v_cmp_le_i64_e32 vcc, s[8:9], v[8:9]
	v_cndmask_b32_e32 v15, 0, v12, vcc
	v_add_co_u32_e32 v8, vcc, 2, v10
	v_addc_co_u32_e32 v9, vcc, 0, v11, vcc
	v_cmp_le_i64_e32 vcc, s[8:9], v[8:9]
	;; [unrolled: 4-line block ×3, first 2 shown]
	v_cndmask_b32_e32 v3, 0, v14, vcc
.LBB99_39:                              ;   in Loop: Header=BB99_3 Depth=1
	s_or_b64 exec, exec, s[0:1]
	v_cmp_gt_i64_e32 vcc, s[14:15], v[4:5]
	s_and_saveexec_b64 s[0:1], vcc
	s_cbranch_execz .LBB99_2
; %bb.40:                               ;   in Loop: Header=BB99_3 Depth=1
	v_lshlrev_b64 v[6:7], 1, v[6:7]
	v_mov_b32_e32 v8, s29
	v_add_co_u32_e32 v6, vcc, s28, v6
	v_addc_co_u32_e32 v7, vcc, v8, v7, vcc
	v_add_co_u32_e32 v8, vcc, 1, v4
	v_addc_co_u32_e32 v9, vcc, 0, v5, vcc
	v_cmp_gt_i64_e32 vcc, s[14:15], v[8:9]
	global_store_short v[6:7], v16, off
	s_and_saveexec_b64 s[46:47], vcc
	s_xor_b64 s[46:47], exec, s[46:47]
	s_cbranch_execz .LBB99_2
; %bb.41:                               ;   in Loop: Header=BB99_3 Depth=1
	s_lshl_b64 s[46:47], s[22:23], 1
	v_mov_b32_e32 v9, s47
	v_add_co_u32_e32 v8, vcc, s46, v6
	v_addc_co_u32_e32 v9, vcc, v7, v9, vcc
	v_add_co_u32_e32 v10, vcc, 2, v4
	v_addc_co_u32_e32 v11, vcc, 0, v5, vcc
	v_cmp_gt_i64_e32 vcc, s[14:15], v[10:11]
	global_store_short v[8:9], v15, off
	s_and_saveexec_b64 s[46:47], vcc
	s_xor_b64 s[46:47], exec, s[46:47]
	s_cbranch_execz .LBB99_2
; %bb.42:                               ;   in Loop: Header=BB99_3 Depth=1
	v_mov_b32_e32 v9, s35
	v_add_co_u32_e32 v8, vcc, s34, v6
	v_addc_co_u32_e32 v9, vcc, v7, v9, vcc
	v_add_co_u32_e32 v4, vcc, 3, v4
	v_addc_co_u32_e32 v5, vcc, 0, v5, vcc
	v_cmp_gt_i64_e32 vcc, s[14:15], v[4:5]
	global_store_short v[8:9], v12, off
	s_and_saveexec_b64 s[46:47], vcc
	s_xor_b64 s[46:47], exec, s[46:47]
	s_cbranch_execz .LBB99_2
; %bb.43:                               ;   in Loop: Header=BB99_3 Depth=1
	v_mov_b32_e32 v5, s70
	v_add_co_u32_e32 v4, vcc, s71, v6
	v_addc_co_u32_e32 v5, vcc, v7, v5, vcc
	global_store_short v[4:5], v3, off
	s_branch .LBB99_2
.LBB99_44:
	s_endpgm
	.section	.rodata,"a",@progbits
	.p2align	6, 0x0
	.amdhsa_kernel _ZN2at6native16triu_tril_kernelIN3c108BFloat16ElLb1ELi4ELb0EEEvNS_4cuda6detail10TensorInfoIT_T0_EENS6_IKS7_S8_EEllS8_
		.amdhsa_group_segment_fixed_size 0
		.amdhsa_private_segment_fixed_size 0
		.amdhsa_kernarg_size 1112
		.amdhsa_user_sgpr_count 6
		.amdhsa_user_sgpr_private_segment_buffer 1
		.amdhsa_user_sgpr_dispatch_ptr 0
		.amdhsa_user_sgpr_queue_ptr 0
		.amdhsa_user_sgpr_kernarg_segment_ptr 1
		.amdhsa_user_sgpr_dispatch_id 0
		.amdhsa_user_sgpr_flat_scratch_init 0
		.amdhsa_user_sgpr_private_segment_size 0
		.amdhsa_uses_dynamic_stack 0
		.amdhsa_system_sgpr_private_segment_wavefront_offset 0
		.amdhsa_system_sgpr_workgroup_id_x 1
		.amdhsa_system_sgpr_workgroup_id_y 0
		.amdhsa_system_sgpr_workgroup_id_z 0
		.amdhsa_system_sgpr_workgroup_info 0
		.amdhsa_system_vgpr_workitem_id 0
		.amdhsa_next_free_vgpr 26
		.amdhsa_next_free_sgpr 81
		.amdhsa_reserve_vcc 1
		.amdhsa_reserve_flat_scratch 0
		.amdhsa_float_round_mode_32 0
		.amdhsa_float_round_mode_16_64 0
		.amdhsa_float_denorm_mode_32 3
		.amdhsa_float_denorm_mode_16_64 3
		.amdhsa_dx10_clamp 1
		.amdhsa_ieee_mode 1
		.amdhsa_fp16_overflow 0
		.amdhsa_exception_fp_ieee_invalid_op 0
		.amdhsa_exception_fp_denorm_src 0
		.amdhsa_exception_fp_ieee_div_zero 0
		.amdhsa_exception_fp_ieee_overflow 0
		.amdhsa_exception_fp_ieee_underflow 0
		.amdhsa_exception_fp_ieee_inexact 0
		.amdhsa_exception_int_div_zero 0
	.end_amdhsa_kernel
	.section	.text._ZN2at6native16triu_tril_kernelIN3c108BFloat16ElLb1ELi4ELb0EEEvNS_4cuda6detail10TensorInfoIT_T0_EENS6_IKS7_S8_EEllS8_,"axG",@progbits,_ZN2at6native16triu_tril_kernelIN3c108BFloat16ElLb1ELi4ELb0EEEvNS_4cuda6detail10TensorInfoIT_T0_EENS6_IKS7_S8_EEllS8_,comdat
.Lfunc_end99:
	.size	_ZN2at6native16triu_tril_kernelIN3c108BFloat16ElLb1ELi4ELb0EEEvNS_4cuda6detail10TensorInfoIT_T0_EENS6_IKS7_S8_EEllS8_, .Lfunc_end99-_ZN2at6native16triu_tril_kernelIN3c108BFloat16ElLb1ELi4ELb0EEEvNS_4cuda6detail10TensorInfoIT_T0_EENS6_IKS7_S8_EEllS8_
                                        ; -- End function
	.set _ZN2at6native16triu_tril_kernelIN3c108BFloat16ElLb1ELi4ELb0EEEvNS_4cuda6detail10TensorInfoIT_T0_EENS6_IKS7_S8_EEllS8_.num_vgpr, 26
	.set _ZN2at6native16triu_tril_kernelIN3c108BFloat16ElLb1ELi4ELb0EEEvNS_4cuda6detail10TensorInfoIT_T0_EENS6_IKS7_S8_EEllS8_.num_agpr, 0
	.set _ZN2at6native16triu_tril_kernelIN3c108BFloat16ElLb1ELi4ELb0EEEvNS_4cuda6detail10TensorInfoIT_T0_EENS6_IKS7_S8_EEllS8_.numbered_sgpr, 81
	.set _ZN2at6native16triu_tril_kernelIN3c108BFloat16ElLb1ELi4ELb0EEEvNS_4cuda6detail10TensorInfoIT_T0_EENS6_IKS7_S8_EEllS8_.num_named_barrier, 0
	.set _ZN2at6native16triu_tril_kernelIN3c108BFloat16ElLb1ELi4ELb0EEEvNS_4cuda6detail10TensorInfoIT_T0_EENS6_IKS7_S8_EEllS8_.private_seg_size, 0
	.set _ZN2at6native16triu_tril_kernelIN3c108BFloat16ElLb1ELi4ELb0EEEvNS_4cuda6detail10TensorInfoIT_T0_EENS6_IKS7_S8_EEllS8_.uses_vcc, 1
	.set _ZN2at6native16triu_tril_kernelIN3c108BFloat16ElLb1ELi4ELb0EEEvNS_4cuda6detail10TensorInfoIT_T0_EENS6_IKS7_S8_EEllS8_.uses_flat_scratch, 0
	.set _ZN2at6native16triu_tril_kernelIN3c108BFloat16ElLb1ELi4ELb0EEEvNS_4cuda6detail10TensorInfoIT_T0_EENS6_IKS7_S8_EEllS8_.has_dyn_sized_stack, 0
	.set _ZN2at6native16triu_tril_kernelIN3c108BFloat16ElLb1ELi4ELb0EEEvNS_4cuda6detail10TensorInfoIT_T0_EENS6_IKS7_S8_EEllS8_.has_recursion, 0
	.set _ZN2at6native16triu_tril_kernelIN3c108BFloat16ElLb1ELi4ELb0EEEvNS_4cuda6detail10TensorInfoIT_T0_EENS6_IKS7_S8_EEllS8_.has_indirect_call, 0
	.section	.AMDGPU.csdata,"",@progbits
; Kernel info:
; codeLenInByte = 5300
; TotalNumSgprs: 85
; NumVgprs: 26
; ScratchSize: 0
; MemoryBound: 0
; FloatMode: 240
; IeeeMode: 1
; LDSByteSize: 0 bytes/workgroup (compile time only)
; SGPRBlocks: 10
; VGPRBlocks: 6
; NumSGPRsForWavesPerEU: 85
; NumVGPRsForWavesPerEU: 26
; Occupancy: 9
; WaveLimiterHint : 0
; COMPUTE_PGM_RSRC2:SCRATCH_EN: 0
; COMPUTE_PGM_RSRC2:USER_SGPR: 6
; COMPUTE_PGM_RSRC2:TRAP_HANDLER: 0
; COMPUTE_PGM_RSRC2:TGID_X_EN: 1
; COMPUTE_PGM_RSRC2:TGID_Y_EN: 0
; COMPUTE_PGM_RSRC2:TGID_Z_EN: 0
; COMPUTE_PGM_RSRC2:TIDIG_COMP_CNT: 0
	.section	.text._ZN2at6native16triu_tril_kernelIbiLb1ELi4ELb1EEEvNS_4cuda6detail10TensorInfoIT_T0_EENS4_IKS5_S6_EEllS6_,"axG",@progbits,_ZN2at6native16triu_tril_kernelIbiLb1ELi4ELb1EEEvNS_4cuda6detail10TensorInfoIT_T0_EENS4_IKS5_S6_EEllS6_,comdat
	.protected	_ZN2at6native16triu_tril_kernelIbiLb1ELi4ELb1EEEvNS_4cuda6detail10TensorInfoIT_T0_EENS4_IKS5_S6_EEllS6_ ; -- Begin function _ZN2at6native16triu_tril_kernelIbiLb1ELi4ELb1EEEvNS_4cuda6detail10TensorInfoIT_T0_EENS4_IKS5_S6_EEllS6_
	.globl	_ZN2at6native16triu_tril_kernelIbiLb1ELi4ELb1EEEvNS_4cuda6detail10TensorInfoIT_T0_EENS4_IKS5_S6_EEllS6_
	.p2align	8
	.type	_ZN2at6native16triu_tril_kernelIbiLb1ELi4ELb1EEEvNS_4cuda6detail10TensorInfoIT_T0_EENS4_IKS5_S6_EEllS6_,@function
_ZN2at6native16triu_tril_kernelIbiLb1ELi4ELb1EEEvNS_4cuda6detail10TensorInfoIT_T0_EENS4_IKS5_S6_EEllS6_: ; @_ZN2at6native16triu_tril_kernelIbiLb1ELi4ELb1EEEvNS_4cuda6detail10TensorInfoIT_T0_EENS4_IKS5_S6_EEllS6_
; %bb.0:
	s_load_dword s2, s[4:5], 0x1d4
	s_load_dwordx4 s[8:11], s[4:5], 0x1b0
	s_add_u32 s0, s4, 0x1c8
	v_mov_b32_e32 v2, 0
	s_addc_u32 s1, s5, 0
	s_waitcnt lgkmcnt(0)
	s_and_b32 s7, s2, 0xffff
	v_mov_b32_e32 v1, v2
	v_mov_b32_e32 v3, s6
	v_mad_u64_u32 v[0:1], s[2:3], s7, v3, v[0:1]
	v_lshlrev_b64 v[0:1], 2, v[0:1]
	v_cmp_gt_i64_e32 vcc, s[10:11], v[0:1]
	s_and_saveexec_b64 s[2:3], vcc
	s_cbranch_execz .LBB100_67
; %bb.1:
	s_load_dword s33, s[4:5], 0x1c0
	s_load_dword s16, s[4:5], 0x1a8
	s_add_u32 s42, s4, 0xd8
	s_addc_u32 s43, s5, 0
	s_load_dword s6, s[0:1], 0x0
	s_waitcnt lgkmcnt(0)
	s_ashr_i32 s44, s33, 31
	s_ashr_i32 s17, s16, 31
	s_lshl_b64 s[0:1], s[16:17], 2
	s_add_u32 s2, s42, s0
	s_addc_u32 s3, s43, s1
	s_load_dword s45, s[2:3], 0x0
	s_load_dwordx2 s[12:13], s[4:5], 0x0
	s_mul_i32 s18, s6, s7
	v_cmp_gt_i64_e64 s[6:7], s[16:17], 2
	s_mov_b32 s17, 0
	s_waitcnt lgkmcnt(0)
	s_ashr_i32 s46, s45, 31
	s_add_u32 s14, s4, s0
	s_addc_u32 s15, s5, s1
	s_add_i32 s0, s16, 6
	s_add_i32 s47, s16, -3
	s_lshl_b32 s48, s18, 2
	s_and_b32 s49, s0, 7
	s_and_b32 s0, s16, 7
	s_cmp_lg_u32 s0, 2
	s_cselect_b64 s[18:19], -1, 0
	s_cmp_gt_u32 s47, 6
	s_cselect_b64 s[20:21], -1, 0
	s_mov_b64 s[22:23], 0
	s_ashr_i32 s24, s44, 31
	s_branch .LBB100_3
.LBB100_2:                              ;   in Loop: Header=BB100_3 Depth=1
	s_or_b64 exec, exec, s[26:27]
	v_add_co_u32_e32 v0, vcc, s48, v0
	v_addc_co_u32_e32 v1, vcc, 0, v1, vcc
	v_cmp_le_i64_e32 vcc, s[10:11], v[0:1]
	s_or_b64 s[22:23], vcc, s[22:23]
	s_andn2_b64 exec, exec, s[22:23]
	s_cbranch_execz .LBB100_67
.LBB100_3:                              ; =>This Loop Header: Depth=1
                                        ;     Child Loop BB100_14 Depth 2
                                        ;     Child Loop BB100_23 Depth 2
	v_or_b32_e32 v3, s44, v1
	v_cmp_ne_u64_e32 vcc, 0, v[2:3]
                                        ; implicit-def: $vgpr4_vgpr5
	s_and_saveexec_b64 s[0:1], vcc
	s_xor_b64 s[26:27], exec, s[0:1]
	s_cbranch_execz .LBB100_5
; %bb.4:                                ;   in Loop: Header=BB100_3 Depth=1
	s_add_u32 s0, s33, s24
	s_mov_b32 s25, s24
	s_addc_u32 s1, s44, s24
	s_xor_b64 s[28:29], s[0:1], s[24:25]
	v_cvt_f32_u32_e32 v3, s28
	v_cvt_f32_u32_e32 v4, s29
	s_sub_u32 s16, 0, s28
	s_subb_u32 s25, 0, s29
	v_ashrrev_i32_e32 v7, 31, v1
	v_mac_f32_e32 v3, 0x4f800000, v4
	v_rcp_f32_e32 v3, v3
	v_mul_f32_e32 v3, 0x5f7ffffc, v3
	v_mul_f32_e32 v4, 0x2f800000, v3
	v_trunc_f32_e32 v4, v4
	v_mac_f32_e32 v3, 0xcf800000, v4
	v_cvt_u32_f32_e32 v4, v4
	v_cvt_u32_f32_e32 v3, v3
	v_readfirstlane_b32 s30, v4
	v_readfirstlane_b32 s0, v3
	s_mul_i32 s1, s16, s30
	s_mul_hi_u32 s34, s16, s0
	s_mul_i32 s31, s25, s0
	s_add_i32 s1, s34, s1
	s_add_i32 s1, s1, s31
	s_mul_i32 s35, s16, s0
	s_mul_i32 s34, s0, s1
	s_mul_hi_u32 s36, s0, s35
	s_mul_hi_u32 s31, s0, s1
	s_add_u32 s34, s36, s34
	s_addc_u32 s31, 0, s31
	s_mul_hi_u32 s37, s30, s35
	s_mul_i32 s35, s30, s35
	s_add_u32 s34, s34, s35
	s_mul_hi_u32 s36, s30, s1
	s_addc_u32 s31, s31, s37
	s_addc_u32 s34, s36, 0
	s_mul_i32 s1, s30, s1
	s_add_u32 s1, s31, s1
	s_addc_u32 s31, 0, s34
	s_add_u32 s34, s0, s1
	s_cselect_b64 s[0:1], -1, 0
	s_cmp_lg_u64 s[0:1], 0
	s_addc_u32 s30, s30, s31
	s_mul_i32 s0, s16, s30
	s_mul_hi_u32 s1, s16, s34
	s_add_i32 s0, s1, s0
	s_mul_i32 s25, s25, s34
	s_add_i32 s0, s0, s25
	s_mul_i32 s16, s16, s34
	s_mul_hi_u32 s25, s30, s16
	s_mul_i32 s31, s30, s16
	s_mul_i32 s36, s34, s0
	s_mul_hi_u32 s16, s34, s16
	s_mul_hi_u32 s35, s34, s0
	s_add_u32 s16, s16, s36
	s_addc_u32 s35, 0, s35
	s_add_u32 s16, s16, s31
	s_mul_hi_u32 s1, s30, s0
	s_addc_u32 s16, s35, s25
	s_addc_u32 s1, s1, 0
	s_mul_i32 s0, s30, s0
	s_add_u32 s0, s16, s0
	s_addc_u32 s16, 0, s1
	s_add_u32 s25, s34, s0
	s_cselect_b64 s[0:1], -1, 0
	s_cmp_lg_u64 s[0:1], 0
	v_add_co_u32_e32 v3, vcc, v0, v7
	s_addc_u32 s16, s30, s16
	v_xor_b32_e32 v8, v3, v7
	v_mad_u64_u32 v[3:4], s[0:1], v8, s16, 0
	v_mul_hi_u32 v6, v8, s25
	v_addc_co_u32_e32 v5, vcc, v1, v7, vcc
	v_xor_b32_e32 v9, v5, v7
	v_add_co_u32_e32 v10, vcc, v6, v3
	v_addc_co_u32_e32 v11, vcc, 0, v4, vcc
	v_mad_u64_u32 v[3:4], s[0:1], v9, s25, 0
	v_mad_u64_u32 v[5:6], s[0:1], v9, s16, 0
	v_add_co_u32_e32 v3, vcc, v10, v3
	v_addc_co_u32_e32 v3, vcc, v11, v4, vcc
	v_addc_co_u32_e32 v4, vcc, 0, v6, vcc
	v_add_co_u32_e32 v5, vcc, v3, v5
	v_addc_co_u32_e32 v6, vcc, 0, v4, vcc
	v_mul_lo_u32 v10, s29, v5
	v_mul_lo_u32 v11, s28, v6
	v_mad_u64_u32 v[3:4], s[0:1], s28, v5, 0
	v_add3_u32 v4, v4, v11, v10
	v_sub_u32_e32 v10, v9, v4
	v_mov_b32_e32 v11, s29
	v_sub_co_u32_e32 v3, vcc, v8, v3
	v_subb_co_u32_e64 v8, s[0:1], v10, v11, vcc
	v_subrev_co_u32_e64 v10, s[0:1], s28, v3
	v_subbrev_co_u32_e64 v8, s[0:1], 0, v8, s[0:1]
	v_cmp_le_u32_e64 s[0:1], s29, v8
	v_cndmask_b32_e64 v11, 0, -1, s[0:1]
	v_cmp_le_u32_e64 s[0:1], s28, v10
	v_cndmask_b32_e64 v10, 0, -1, s[0:1]
	v_cmp_eq_u32_e64 s[0:1], s29, v8
	v_cndmask_b32_e64 v8, v11, v10, s[0:1]
	v_add_co_u32_e64 v10, s[0:1], 2, v5
	v_subb_co_u32_e32 v4, vcc, v9, v4, vcc
	v_addc_co_u32_e64 v11, s[0:1], 0, v6, s[0:1]
	v_cmp_le_u32_e32 vcc, s29, v4
	v_add_co_u32_e64 v12, s[0:1], 1, v5
	v_cndmask_b32_e64 v9, 0, -1, vcc
	v_cmp_le_u32_e32 vcc, s28, v3
	v_addc_co_u32_e64 v13, s[0:1], 0, v6, s[0:1]
	v_cndmask_b32_e64 v3, 0, -1, vcc
	v_cmp_eq_u32_e32 vcc, s29, v4
	v_cmp_ne_u32_e64 s[0:1], 0, v8
	v_cndmask_b32_e32 v3, v9, v3, vcc
	v_cmp_ne_u32_e32 vcc, 0, v3
	v_cndmask_b32_e64 v4, v12, v10, s[0:1]
	v_cndmask_b32_e64 v8, v13, v11, s[0:1]
	v_cndmask_b32_e32 v4, v5, v4, vcc
	v_xor_b32_e32 v5, s24, v7
	v_cndmask_b32_e32 v3, v6, v8, vcc
	v_xor_b32_e32 v4, v4, v5
	v_xor_b32_e32 v3, v3, v5
	v_sub_co_u32_e32 v4, vcc, v4, v5
	v_subb_co_u32_e32 v5, vcc, v3, v5, vcc
.LBB100_5:                              ;   in Loop: Header=BB100_3 Depth=1
	s_andn2_saveexec_b64 s[0:1], s[26:27]
	s_cbranch_execz .LBB100_7
; %bb.6:                                ;   in Loop: Header=BB100_3 Depth=1
	v_cvt_f32_u32_e32 v3, s33
	s_sub_i32 s16, 0, s33
	v_rcp_iflag_f32_e32 v3, v3
	v_mul_f32_e32 v3, 0x4f7ffffe, v3
	v_cvt_u32_f32_e32 v3, v3
	v_mul_lo_u32 v4, s16, v3
	v_mul_hi_u32 v4, v3, v4
	v_add_u32_e32 v3, v3, v4
	v_mul_hi_u32 v3, v0, v3
	v_mul_lo_u32 v4, v3, s33
	v_add_u32_e32 v5, 1, v3
	v_sub_u32_e32 v4, v0, v4
	v_subrev_u32_e32 v6, s33, v4
	v_cmp_le_u32_e32 vcc, s33, v4
	v_cndmask_b32_e32 v4, v4, v6, vcc
	v_cndmask_b32_e32 v3, v3, v5, vcc
	v_add_u32_e32 v5, 1, v3
	v_cmp_le_u32_e32 vcc, s33, v4
	v_cndmask_b32_e32 v4, v3, v5, vcc
	v_mov_b32_e32 v5, v2
.LBB100_7:                              ;   in Loop: Header=BB100_3 Depth=1
	s_or_b64 exec, exec, s[0:1]
	v_or_b32_e32 v3, s46, v5
	v_cmp_ne_u64_e32 vcc, 0, v[2:3]
                                        ; implicit-def: $vgpr6_vgpr7
	s_and_saveexec_b64 s[0:1], vcc
	s_xor_b64 s[26:27], exec, s[0:1]
	s_cbranch_execz .LBB100_9
; %bb.8:                                ;   in Loop: Header=BB100_3 Depth=1
	s_ashr_i32 s28, s46, 31
	s_add_u32 s0, s45, s28
	s_mov_b32 s29, s28
	s_addc_u32 s1, s46, s28
	s_xor_b64 s[30:31], s[0:1], s[28:29]
	v_cvt_f32_u32_e32 v3, s30
	v_cvt_f32_u32_e32 v6, s31
	s_sub_u32 s16, 0, s30
	s_subb_u32 s25, 0, s31
	v_mac_f32_e32 v3, 0x4f800000, v6
	v_rcp_f32_e32 v3, v3
	v_mul_f32_e32 v3, 0x5f7ffffc, v3
	v_mul_f32_e32 v6, 0x2f800000, v3
	v_trunc_f32_e32 v6, v6
	v_mac_f32_e32 v3, 0xcf800000, v6
	v_cvt_u32_f32_e32 v6, v6
	v_cvt_u32_f32_e32 v3, v3
	v_readfirstlane_b32 s29, v6
	v_readfirstlane_b32 s0, v3
	s_mul_i32 s1, s16, s29
	s_mul_hi_u32 s35, s16, s0
	s_mul_i32 s34, s25, s0
	s_add_i32 s1, s35, s1
	s_add_i32 s1, s1, s34
	s_mul_i32 s36, s16, s0
	s_mul_i32 s35, s0, s1
	s_mul_hi_u32 s37, s0, s36
	s_mul_hi_u32 s34, s0, s1
	s_add_u32 s35, s37, s35
	s_addc_u32 s34, 0, s34
	s_mul_hi_u32 s38, s29, s36
	s_mul_i32 s36, s29, s36
	s_add_u32 s35, s35, s36
	s_mul_hi_u32 s37, s29, s1
	s_addc_u32 s34, s34, s38
	s_addc_u32 s35, s37, 0
	s_mul_i32 s1, s29, s1
	s_add_u32 s1, s34, s1
	s_addc_u32 s34, 0, s35
	s_add_u32 s35, s0, s1
	s_cselect_b64 s[0:1], -1, 0
	s_cmp_lg_u64 s[0:1], 0
	s_addc_u32 s29, s29, s34
	s_mul_i32 s0, s16, s29
	s_mul_hi_u32 s1, s16, s35
	s_add_i32 s0, s1, s0
	s_mul_i32 s25, s25, s35
	s_add_i32 s0, s0, s25
	s_mul_i32 s16, s16, s35
	s_mul_hi_u32 s25, s29, s16
	s_mul_i32 s34, s29, s16
	s_mul_i32 s37, s35, s0
	s_mul_hi_u32 s16, s35, s16
	s_mul_hi_u32 s36, s35, s0
	s_add_u32 s16, s16, s37
	s_addc_u32 s36, 0, s36
	s_add_u32 s16, s16, s34
	s_mul_hi_u32 s1, s29, s0
	s_addc_u32 s16, s36, s25
	s_addc_u32 s1, s1, 0
	s_mul_i32 s0, s29, s0
	s_add_u32 s0, s16, s0
	s_addc_u32 s16, 0, s1
	s_add_u32 s25, s35, s0
	s_cselect_b64 s[0:1], -1, 0
	v_ashrrev_i32_e32 v3, 31, v5
	s_cmp_lg_u64 s[0:1], 0
	v_add_co_u32_e32 v6, vcc, v4, v3
	s_addc_u32 s16, s29, s16
	v_xor_b32_e32 v9, v6, v3
	v_addc_co_u32_e32 v7, vcc, v5, v3, vcc
	v_mad_u64_u32 v[5:6], s[0:1], v9, s16, 0
	v_mul_hi_u32 v8, v9, s25
	v_xor_b32_e32 v10, v7, v3
	v_xor_b32_e32 v3, s28, v3
	v_add_co_u32_e32 v11, vcc, v8, v5
	v_addc_co_u32_e32 v12, vcc, 0, v6, vcc
	v_mad_u64_u32 v[5:6], s[0:1], v10, s25, 0
	v_mad_u64_u32 v[7:8], s[0:1], v10, s16, 0
	v_add_co_u32_e32 v5, vcc, v11, v5
	v_addc_co_u32_e32 v5, vcc, v12, v6, vcc
	v_addc_co_u32_e32 v6, vcc, 0, v8, vcc
	v_add_co_u32_e32 v7, vcc, v5, v7
	v_addc_co_u32_e32 v8, vcc, 0, v6, vcc
	v_mul_lo_u32 v11, s31, v7
	v_mul_lo_u32 v12, s30, v8
	v_mad_u64_u32 v[5:6], s[0:1], s30, v7, 0
	v_add3_u32 v6, v6, v12, v11
	v_sub_u32_e32 v11, v10, v6
	v_mov_b32_e32 v12, s31
	v_sub_co_u32_e32 v5, vcc, v9, v5
	v_subb_co_u32_e64 v9, s[0:1], v11, v12, vcc
	v_subrev_co_u32_e64 v11, s[0:1], s30, v5
	v_subbrev_co_u32_e64 v9, s[0:1], 0, v9, s[0:1]
	v_cmp_le_u32_e64 s[0:1], s31, v9
	v_cndmask_b32_e64 v12, 0, -1, s[0:1]
	v_cmp_le_u32_e64 s[0:1], s30, v11
	v_cndmask_b32_e64 v11, 0, -1, s[0:1]
	v_cmp_eq_u32_e64 s[0:1], s31, v9
	v_cndmask_b32_e64 v9, v12, v11, s[0:1]
	v_add_co_u32_e64 v11, s[0:1], 2, v7
	v_subb_co_u32_e32 v6, vcc, v10, v6, vcc
	v_addc_co_u32_e64 v12, s[0:1], 0, v8, s[0:1]
	v_cmp_le_u32_e32 vcc, s31, v6
	v_add_co_u32_e64 v13, s[0:1], 1, v7
	v_cndmask_b32_e64 v10, 0, -1, vcc
	v_cmp_le_u32_e32 vcc, s30, v5
	v_addc_co_u32_e64 v14, s[0:1], 0, v8, s[0:1]
	v_cndmask_b32_e64 v5, 0, -1, vcc
	v_cmp_eq_u32_e32 vcc, s31, v6
	v_cmp_ne_u32_e64 s[0:1], 0, v9
	v_cndmask_b32_e32 v5, v10, v5, vcc
	v_cmp_ne_u32_e32 vcc, 0, v5
	v_cndmask_b32_e64 v6, v13, v11, s[0:1]
	v_cndmask_b32_e64 v9, v14, v12, s[0:1]
	v_cndmask_b32_e32 v6, v7, v6, vcc
	v_cndmask_b32_e32 v5, v8, v9, vcc
	v_xor_b32_e32 v6, v6, v3
	v_xor_b32_e32 v5, v5, v3
	v_sub_co_u32_e32 v6, vcc, v6, v3
	v_subb_co_u32_e32 v7, vcc, v5, v3, vcc
.LBB100_9:                              ;   in Loop: Header=BB100_3 Depth=1
	s_andn2_saveexec_b64 s[0:1], s[26:27]
	s_cbranch_execz .LBB100_11
; %bb.10:                               ;   in Loop: Header=BB100_3 Depth=1
	v_cvt_f32_u32_e32 v3, s45
	s_sub_i32 s16, 0, s45
	v_rcp_iflag_f32_e32 v3, v3
	v_mul_f32_e32 v3, 0x4f7ffffe, v3
	v_cvt_u32_f32_e32 v3, v3
	v_mul_lo_u32 v5, s16, v3
	v_mul_hi_u32 v5, v3, v5
	v_add_u32_e32 v3, v3, v5
	v_mul_hi_u32 v3, v4, v3
	v_mul_lo_u32 v5, v3, s45
	v_add_u32_e32 v6, 1, v3
	v_sub_u32_e32 v5, v4, v5
	v_subrev_u32_e32 v7, s45, v5
	v_cmp_le_u32_e32 vcc, s45, v5
	v_cndmask_b32_e32 v5, v5, v7, vcc
	v_cndmask_b32_e32 v3, v3, v6, vcc
	v_add_u32_e32 v6, 1, v3
	v_cmp_le_u32_e32 vcc, s45, v5
	v_cndmask_b32_e32 v6, v3, v6, vcc
	v_mov_b32_e32 v7, v2
.LBB100_11:                             ;   in Loop: Header=BB100_3 Depth=1
	s_or_b64 exec, exec, s[0:1]
	v_mad_u64_u32 v[8:9], s[0:1], v4, s33, 0
	v_mad_u64_u32 v[9:10], s[0:1], v6, s45, 0
	v_sub_co_u32_e32 v25, vcc, v0, v8
	v_sub_co_u32_e32 v24, vcc, v4, v9
	v_sub_u32_e32 v3, v25, v24
	v_ashrrev_i32_e32 v4, 31, v3
	v_cmp_gt_i64_e32 vcc, s[8:9], v[3:4]
	s_and_saveexec_b64 s[26:27], vcc
	s_cbranch_execz .LBB100_2
; %bb.12:                               ;   in Loop: Header=BB100_3 Depth=1
	s_load_dwordx2 s[28:29], s[14:15], 0x64
	s_andn2_b64 vcc, exec, s[6:7]
	s_waitcnt lgkmcnt(0)
	v_mul_lo_u32 v3, s29, v25
	v_mad_u64_u32 v[4:5], s[0:1], s28, v24, v[3:4]
	s_cbranch_vccnz .LBB100_57
; %bb.13:                               ;   in Loop: Header=BB100_3 Depth=1
	s_andn2_b64 vcc, exec, s[18:19]
	s_mov_b32 s25, s49
	s_mov_b32 s16, s47
	;; [unrolled: 1-line block ×3, first 2 shown]
	s_cbranch_vccnz .LBB100_21
.LBB100_14:                             ;   Parent Loop BB100_3 Depth=1
                                        ; =>  This Inner Loop Header: Depth=2
	s_lshl_b64 s[30:31], s[16:17], 2
	s_add_u32 s0, s42, s30
	s_addc_u32 s1, s43, s31
	s_load_dword s28, s[0:1], 0x8
                                        ; implicit-def: $vgpr8_vgpr9
	s_waitcnt lgkmcnt(0)
	s_ashr_i32 s0, s28, 31
	v_or_b32_e32 v3, s0, v7
	v_cmp_ne_u64_e32 vcc, 0, v[2:3]
	s_and_saveexec_b64 s[34:35], vcc
	s_xor_b64 s[34:35], exec, s[34:35]
	s_cbranch_execz .LBB100_16
; %bb.15:                               ;   in Loop: Header=BB100_14 Depth=2
	s_ashr_i32 s36, s0, 31
	s_add_u32 s38, s28, s36
	s_mov_b32 s37, s36
	s_addc_u32 s39, s0, s36
	s_xor_b64 s[38:39], s[38:39], s[36:37]
	v_cvt_f32_u32_e32 v3, s38
	v_cvt_f32_u32_e32 v5, s39
	s_sub_u32 s37, 0, s38
	s_subb_u32 s40, 0, s39
	v_mac_f32_e32 v3, 0x4f800000, v5
	v_rcp_f32_e32 v3, v3
	v_mul_f32_e32 v3, 0x5f7ffffc, v3
	v_mul_f32_e32 v5, 0x2f800000, v3
	v_trunc_f32_e32 v5, v5
	v_mac_f32_e32 v3, 0xcf800000, v5
	v_cvt_u32_f32_e32 v5, v5
	v_cvt_u32_f32_e32 v3, v3
	v_readfirstlane_b32 s41, v5
	v_readfirstlane_b32 s0, v3
	s_mul_i32 s1, s37, s41
	s_mul_hi_u32 s51, s37, s0
	s_mul_i32 s50, s40, s0
	s_add_i32 s1, s51, s1
	s_add_i32 s1, s1, s50
	s_mul_i32 s52, s37, s0
	s_mul_i32 s51, s0, s1
	s_mul_hi_u32 s53, s0, s52
	s_mul_hi_u32 s50, s0, s1
	s_add_u32 s51, s53, s51
	s_addc_u32 s50, 0, s50
	s_mul_hi_u32 s54, s41, s52
	s_mul_i32 s52, s41, s52
	s_add_u32 s51, s51, s52
	s_mul_hi_u32 s53, s41, s1
	s_addc_u32 s50, s50, s54
	s_addc_u32 s51, s53, 0
	s_mul_i32 s1, s41, s1
	s_add_u32 s1, s50, s1
	s_addc_u32 s50, 0, s51
	s_add_u32 s51, s0, s1
	s_cselect_b64 s[0:1], -1, 0
	s_cmp_lg_u64 s[0:1], 0
	s_addc_u32 s41, s41, s50
	s_mul_i32 s0, s37, s41
	s_mul_hi_u32 s1, s37, s51
	s_add_i32 s0, s1, s0
	s_mul_i32 s40, s40, s51
	s_add_i32 s0, s0, s40
	s_mul_i32 s37, s37, s51
	s_mul_hi_u32 s40, s41, s37
	s_mul_i32 s50, s41, s37
	s_mul_i32 s53, s51, s0
	s_mul_hi_u32 s37, s51, s37
	s_mul_hi_u32 s52, s51, s0
	s_add_u32 s37, s37, s53
	s_addc_u32 s52, 0, s52
	s_add_u32 s37, s37, s50
	s_mul_hi_u32 s1, s41, s0
	s_addc_u32 s37, s52, s40
	s_addc_u32 s1, s1, 0
	s_mul_i32 s0, s41, s0
	s_add_u32 s0, s37, s0
	s_addc_u32 s37, 0, s1
	s_add_u32 s40, s51, s0
	s_cselect_b64 s[0:1], -1, 0
	v_ashrrev_i32_e32 v3, 31, v7
	s_cmp_lg_u64 s[0:1], 0
	v_add_co_u32_e32 v5, vcc, v6, v3
	s_addc_u32 s37, s41, s37
	v_xor_b32_e32 v5, v5, v3
	v_addc_co_u32_e32 v9, vcc, v7, v3, vcc
	v_mad_u64_u32 v[7:8], s[0:1], v5, s37, 0
	v_mul_hi_u32 v10, v5, s40
	v_xor_b32_e32 v11, v9, v3
	v_xor_b32_e32 v3, s36, v3
	v_add_co_u32_e32 v12, vcc, v10, v7
	v_addc_co_u32_e32 v13, vcc, 0, v8, vcc
	v_mad_u64_u32 v[7:8], s[0:1], v11, s40, 0
	v_mad_u64_u32 v[9:10], s[0:1], v11, s37, 0
	v_add_co_u32_e32 v7, vcc, v12, v7
	v_addc_co_u32_e32 v7, vcc, v13, v8, vcc
	v_addc_co_u32_e32 v8, vcc, 0, v10, vcc
	v_add_co_u32_e32 v9, vcc, v7, v9
	v_addc_co_u32_e32 v10, vcc, 0, v8, vcc
	v_mul_lo_u32 v12, s39, v9
	v_mul_lo_u32 v13, s38, v10
	v_mad_u64_u32 v[7:8], s[0:1], s38, v9, 0
	v_add3_u32 v8, v8, v13, v12
	v_sub_u32_e32 v12, v11, v8
	v_mov_b32_e32 v13, s39
	v_sub_co_u32_e32 v5, vcc, v5, v7
	v_subb_co_u32_e64 v7, s[0:1], v12, v13, vcc
	v_subrev_co_u32_e64 v12, s[0:1], s38, v5
	v_subbrev_co_u32_e64 v7, s[0:1], 0, v7, s[0:1]
	v_cmp_le_u32_e64 s[0:1], s39, v7
	v_cndmask_b32_e64 v13, 0, -1, s[0:1]
	v_cmp_le_u32_e64 s[0:1], s38, v12
	v_cndmask_b32_e64 v12, 0, -1, s[0:1]
	v_cmp_eq_u32_e64 s[0:1], s39, v7
	v_cndmask_b32_e64 v7, v13, v12, s[0:1]
	v_add_co_u32_e64 v12, s[0:1], 2, v9
	v_subb_co_u32_e32 v8, vcc, v11, v8, vcc
	v_addc_co_u32_e64 v13, s[0:1], 0, v10, s[0:1]
	v_cmp_le_u32_e32 vcc, s39, v8
	v_add_co_u32_e64 v14, s[0:1], 1, v9
	v_cndmask_b32_e64 v11, 0, -1, vcc
	v_cmp_le_u32_e32 vcc, s38, v5
	v_addc_co_u32_e64 v15, s[0:1], 0, v10, s[0:1]
	v_cndmask_b32_e64 v5, 0, -1, vcc
	v_cmp_eq_u32_e32 vcc, s39, v8
	v_cmp_ne_u32_e64 s[0:1], 0, v7
	v_cndmask_b32_e32 v5, v11, v5, vcc
	v_cndmask_b32_e64 v7, v15, v13, s[0:1]
	v_cmp_ne_u32_e32 vcc, 0, v5
	v_cndmask_b32_e32 v5, v10, v7, vcc
	v_cndmask_b32_e64 v7, v14, v12, s[0:1]
	v_cndmask_b32_e32 v7, v9, v7, vcc
	v_xor_b32_e32 v7, v7, v3
	v_xor_b32_e32 v5, v5, v3
	v_sub_co_u32_e32 v8, vcc, v7, v3
	v_subb_co_u32_e32 v9, vcc, v5, v3, vcc
.LBB100_16:                             ;   in Loop: Header=BB100_14 Depth=2
	s_andn2_saveexec_b64 s[0:1], s[34:35]
	s_cbranch_execz .LBB100_18
; %bb.17:                               ;   in Loop: Header=BB100_14 Depth=2
	v_cvt_f32_u32_e32 v3, s28
	s_sub_i32 s34, 0, s28
	v_mov_b32_e32 v9, v2
	v_rcp_iflag_f32_e32 v3, v3
	v_mul_f32_e32 v3, 0x4f7ffffe, v3
	v_cvt_u32_f32_e32 v3, v3
	v_mul_lo_u32 v5, s34, v3
	v_mul_hi_u32 v5, v3, v5
	v_add_u32_e32 v3, v3, v5
	v_mul_hi_u32 v3, v6, v3
	v_mul_lo_u32 v5, v3, s28
	v_add_u32_e32 v7, 1, v3
	v_sub_u32_e32 v5, v6, v5
	v_subrev_u32_e32 v8, s28, v5
	v_cmp_le_u32_e32 vcc, s28, v5
	v_cndmask_b32_e32 v5, v5, v8, vcc
	v_cndmask_b32_e32 v3, v3, v7, vcc
	v_add_u32_e32 v7, 1, v3
	v_cmp_le_u32_e32 vcc, s28, v5
	v_cndmask_b32_e32 v8, v3, v7, vcc
.LBB100_18:                             ;   in Loop: Header=BB100_14 Depth=2
	s_or_b64 exec, exec, s[0:1]
	s_add_u32 s0, s4, s30
	s_addc_u32 s1, s5, s31
	v_mul_lo_u32 v3, v8, s28
	s_load_dword s0, s[0:1], 0x6c
	s_add_i32 s16, s16, -1
	s_add_i32 s25, s25, -1
	v_sub_u32_e32 v3, v6, v3
	s_cmp_lg_u32 s25, 0
	s_waitcnt lgkmcnt(0)
	v_mad_u64_u32 v[4:5], s[0:1], s0, v3, v[4:5]
	s_cbranch_scc0 .LBB100_20
; %bb.19:                               ;   in Loop: Header=BB100_14 Depth=2
	v_mov_b32_e32 v6, v8
	v_mov_b32_e32 v7, v9
	s_branch .LBB100_14
.LBB100_20:                             ;   in Loop: Header=BB100_3 Depth=1
	v_mov_b32_e32 v6, v8
	s_mov_b32 s0, s16
	v_mov_b32_e32 v7, v9
.LBB100_21:                             ;   in Loop: Header=BB100_3 Depth=1
	s_andn2_b64 vcc, exec, s[20:21]
	s_cbranch_vccnz .LBB100_57
; %bb.22:                               ;   in Loop: Header=BB100_3 Depth=1
	s_add_i32 s30, s0, -7
.LBB100_23:                             ;   Parent Loop BB100_3 Depth=1
                                        ; =>  This Inner Loop Header: Depth=2
	s_add_i32 s16, s30, 7
	s_lshl_b64 s[34:35], s[16:17], 2
	s_add_u32 s0, s42, s34
	s_addc_u32 s1, s43, s35
	s_load_dword s25, s[0:1], 0x8
                                        ; implicit-def: $vgpr8_vgpr9
	s_waitcnt lgkmcnt(0)
	s_ashr_i32 s0, s25, 31
	v_or_b32_e32 v3, s0, v7
	v_cmp_ne_u64_e32 vcc, 0, v[2:3]
	s_and_saveexec_b64 s[36:37], vcc
	s_xor_b64 s[36:37], exec, s[36:37]
	s_cbranch_execz .LBB100_25
; %bb.24:                               ;   in Loop: Header=BB100_23 Depth=2
	s_ashr_i32 s38, s0, 31
	s_add_u32 s40, s25, s38
	s_mov_b32 s39, s38
	s_addc_u32 s41, s0, s38
	s_xor_b64 s[40:41], s[40:41], s[38:39]
	v_cvt_f32_u32_e32 v3, s40
	v_cvt_f32_u32_e32 v5, s41
	s_sub_u32 s16, 0, s40
	s_subb_u32 s28, 0, s41
	v_mac_f32_e32 v3, 0x4f800000, v5
	v_rcp_f32_e32 v3, v3
	v_mul_f32_e32 v3, 0x5f7ffffc, v3
	v_mul_f32_e32 v5, 0x2f800000, v3
	v_trunc_f32_e32 v5, v5
	v_mac_f32_e32 v3, 0xcf800000, v5
	v_cvt_u32_f32_e32 v5, v5
	v_cvt_u32_f32_e32 v3, v3
	v_readfirstlane_b32 s31, v5
	v_readfirstlane_b32 s0, v3
	s_mul_i32 s1, s16, s31
	s_mul_hi_u32 s50, s16, s0
	s_mul_i32 s39, s28, s0
	s_add_i32 s1, s50, s1
	s_add_i32 s1, s1, s39
	s_mul_i32 s51, s16, s0
	s_mul_i32 s50, s0, s1
	s_mul_hi_u32 s52, s0, s51
	s_mul_hi_u32 s39, s0, s1
	s_add_u32 s50, s52, s50
	s_addc_u32 s39, 0, s39
	s_mul_hi_u32 s53, s31, s51
	s_mul_i32 s51, s31, s51
	s_add_u32 s50, s50, s51
	s_mul_hi_u32 s52, s31, s1
	s_addc_u32 s39, s39, s53
	s_addc_u32 s50, s52, 0
	s_mul_i32 s1, s31, s1
	s_add_u32 s1, s39, s1
	s_addc_u32 s39, 0, s50
	s_add_u32 s50, s0, s1
	s_cselect_b64 s[0:1], -1, 0
	s_cmp_lg_u64 s[0:1], 0
	s_addc_u32 s31, s31, s39
	s_mul_i32 s0, s16, s31
	s_mul_hi_u32 s1, s16, s50
	s_add_i32 s0, s1, s0
	s_mul_i32 s28, s28, s50
	s_add_i32 s0, s0, s28
	s_mul_i32 s16, s16, s50
	s_mul_hi_u32 s28, s31, s16
	s_mul_i32 s39, s31, s16
	s_mul_i32 s52, s50, s0
	s_mul_hi_u32 s16, s50, s16
	s_mul_hi_u32 s51, s50, s0
	s_add_u32 s16, s16, s52
	s_addc_u32 s51, 0, s51
	s_add_u32 s16, s16, s39
	s_mul_hi_u32 s1, s31, s0
	s_addc_u32 s16, s51, s28
	s_addc_u32 s1, s1, 0
	s_mul_i32 s0, s31, s0
	s_add_u32 s0, s16, s0
	s_addc_u32 s16, 0, s1
	s_add_u32 s28, s50, s0
	s_cselect_b64 s[0:1], -1, 0
	v_ashrrev_i32_e32 v3, 31, v7
	s_cmp_lg_u64 s[0:1], 0
	v_add_co_u32_e32 v5, vcc, v6, v3
	s_addc_u32 s16, s31, s16
	v_xor_b32_e32 v5, v5, v3
	v_addc_co_u32_e32 v9, vcc, v7, v3, vcc
	v_mad_u64_u32 v[7:8], s[0:1], v5, s16, 0
	v_mul_hi_u32 v10, v5, s28
	v_xor_b32_e32 v11, v9, v3
	v_xor_b32_e32 v3, s38, v3
	v_add_co_u32_e32 v12, vcc, v10, v7
	v_addc_co_u32_e32 v13, vcc, 0, v8, vcc
	v_mad_u64_u32 v[7:8], s[0:1], v11, s28, 0
	v_mad_u64_u32 v[9:10], s[0:1], v11, s16, 0
	v_add_co_u32_e32 v7, vcc, v12, v7
	v_addc_co_u32_e32 v7, vcc, v13, v8, vcc
	v_addc_co_u32_e32 v8, vcc, 0, v10, vcc
	v_add_co_u32_e32 v9, vcc, v7, v9
	v_addc_co_u32_e32 v10, vcc, 0, v8, vcc
	v_mul_lo_u32 v12, s41, v9
	v_mul_lo_u32 v13, s40, v10
	v_mad_u64_u32 v[7:8], s[0:1], s40, v9, 0
	v_add3_u32 v8, v8, v13, v12
	v_sub_u32_e32 v12, v11, v8
	v_mov_b32_e32 v13, s41
	v_sub_co_u32_e32 v5, vcc, v5, v7
	v_subb_co_u32_e64 v7, s[0:1], v12, v13, vcc
	v_subrev_co_u32_e64 v12, s[0:1], s40, v5
	v_subbrev_co_u32_e64 v7, s[0:1], 0, v7, s[0:1]
	v_cmp_le_u32_e64 s[0:1], s41, v7
	v_cndmask_b32_e64 v13, 0, -1, s[0:1]
	v_cmp_le_u32_e64 s[0:1], s40, v12
	v_cndmask_b32_e64 v12, 0, -1, s[0:1]
	v_cmp_eq_u32_e64 s[0:1], s41, v7
	v_cndmask_b32_e64 v7, v13, v12, s[0:1]
	v_add_co_u32_e64 v12, s[0:1], 2, v9
	v_subb_co_u32_e32 v8, vcc, v11, v8, vcc
	v_addc_co_u32_e64 v13, s[0:1], 0, v10, s[0:1]
	v_cmp_le_u32_e32 vcc, s41, v8
	v_add_co_u32_e64 v14, s[0:1], 1, v9
	v_cndmask_b32_e64 v11, 0, -1, vcc
	v_cmp_le_u32_e32 vcc, s40, v5
	v_addc_co_u32_e64 v15, s[0:1], 0, v10, s[0:1]
	v_cndmask_b32_e64 v5, 0, -1, vcc
	v_cmp_eq_u32_e32 vcc, s41, v8
	v_cmp_ne_u32_e64 s[0:1], 0, v7
	v_cndmask_b32_e32 v5, v11, v5, vcc
	v_cndmask_b32_e64 v7, v15, v13, s[0:1]
	v_cmp_ne_u32_e32 vcc, 0, v5
	v_cndmask_b32_e32 v5, v10, v7, vcc
	v_cndmask_b32_e64 v7, v14, v12, s[0:1]
	v_cndmask_b32_e32 v7, v9, v7, vcc
	v_xor_b32_e32 v7, v7, v3
	v_xor_b32_e32 v5, v5, v3
	v_sub_co_u32_e32 v8, vcc, v7, v3
	v_subb_co_u32_e32 v9, vcc, v5, v3, vcc
.LBB100_25:                             ;   in Loop: Header=BB100_23 Depth=2
	s_andn2_saveexec_b64 s[0:1], s[36:37]
	s_cbranch_execz .LBB100_27
; %bb.26:                               ;   in Loop: Header=BB100_23 Depth=2
	v_cvt_f32_u32_e32 v3, s25
	s_sub_i32 s16, 0, s25
	v_mov_b32_e32 v9, v2
	v_rcp_iflag_f32_e32 v3, v3
	v_mul_f32_e32 v3, 0x4f7ffffe, v3
	v_cvt_u32_f32_e32 v3, v3
	v_mul_lo_u32 v5, s16, v3
	v_mul_hi_u32 v5, v3, v5
	v_add_u32_e32 v3, v3, v5
	v_mul_hi_u32 v3, v6, v3
	v_mul_lo_u32 v5, v3, s25
	v_add_u32_e32 v7, 1, v3
	v_sub_u32_e32 v5, v6, v5
	v_subrev_u32_e32 v8, s25, v5
	v_cmp_le_u32_e32 vcc, s25, v5
	v_cndmask_b32_e32 v5, v5, v8, vcc
	v_cndmask_b32_e32 v3, v3, v7, vcc
	v_add_u32_e32 v7, 1, v3
	v_cmp_le_u32_e32 vcc, s25, v5
	v_cndmask_b32_e32 v8, v3, v7, vcc
.LBB100_27:                             ;   in Loop: Header=BB100_23 Depth=2
	s_or_b64 exec, exec, s[0:1]
	s_add_u32 s0, s4, s34
	s_addc_u32 s1, s5, s35
	s_add_i32 s16, s30, 6
	s_lshl_b64 s[34:35], s[16:17], 2
	s_add_u32 s36, s42, s34
	s_addc_u32 s37, s43, s35
	s_load_dword s50, s[36:37], 0x8
	s_load_dword s28, s[0:1], 0x6c
                                        ; implicit-def: $vgpr10_vgpr11
	s_waitcnt lgkmcnt(0)
	s_ashr_i32 s0, s50, 31
	v_or_b32_e32 v3, s0, v9
	v_cmp_ne_u64_e32 vcc, 0, v[2:3]
	s_and_saveexec_b64 s[36:37], vcc
	s_xor_b64 s[36:37], exec, s[36:37]
	s_cbranch_execz .LBB100_29
; %bb.28:                               ;   in Loop: Header=BB100_23 Depth=2
	s_ashr_i32 s38, s0, 31
	s_add_u32 s40, s50, s38
	s_mov_b32 s39, s38
	s_addc_u32 s41, s0, s38
	s_xor_b64 s[40:41], s[40:41], s[38:39]
	v_cvt_f32_u32_e32 v3, s40
	v_cvt_f32_u32_e32 v5, s41
	s_sub_u32 s16, 0, s40
	s_subb_u32 s31, 0, s41
	v_mac_f32_e32 v3, 0x4f800000, v5
	v_rcp_f32_e32 v3, v3
	v_mul_f32_e32 v3, 0x5f7ffffc, v3
	v_mul_f32_e32 v5, 0x2f800000, v3
	v_trunc_f32_e32 v5, v5
	v_mac_f32_e32 v3, 0xcf800000, v5
	v_cvt_u32_f32_e32 v5, v5
	v_cvt_u32_f32_e32 v3, v3
	v_readfirstlane_b32 s39, v5
	v_readfirstlane_b32 s0, v3
	s_mul_i32 s1, s16, s39
	s_mul_hi_u32 s52, s16, s0
	s_mul_i32 s51, s31, s0
	s_add_i32 s1, s52, s1
	s_add_i32 s1, s1, s51
	s_mul_i32 s53, s16, s0
	s_mul_i32 s52, s0, s1
	s_mul_hi_u32 s54, s0, s53
	s_mul_hi_u32 s51, s0, s1
	s_add_u32 s52, s54, s52
	s_addc_u32 s51, 0, s51
	s_mul_hi_u32 s55, s39, s53
	s_mul_i32 s53, s39, s53
	s_add_u32 s52, s52, s53
	s_mul_hi_u32 s54, s39, s1
	s_addc_u32 s51, s51, s55
	s_addc_u32 s52, s54, 0
	s_mul_i32 s1, s39, s1
	s_add_u32 s1, s51, s1
	s_addc_u32 s51, 0, s52
	s_add_u32 s52, s0, s1
	s_cselect_b64 s[0:1], -1, 0
	s_cmp_lg_u64 s[0:1], 0
	s_addc_u32 s39, s39, s51
	s_mul_i32 s0, s16, s39
	s_mul_hi_u32 s1, s16, s52
	s_add_i32 s0, s1, s0
	s_mul_i32 s31, s31, s52
	s_add_i32 s0, s0, s31
	s_mul_i32 s16, s16, s52
	s_mul_hi_u32 s31, s39, s16
	s_mul_i32 s51, s39, s16
	s_mul_i32 s54, s52, s0
	s_mul_hi_u32 s16, s52, s16
	s_mul_hi_u32 s53, s52, s0
	s_add_u32 s16, s16, s54
	s_addc_u32 s53, 0, s53
	s_add_u32 s16, s16, s51
	s_mul_hi_u32 s1, s39, s0
	s_addc_u32 s16, s53, s31
	s_addc_u32 s1, s1, 0
	s_mul_i32 s0, s39, s0
	s_add_u32 s0, s16, s0
	s_addc_u32 s16, 0, s1
	s_add_u32 s31, s52, s0
	s_cselect_b64 s[0:1], -1, 0
	v_ashrrev_i32_e32 v3, 31, v9
	s_cmp_lg_u64 s[0:1], 0
	v_add_co_u32_e32 v5, vcc, v8, v3
	s_addc_u32 s16, s39, s16
	v_xor_b32_e32 v5, v5, v3
	v_addc_co_u32_e32 v7, vcc, v9, v3, vcc
	v_mad_u64_u32 v[9:10], s[0:1], v5, s16, 0
	v_mul_hi_u32 v11, v5, s31
	v_xor_b32_e32 v7, v7, v3
	v_xor_b32_e32 v3, s38, v3
	v_add_co_u32_e32 v13, vcc, v11, v9
	v_addc_co_u32_e32 v14, vcc, 0, v10, vcc
	v_mad_u64_u32 v[9:10], s[0:1], v7, s31, 0
	v_mad_u64_u32 v[11:12], s[0:1], v7, s16, 0
	v_add_co_u32_e32 v9, vcc, v13, v9
	v_addc_co_u32_e32 v9, vcc, v14, v10, vcc
	v_addc_co_u32_e32 v10, vcc, 0, v12, vcc
	v_add_co_u32_e32 v11, vcc, v9, v11
	v_addc_co_u32_e32 v12, vcc, 0, v10, vcc
	v_mul_lo_u32 v13, s41, v11
	v_mul_lo_u32 v14, s40, v12
	v_mad_u64_u32 v[9:10], s[0:1], s40, v11, 0
	v_add3_u32 v10, v10, v14, v13
	v_sub_u32_e32 v13, v7, v10
	v_mov_b32_e32 v14, s41
	v_sub_co_u32_e32 v5, vcc, v5, v9
	v_subb_co_u32_e64 v9, s[0:1], v13, v14, vcc
	v_subrev_co_u32_e64 v13, s[0:1], s40, v5
	v_subbrev_co_u32_e64 v9, s[0:1], 0, v9, s[0:1]
	v_cmp_le_u32_e64 s[0:1], s41, v9
	v_cndmask_b32_e64 v14, 0, -1, s[0:1]
	v_cmp_le_u32_e64 s[0:1], s40, v13
	v_cndmask_b32_e64 v13, 0, -1, s[0:1]
	v_cmp_eq_u32_e64 s[0:1], s41, v9
	v_cndmask_b32_e64 v9, v14, v13, s[0:1]
	v_add_co_u32_e64 v13, s[0:1], 2, v11
	v_subb_co_u32_e32 v7, vcc, v7, v10, vcc
	v_addc_co_u32_e64 v14, s[0:1], 0, v12, s[0:1]
	v_cmp_le_u32_e32 vcc, s41, v7
	v_add_co_u32_e64 v15, s[0:1], 1, v11
	v_cndmask_b32_e64 v10, 0, -1, vcc
	v_cmp_le_u32_e32 vcc, s40, v5
	v_addc_co_u32_e64 v16, s[0:1], 0, v12, s[0:1]
	v_cndmask_b32_e64 v5, 0, -1, vcc
	v_cmp_eq_u32_e32 vcc, s41, v7
	v_cmp_ne_u32_e64 s[0:1], 0, v9
	v_cndmask_b32_e32 v5, v10, v5, vcc
	v_cmp_ne_u32_e32 vcc, 0, v5
	v_cndmask_b32_e64 v7, v15, v13, s[0:1]
	v_cndmask_b32_e64 v9, v16, v14, s[0:1]
	v_cndmask_b32_e32 v7, v11, v7, vcc
	v_cndmask_b32_e32 v5, v12, v9, vcc
	v_xor_b32_e32 v7, v7, v3
	v_xor_b32_e32 v5, v5, v3
	v_sub_co_u32_e32 v10, vcc, v7, v3
	v_subb_co_u32_e32 v11, vcc, v5, v3, vcc
.LBB100_29:                             ;   in Loop: Header=BB100_23 Depth=2
	s_andn2_saveexec_b64 s[0:1], s[36:37]
	s_cbranch_execz .LBB100_31
; %bb.30:                               ;   in Loop: Header=BB100_23 Depth=2
	v_cvt_f32_u32_e32 v3, s50
	s_sub_i32 s16, 0, s50
	v_mov_b32_e32 v11, v2
	v_rcp_iflag_f32_e32 v3, v3
	v_mul_f32_e32 v3, 0x4f7ffffe, v3
	v_cvt_u32_f32_e32 v3, v3
	v_mul_lo_u32 v5, s16, v3
	v_mul_hi_u32 v5, v3, v5
	v_add_u32_e32 v3, v3, v5
	v_mul_hi_u32 v3, v8, v3
	v_mul_lo_u32 v5, v3, s50
	v_add_u32_e32 v7, 1, v3
	v_sub_u32_e32 v5, v8, v5
	v_subrev_u32_e32 v9, s50, v5
	v_cmp_le_u32_e32 vcc, s50, v5
	v_cndmask_b32_e32 v5, v5, v9, vcc
	v_cndmask_b32_e32 v3, v3, v7, vcc
	v_add_u32_e32 v7, 1, v3
	v_cmp_le_u32_e32 vcc, s50, v5
	v_cndmask_b32_e32 v10, v3, v7, vcc
.LBB100_31:                             ;   in Loop: Header=BB100_23 Depth=2
	s_or_b64 exec, exec, s[0:1]
	s_add_u32 s0, s4, s34
	s_addc_u32 s1, s5, s35
	s_add_i32 s16, s30, 5
	s_lshl_b64 s[34:35], s[16:17], 2
	s_add_u32 s36, s42, s34
	s_addc_u32 s37, s43, s35
	s_load_dword s52, s[36:37], 0x8
	s_load_dword s51, s[0:1], 0x6c
                                        ; implicit-def: $vgpr12_vgpr13
	s_waitcnt lgkmcnt(0)
	s_ashr_i32 s0, s52, 31
	v_or_b32_e32 v3, s0, v11
	v_cmp_ne_u64_e32 vcc, 0, v[2:3]
	s_and_saveexec_b64 s[36:37], vcc
	s_xor_b64 s[36:37], exec, s[36:37]
	s_cbranch_execz .LBB100_33
; %bb.32:                               ;   in Loop: Header=BB100_23 Depth=2
	s_ashr_i32 s38, s0, 31
	s_add_u32 s40, s52, s38
	s_mov_b32 s39, s38
	s_addc_u32 s41, s0, s38
	s_xor_b64 s[40:41], s[40:41], s[38:39]
	v_cvt_f32_u32_e32 v3, s40
	v_cvt_f32_u32_e32 v5, s41
	s_sub_u32 s16, 0, s40
	s_subb_u32 s31, 0, s41
	v_mac_f32_e32 v3, 0x4f800000, v5
	v_rcp_f32_e32 v3, v3
	v_mul_f32_e32 v3, 0x5f7ffffc, v3
	v_mul_f32_e32 v5, 0x2f800000, v3
	v_trunc_f32_e32 v5, v5
	v_mac_f32_e32 v3, 0xcf800000, v5
	v_cvt_u32_f32_e32 v5, v5
	v_cvt_u32_f32_e32 v3, v3
	v_readfirstlane_b32 s39, v5
	v_readfirstlane_b32 s0, v3
	s_mul_i32 s1, s16, s39
	s_mul_hi_u32 s54, s16, s0
	s_mul_i32 s53, s31, s0
	s_add_i32 s1, s54, s1
	s_add_i32 s1, s1, s53
	s_mul_i32 s55, s16, s0
	s_mul_i32 s54, s0, s1
	s_mul_hi_u32 s56, s0, s55
	s_mul_hi_u32 s53, s0, s1
	s_add_u32 s54, s56, s54
	s_addc_u32 s53, 0, s53
	s_mul_hi_u32 s57, s39, s55
	s_mul_i32 s55, s39, s55
	s_add_u32 s54, s54, s55
	s_mul_hi_u32 s56, s39, s1
	s_addc_u32 s53, s53, s57
	s_addc_u32 s54, s56, 0
	s_mul_i32 s1, s39, s1
	s_add_u32 s1, s53, s1
	s_addc_u32 s53, 0, s54
	s_add_u32 s54, s0, s1
	s_cselect_b64 s[0:1], -1, 0
	s_cmp_lg_u64 s[0:1], 0
	s_addc_u32 s39, s39, s53
	s_mul_i32 s0, s16, s39
	s_mul_hi_u32 s1, s16, s54
	s_add_i32 s0, s1, s0
	s_mul_i32 s31, s31, s54
	s_add_i32 s0, s0, s31
	s_mul_i32 s16, s16, s54
	s_mul_hi_u32 s31, s39, s16
	s_mul_i32 s53, s39, s16
	s_mul_i32 s56, s54, s0
	s_mul_hi_u32 s16, s54, s16
	s_mul_hi_u32 s55, s54, s0
	s_add_u32 s16, s16, s56
	s_addc_u32 s55, 0, s55
	s_add_u32 s16, s16, s53
	s_mul_hi_u32 s1, s39, s0
	s_addc_u32 s16, s55, s31
	s_addc_u32 s1, s1, 0
	s_mul_i32 s0, s39, s0
	s_add_u32 s0, s16, s0
	s_addc_u32 s16, 0, s1
	s_add_u32 s31, s54, s0
	s_cselect_b64 s[0:1], -1, 0
	v_ashrrev_i32_e32 v3, 31, v11
	s_cmp_lg_u64 s[0:1], 0
	v_add_co_u32_e32 v5, vcc, v10, v3
	s_addc_u32 s16, s39, s16
	v_xor_b32_e32 v5, v5, v3
	v_addc_co_u32_e32 v7, vcc, v11, v3, vcc
	v_mad_u64_u32 v[11:12], s[0:1], v5, s16, 0
	v_mul_hi_u32 v9, v5, s31
	v_xor_b32_e32 v7, v7, v3
	v_mad_u64_u32 v[13:14], s[0:1], v7, s16, 0
	v_add_co_u32_e32 v9, vcc, v9, v11
	v_addc_co_u32_e32 v15, vcc, 0, v12, vcc
	v_mad_u64_u32 v[11:12], s[0:1], v7, s31, 0
	v_xor_b32_e32 v3, s38, v3
	v_add_co_u32_e32 v9, vcc, v9, v11
	v_addc_co_u32_e32 v9, vcc, v15, v12, vcc
	v_addc_co_u32_e32 v11, vcc, 0, v14, vcc
	v_add_co_u32_e32 v9, vcc, v9, v13
	v_addc_co_u32_e32 v13, vcc, 0, v11, vcc
	v_mul_lo_u32 v14, s41, v9
	v_mul_lo_u32 v15, s40, v13
	v_mad_u64_u32 v[11:12], s[0:1], s40, v9, 0
	v_add3_u32 v12, v12, v15, v14
	v_sub_u32_e32 v14, v7, v12
	v_mov_b32_e32 v15, s41
	v_sub_co_u32_e32 v5, vcc, v5, v11
	v_subb_co_u32_e64 v11, s[0:1], v14, v15, vcc
	v_subrev_co_u32_e64 v14, s[0:1], s40, v5
	v_subbrev_co_u32_e64 v11, s[0:1], 0, v11, s[0:1]
	v_cmp_le_u32_e64 s[0:1], s41, v11
	v_cndmask_b32_e64 v15, 0, -1, s[0:1]
	v_cmp_le_u32_e64 s[0:1], s40, v14
	v_cndmask_b32_e64 v14, 0, -1, s[0:1]
	v_cmp_eq_u32_e64 s[0:1], s41, v11
	v_cndmask_b32_e64 v11, v15, v14, s[0:1]
	v_add_co_u32_e64 v14, s[0:1], 2, v9
	v_subb_co_u32_e32 v7, vcc, v7, v12, vcc
	v_addc_co_u32_e64 v15, s[0:1], 0, v13, s[0:1]
	v_cmp_le_u32_e32 vcc, s41, v7
	v_add_co_u32_e64 v16, s[0:1], 1, v9
	v_cndmask_b32_e64 v12, 0, -1, vcc
	v_cmp_le_u32_e32 vcc, s40, v5
	v_addc_co_u32_e64 v17, s[0:1], 0, v13, s[0:1]
	v_cndmask_b32_e64 v5, 0, -1, vcc
	v_cmp_eq_u32_e32 vcc, s41, v7
	v_cmp_ne_u32_e64 s[0:1], 0, v11
	v_cndmask_b32_e32 v5, v12, v5, vcc
	v_cmp_ne_u32_e32 vcc, 0, v5
	v_cndmask_b32_e64 v7, v16, v14, s[0:1]
	v_cndmask_b32_e64 v11, v17, v15, s[0:1]
	v_cndmask_b32_e32 v7, v9, v7, vcc
	v_cndmask_b32_e32 v5, v13, v11, vcc
	v_xor_b32_e32 v7, v7, v3
	v_xor_b32_e32 v5, v5, v3
	v_sub_co_u32_e32 v12, vcc, v7, v3
	v_subb_co_u32_e32 v13, vcc, v5, v3, vcc
.LBB100_33:                             ;   in Loop: Header=BB100_23 Depth=2
	s_andn2_saveexec_b64 s[0:1], s[36:37]
	s_cbranch_execz .LBB100_35
; %bb.34:                               ;   in Loop: Header=BB100_23 Depth=2
	v_cvt_f32_u32_e32 v3, s52
	s_sub_i32 s16, 0, s52
	v_mov_b32_e32 v13, v2
	v_rcp_iflag_f32_e32 v3, v3
	v_mul_f32_e32 v3, 0x4f7ffffe, v3
	v_cvt_u32_f32_e32 v3, v3
	v_mul_lo_u32 v5, s16, v3
	v_mul_hi_u32 v5, v3, v5
	v_add_u32_e32 v3, v3, v5
	v_mul_hi_u32 v3, v10, v3
	v_mul_lo_u32 v5, v3, s52
	v_add_u32_e32 v7, 1, v3
	v_sub_u32_e32 v5, v10, v5
	v_subrev_u32_e32 v9, s52, v5
	v_cmp_le_u32_e32 vcc, s52, v5
	v_cndmask_b32_e32 v5, v5, v9, vcc
	v_cndmask_b32_e32 v3, v3, v7, vcc
	v_add_u32_e32 v7, 1, v3
	v_cmp_le_u32_e32 vcc, s52, v5
	v_cndmask_b32_e32 v12, v3, v7, vcc
.LBB100_35:                             ;   in Loop: Header=BB100_23 Depth=2
	s_or_b64 exec, exec, s[0:1]
	s_add_u32 s0, s4, s34
	s_addc_u32 s1, s5, s35
	s_add_i32 s16, s30, 4
	s_lshl_b64 s[34:35], s[16:17], 2
	s_add_u32 s36, s42, s34
	s_addc_u32 s37, s43, s35
	s_load_dword s54, s[36:37], 0x8
	s_load_dword s53, s[0:1], 0x6c
                                        ; implicit-def: $vgpr14_vgpr15
	s_waitcnt lgkmcnt(0)
	s_ashr_i32 s0, s54, 31
	v_or_b32_e32 v3, s0, v13
	v_cmp_ne_u64_e32 vcc, 0, v[2:3]
	s_and_saveexec_b64 s[36:37], vcc
	s_xor_b64 s[36:37], exec, s[36:37]
	s_cbranch_execz .LBB100_37
; %bb.36:                               ;   in Loop: Header=BB100_23 Depth=2
	s_ashr_i32 s38, s0, 31
	s_add_u32 s40, s54, s38
	s_mov_b32 s39, s38
	s_addc_u32 s41, s0, s38
	s_xor_b64 s[40:41], s[40:41], s[38:39]
	v_cvt_f32_u32_e32 v3, s40
	v_cvt_f32_u32_e32 v5, s41
	s_sub_u32 s16, 0, s40
	s_subb_u32 s31, 0, s41
	v_mac_f32_e32 v3, 0x4f800000, v5
	v_rcp_f32_e32 v3, v3
	v_mul_f32_e32 v3, 0x5f7ffffc, v3
	v_mul_f32_e32 v5, 0x2f800000, v3
	v_trunc_f32_e32 v5, v5
	v_mac_f32_e32 v3, 0xcf800000, v5
	v_cvt_u32_f32_e32 v5, v5
	v_cvt_u32_f32_e32 v3, v3
	v_readfirstlane_b32 s39, v5
	v_readfirstlane_b32 s0, v3
	s_mul_i32 s1, s16, s39
	s_mul_hi_u32 s56, s16, s0
	s_mul_i32 s55, s31, s0
	s_add_i32 s1, s56, s1
	s_add_i32 s1, s1, s55
	s_mul_i32 s57, s16, s0
	s_mul_i32 s56, s0, s1
	s_mul_hi_u32 s58, s0, s57
	s_mul_hi_u32 s55, s0, s1
	s_add_u32 s56, s58, s56
	s_addc_u32 s55, 0, s55
	s_mul_hi_u32 s59, s39, s57
	s_mul_i32 s57, s39, s57
	s_add_u32 s56, s56, s57
	s_mul_hi_u32 s58, s39, s1
	s_addc_u32 s55, s55, s59
	s_addc_u32 s56, s58, 0
	s_mul_i32 s1, s39, s1
	s_add_u32 s1, s55, s1
	s_addc_u32 s55, 0, s56
	s_add_u32 s56, s0, s1
	s_cselect_b64 s[0:1], -1, 0
	s_cmp_lg_u64 s[0:1], 0
	s_addc_u32 s39, s39, s55
	s_mul_i32 s0, s16, s39
	s_mul_hi_u32 s1, s16, s56
	s_add_i32 s0, s1, s0
	s_mul_i32 s31, s31, s56
	s_add_i32 s0, s0, s31
	s_mul_i32 s16, s16, s56
	s_mul_hi_u32 s31, s39, s16
	s_mul_i32 s55, s39, s16
	s_mul_i32 s58, s56, s0
	s_mul_hi_u32 s16, s56, s16
	s_mul_hi_u32 s57, s56, s0
	s_add_u32 s16, s16, s58
	s_addc_u32 s57, 0, s57
	s_add_u32 s16, s16, s55
	s_mul_hi_u32 s1, s39, s0
	s_addc_u32 s16, s57, s31
	s_addc_u32 s1, s1, 0
	s_mul_i32 s0, s39, s0
	s_add_u32 s0, s16, s0
	s_addc_u32 s16, 0, s1
	s_add_u32 s31, s56, s0
	s_cselect_b64 s[0:1], -1, 0
	v_ashrrev_i32_e32 v3, 31, v13
	s_cmp_lg_u64 s[0:1], 0
	v_add_co_u32_e32 v5, vcc, v12, v3
	s_addc_u32 s16, s39, s16
	v_xor_b32_e32 v5, v5, v3
	v_addc_co_u32_e32 v7, vcc, v13, v3, vcc
	v_mad_u64_u32 v[13:14], s[0:1], v5, s16, 0
	v_mul_hi_u32 v9, v5, s31
	v_xor_b32_e32 v7, v7, v3
	v_mad_u64_u32 v[15:16], s[0:1], v7, s16, 0
	v_add_co_u32_e32 v9, vcc, v9, v13
	v_addc_co_u32_e32 v11, vcc, 0, v14, vcc
	v_mad_u64_u32 v[13:14], s[0:1], v7, s31, 0
	v_xor_b32_e32 v3, s38, v3
	v_add_co_u32_e32 v9, vcc, v9, v13
	v_addc_co_u32_e32 v9, vcc, v11, v14, vcc
	v_addc_co_u32_e32 v11, vcc, 0, v16, vcc
	v_add_co_u32_e32 v9, vcc, v9, v15
	v_addc_co_u32_e32 v11, vcc, 0, v11, vcc
	v_mul_lo_u32 v15, s41, v9
	v_mul_lo_u32 v16, s40, v11
	v_mad_u64_u32 v[13:14], s[0:1], s40, v9, 0
	v_add3_u32 v14, v14, v16, v15
	v_sub_u32_e32 v15, v7, v14
	v_mov_b32_e32 v16, s41
	v_sub_co_u32_e32 v5, vcc, v5, v13
	v_subb_co_u32_e64 v13, s[0:1], v15, v16, vcc
	v_subrev_co_u32_e64 v15, s[0:1], s40, v5
	v_subbrev_co_u32_e64 v13, s[0:1], 0, v13, s[0:1]
	v_cmp_le_u32_e64 s[0:1], s41, v13
	v_cndmask_b32_e64 v16, 0, -1, s[0:1]
	v_cmp_le_u32_e64 s[0:1], s40, v15
	v_cndmask_b32_e64 v15, 0, -1, s[0:1]
	v_cmp_eq_u32_e64 s[0:1], s41, v13
	v_cndmask_b32_e64 v13, v16, v15, s[0:1]
	v_add_co_u32_e64 v15, s[0:1], 2, v9
	v_subb_co_u32_e32 v7, vcc, v7, v14, vcc
	v_addc_co_u32_e64 v16, s[0:1], 0, v11, s[0:1]
	v_cmp_le_u32_e32 vcc, s41, v7
	v_add_co_u32_e64 v17, s[0:1], 1, v9
	v_cndmask_b32_e64 v14, 0, -1, vcc
	v_cmp_le_u32_e32 vcc, s40, v5
	v_addc_co_u32_e64 v18, s[0:1], 0, v11, s[0:1]
	v_cndmask_b32_e64 v5, 0, -1, vcc
	v_cmp_eq_u32_e32 vcc, s41, v7
	v_cmp_ne_u32_e64 s[0:1], 0, v13
	v_cndmask_b32_e32 v5, v14, v5, vcc
	v_cmp_ne_u32_e32 vcc, 0, v5
	v_cndmask_b32_e64 v7, v17, v15, s[0:1]
	v_cndmask_b32_e64 v13, v18, v16, s[0:1]
	v_cndmask_b32_e32 v7, v9, v7, vcc
	v_cndmask_b32_e32 v5, v11, v13, vcc
	v_xor_b32_e32 v7, v7, v3
	v_xor_b32_e32 v5, v5, v3
	v_sub_co_u32_e32 v14, vcc, v7, v3
	v_subb_co_u32_e32 v15, vcc, v5, v3, vcc
.LBB100_37:                             ;   in Loop: Header=BB100_23 Depth=2
	s_andn2_saveexec_b64 s[0:1], s[36:37]
	s_cbranch_execz .LBB100_39
; %bb.38:                               ;   in Loop: Header=BB100_23 Depth=2
	v_cvt_f32_u32_e32 v3, s54
	s_sub_i32 s16, 0, s54
	v_mov_b32_e32 v15, v2
	v_rcp_iflag_f32_e32 v3, v3
	v_mul_f32_e32 v3, 0x4f7ffffe, v3
	v_cvt_u32_f32_e32 v3, v3
	v_mul_lo_u32 v5, s16, v3
	v_mul_hi_u32 v5, v3, v5
	v_add_u32_e32 v3, v3, v5
	v_mul_hi_u32 v3, v12, v3
	v_mul_lo_u32 v5, v3, s54
	v_add_u32_e32 v7, 1, v3
	v_sub_u32_e32 v5, v12, v5
	v_subrev_u32_e32 v9, s54, v5
	v_cmp_le_u32_e32 vcc, s54, v5
	v_cndmask_b32_e32 v5, v5, v9, vcc
	v_cndmask_b32_e32 v3, v3, v7, vcc
	v_add_u32_e32 v7, 1, v3
	v_cmp_le_u32_e32 vcc, s54, v5
	v_cndmask_b32_e32 v14, v3, v7, vcc
.LBB100_39:                             ;   in Loop: Header=BB100_23 Depth=2
	s_or_b64 exec, exec, s[0:1]
	s_add_u32 s0, s4, s34
	s_addc_u32 s1, s5, s35
	s_add_i32 s16, s30, 3
	s_lshl_b64 s[34:35], s[16:17], 2
	s_add_u32 s36, s42, s34
	s_addc_u32 s37, s43, s35
	s_load_dword s55, s[36:37], 0x8
	s_load_dword s56, s[0:1], 0x6c
                                        ; implicit-def: $vgpr16_vgpr17
	s_waitcnt lgkmcnt(0)
	s_ashr_i32 s0, s55, 31
	v_or_b32_e32 v3, s0, v15
	v_cmp_ne_u64_e32 vcc, 0, v[2:3]
	s_and_saveexec_b64 s[36:37], vcc
	s_xor_b64 s[36:37], exec, s[36:37]
	s_cbranch_execz .LBB100_41
; %bb.40:                               ;   in Loop: Header=BB100_23 Depth=2
	s_ashr_i32 s38, s0, 31
	s_add_u32 s40, s55, s38
	s_mov_b32 s39, s38
	s_addc_u32 s41, s0, s38
	s_xor_b64 s[40:41], s[40:41], s[38:39]
	v_cvt_f32_u32_e32 v3, s40
	v_cvt_f32_u32_e32 v5, s41
	s_sub_u32 s16, 0, s40
	s_subb_u32 s31, 0, s41
	v_mac_f32_e32 v3, 0x4f800000, v5
	v_rcp_f32_e32 v3, v3
	v_mul_f32_e32 v3, 0x5f7ffffc, v3
	v_mul_f32_e32 v5, 0x2f800000, v3
	v_trunc_f32_e32 v5, v5
	v_mac_f32_e32 v3, 0xcf800000, v5
	v_cvt_u32_f32_e32 v5, v5
	v_cvt_u32_f32_e32 v3, v3
	v_readfirstlane_b32 s39, v5
	v_readfirstlane_b32 s0, v3
	s_mul_i32 s1, s16, s39
	s_mul_hi_u32 s58, s16, s0
	s_mul_i32 s57, s31, s0
	s_add_i32 s1, s58, s1
	s_add_i32 s1, s1, s57
	s_mul_i32 s59, s16, s0
	s_mul_i32 s58, s0, s1
	s_mul_hi_u32 s60, s0, s59
	s_mul_hi_u32 s57, s0, s1
	s_add_u32 s58, s60, s58
	s_addc_u32 s57, 0, s57
	s_mul_hi_u32 s61, s39, s59
	s_mul_i32 s59, s39, s59
	s_add_u32 s58, s58, s59
	s_mul_hi_u32 s60, s39, s1
	s_addc_u32 s57, s57, s61
	s_addc_u32 s58, s60, 0
	s_mul_i32 s1, s39, s1
	s_add_u32 s1, s57, s1
	s_addc_u32 s57, 0, s58
	s_add_u32 s58, s0, s1
	s_cselect_b64 s[0:1], -1, 0
	s_cmp_lg_u64 s[0:1], 0
	s_addc_u32 s39, s39, s57
	s_mul_i32 s0, s16, s39
	s_mul_hi_u32 s1, s16, s58
	s_add_i32 s0, s1, s0
	s_mul_i32 s31, s31, s58
	s_add_i32 s0, s0, s31
	s_mul_i32 s16, s16, s58
	s_mul_hi_u32 s31, s39, s16
	s_mul_i32 s57, s39, s16
	s_mul_i32 s60, s58, s0
	s_mul_hi_u32 s16, s58, s16
	s_mul_hi_u32 s59, s58, s0
	s_add_u32 s16, s16, s60
	s_addc_u32 s59, 0, s59
	s_add_u32 s16, s16, s57
	s_mul_hi_u32 s1, s39, s0
	s_addc_u32 s16, s59, s31
	s_addc_u32 s1, s1, 0
	s_mul_i32 s0, s39, s0
	s_add_u32 s0, s16, s0
	s_addc_u32 s16, 0, s1
	s_add_u32 s31, s58, s0
	s_cselect_b64 s[0:1], -1, 0
	v_ashrrev_i32_e32 v3, 31, v15
	s_cmp_lg_u64 s[0:1], 0
	v_add_co_u32_e32 v5, vcc, v14, v3
	s_addc_u32 s16, s39, s16
	v_xor_b32_e32 v5, v5, v3
	v_addc_co_u32_e32 v7, vcc, v15, v3, vcc
	v_mad_u64_u32 v[15:16], s[0:1], v5, s16, 0
	v_mul_hi_u32 v9, v5, s31
	v_xor_b32_e32 v7, v7, v3
	v_mad_u64_u32 v[17:18], s[0:1], v7, s16, 0
	v_add_co_u32_e32 v9, vcc, v9, v15
	v_addc_co_u32_e32 v11, vcc, 0, v16, vcc
	v_mad_u64_u32 v[15:16], s[0:1], v7, s31, 0
	v_xor_b32_e32 v3, s38, v3
	v_add_co_u32_e32 v9, vcc, v9, v15
	v_addc_co_u32_e32 v9, vcc, v11, v16, vcc
	v_addc_co_u32_e32 v11, vcc, 0, v18, vcc
	v_add_co_u32_e32 v9, vcc, v9, v17
	v_addc_co_u32_e32 v11, vcc, 0, v11, vcc
	v_mul_lo_u32 v13, s41, v9
	v_mul_lo_u32 v17, s40, v11
	v_mad_u64_u32 v[15:16], s[0:1], s40, v9, 0
	v_add3_u32 v13, v16, v17, v13
	v_sub_u32_e32 v16, v7, v13
	v_mov_b32_e32 v17, s41
	v_sub_co_u32_e32 v5, vcc, v5, v15
	v_subb_co_u32_e64 v15, s[0:1], v16, v17, vcc
	v_subrev_co_u32_e64 v16, s[0:1], s40, v5
	v_subbrev_co_u32_e64 v15, s[0:1], 0, v15, s[0:1]
	v_cmp_le_u32_e64 s[0:1], s41, v15
	v_cndmask_b32_e64 v17, 0, -1, s[0:1]
	v_cmp_le_u32_e64 s[0:1], s40, v16
	v_cndmask_b32_e64 v16, 0, -1, s[0:1]
	v_cmp_eq_u32_e64 s[0:1], s41, v15
	v_cndmask_b32_e64 v15, v17, v16, s[0:1]
	v_add_co_u32_e64 v16, s[0:1], 2, v9
	v_subb_co_u32_e32 v7, vcc, v7, v13, vcc
	v_addc_co_u32_e64 v17, s[0:1], 0, v11, s[0:1]
	v_cmp_le_u32_e32 vcc, s41, v7
	v_add_co_u32_e64 v18, s[0:1], 1, v9
	v_cndmask_b32_e64 v13, 0, -1, vcc
	v_cmp_le_u32_e32 vcc, s40, v5
	v_addc_co_u32_e64 v19, s[0:1], 0, v11, s[0:1]
	v_cndmask_b32_e64 v5, 0, -1, vcc
	v_cmp_eq_u32_e32 vcc, s41, v7
	v_cmp_ne_u32_e64 s[0:1], 0, v15
	v_cndmask_b32_e32 v5, v13, v5, vcc
	v_cmp_ne_u32_e32 vcc, 0, v5
	v_cndmask_b32_e64 v7, v18, v16, s[0:1]
	v_cndmask_b32_e64 v15, v19, v17, s[0:1]
	v_cndmask_b32_e32 v7, v9, v7, vcc
	v_cndmask_b32_e32 v5, v11, v15, vcc
	v_xor_b32_e32 v7, v7, v3
	v_xor_b32_e32 v5, v5, v3
	v_sub_co_u32_e32 v16, vcc, v7, v3
	v_subb_co_u32_e32 v17, vcc, v5, v3, vcc
.LBB100_41:                             ;   in Loop: Header=BB100_23 Depth=2
	s_andn2_saveexec_b64 s[0:1], s[36:37]
	s_cbranch_execz .LBB100_43
; %bb.42:                               ;   in Loop: Header=BB100_23 Depth=2
	v_cvt_f32_u32_e32 v3, s55
	s_sub_i32 s16, 0, s55
	v_mov_b32_e32 v17, v2
	v_rcp_iflag_f32_e32 v3, v3
	v_mul_f32_e32 v3, 0x4f7ffffe, v3
	v_cvt_u32_f32_e32 v3, v3
	v_mul_lo_u32 v5, s16, v3
	v_mul_hi_u32 v5, v3, v5
	v_add_u32_e32 v3, v3, v5
	v_mul_hi_u32 v3, v14, v3
	v_mul_lo_u32 v5, v3, s55
	v_add_u32_e32 v7, 1, v3
	v_sub_u32_e32 v5, v14, v5
	v_subrev_u32_e32 v9, s55, v5
	v_cmp_le_u32_e32 vcc, s55, v5
	v_cndmask_b32_e32 v5, v5, v9, vcc
	v_cndmask_b32_e32 v3, v3, v7, vcc
	v_add_u32_e32 v7, 1, v3
	v_cmp_le_u32_e32 vcc, s55, v5
	v_cndmask_b32_e32 v16, v3, v7, vcc
.LBB100_43:                             ;   in Loop: Header=BB100_23 Depth=2
	s_or_b64 exec, exec, s[0:1]
	s_add_u32 s0, s4, s34
	s_addc_u32 s1, s5, s35
	s_add_i32 s16, s30, 2
	s_lshl_b64 s[34:35], s[16:17], 2
	s_add_u32 s36, s42, s34
	s_addc_u32 s37, s43, s35
	s_load_dword s58, s[36:37], 0x8
	s_load_dword s57, s[0:1], 0x6c
                                        ; implicit-def: $vgpr18_vgpr19
	s_waitcnt lgkmcnt(0)
	s_ashr_i32 s0, s58, 31
	v_or_b32_e32 v3, s0, v17
	v_cmp_ne_u64_e32 vcc, 0, v[2:3]
	s_and_saveexec_b64 s[36:37], vcc
	s_xor_b64 s[36:37], exec, s[36:37]
	s_cbranch_execz .LBB100_45
; %bb.44:                               ;   in Loop: Header=BB100_23 Depth=2
	s_ashr_i32 s38, s0, 31
	s_add_u32 s40, s58, s38
	s_mov_b32 s39, s38
	s_addc_u32 s41, s0, s38
	s_xor_b64 s[40:41], s[40:41], s[38:39]
	v_cvt_f32_u32_e32 v3, s40
	v_cvt_f32_u32_e32 v5, s41
	s_sub_u32 s16, 0, s40
	s_subb_u32 s31, 0, s41
	v_mac_f32_e32 v3, 0x4f800000, v5
	v_rcp_f32_e32 v3, v3
	v_mul_f32_e32 v3, 0x5f7ffffc, v3
	v_mul_f32_e32 v5, 0x2f800000, v3
	v_trunc_f32_e32 v5, v5
	v_mac_f32_e32 v3, 0xcf800000, v5
	v_cvt_u32_f32_e32 v5, v5
	v_cvt_u32_f32_e32 v3, v3
	v_readfirstlane_b32 s39, v5
	v_readfirstlane_b32 s0, v3
	s_mul_i32 s1, s16, s39
	s_mul_hi_u32 s60, s16, s0
	s_mul_i32 s59, s31, s0
	s_add_i32 s1, s60, s1
	s_add_i32 s1, s1, s59
	s_mul_i32 s61, s16, s0
	s_mul_i32 s60, s0, s1
	s_mul_hi_u32 s62, s0, s61
	s_mul_hi_u32 s59, s0, s1
	s_add_u32 s60, s62, s60
	s_addc_u32 s59, 0, s59
	s_mul_hi_u32 s63, s39, s61
	s_mul_i32 s61, s39, s61
	s_add_u32 s60, s60, s61
	s_mul_hi_u32 s62, s39, s1
	s_addc_u32 s59, s59, s63
	s_addc_u32 s60, s62, 0
	s_mul_i32 s1, s39, s1
	s_add_u32 s1, s59, s1
	s_addc_u32 s59, 0, s60
	s_add_u32 s60, s0, s1
	s_cselect_b64 s[0:1], -1, 0
	s_cmp_lg_u64 s[0:1], 0
	s_addc_u32 s39, s39, s59
	s_mul_i32 s0, s16, s39
	s_mul_hi_u32 s1, s16, s60
	s_add_i32 s0, s1, s0
	s_mul_i32 s31, s31, s60
	s_add_i32 s0, s0, s31
	s_mul_i32 s16, s16, s60
	s_mul_hi_u32 s31, s39, s16
	s_mul_i32 s59, s39, s16
	s_mul_i32 s62, s60, s0
	s_mul_hi_u32 s16, s60, s16
	s_mul_hi_u32 s61, s60, s0
	s_add_u32 s16, s16, s62
	s_addc_u32 s61, 0, s61
	s_add_u32 s16, s16, s59
	s_mul_hi_u32 s1, s39, s0
	s_addc_u32 s16, s61, s31
	s_addc_u32 s1, s1, 0
	s_mul_i32 s0, s39, s0
	s_add_u32 s0, s16, s0
	s_addc_u32 s16, 0, s1
	s_add_u32 s31, s60, s0
	s_cselect_b64 s[0:1], -1, 0
	v_ashrrev_i32_e32 v3, 31, v17
	s_cmp_lg_u64 s[0:1], 0
	v_add_co_u32_e32 v5, vcc, v16, v3
	s_addc_u32 s16, s39, s16
	v_xor_b32_e32 v5, v5, v3
	v_addc_co_u32_e32 v7, vcc, v17, v3, vcc
	v_mad_u64_u32 v[17:18], s[0:1], v5, s16, 0
	v_mul_hi_u32 v9, v5, s31
	v_xor_b32_e32 v7, v7, v3
	v_mad_u64_u32 v[19:20], s[0:1], v7, s16, 0
	v_add_co_u32_e32 v9, vcc, v9, v17
	v_addc_co_u32_e32 v11, vcc, 0, v18, vcc
	v_mad_u64_u32 v[17:18], s[0:1], v7, s31, 0
	v_xor_b32_e32 v3, s38, v3
	v_add_co_u32_e32 v9, vcc, v9, v17
	v_addc_co_u32_e32 v9, vcc, v11, v18, vcc
	v_addc_co_u32_e32 v11, vcc, 0, v20, vcc
	v_add_co_u32_e32 v9, vcc, v9, v19
	v_addc_co_u32_e32 v11, vcc, 0, v11, vcc
	v_mul_lo_u32 v13, s41, v9
	v_mul_lo_u32 v15, s40, v11
	v_mad_u64_u32 v[17:18], s[0:1], s40, v9, 0
	v_add3_u32 v13, v18, v15, v13
	v_sub_u32_e32 v15, v7, v13
	v_mov_b32_e32 v18, s41
	v_sub_co_u32_e32 v5, vcc, v5, v17
	v_subb_co_u32_e64 v15, s[0:1], v15, v18, vcc
	v_subrev_co_u32_e64 v17, s[0:1], s40, v5
	v_subbrev_co_u32_e64 v15, s[0:1], 0, v15, s[0:1]
	v_cmp_le_u32_e64 s[0:1], s41, v15
	v_cndmask_b32_e64 v18, 0, -1, s[0:1]
	v_cmp_le_u32_e64 s[0:1], s40, v17
	v_cndmask_b32_e64 v17, 0, -1, s[0:1]
	v_cmp_eq_u32_e64 s[0:1], s41, v15
	v_cndmask_b32_e64 v15, v18, v17, s[0:1]
	v_add_co_u32_e64 v17, s[0:1], 2, v9
	v_subb_co_u32_e32 v7, vcc, v7, v13, vcc
	v_addc_co_u32_e64 v18, s[0:1], 0, v11, s[0:1]
	v_cmp_le_u32_e32 vcc, s41, v7
	v_add_co_u32_e64 v19, s[0:1], 1, v9
	v_cndmask_b32_e64 v13, 0, -1, vcc
	v_cmp_le_u32_e32 vcc, s40, v5
	v_addc_co_u32_e64 v20, s[0:1], 0, v11, s[0:1]
	v_cndmask_b32_e64 v5, 0, -1, vcc
	v_cmp_eq_u32_e32 vcc, s41, v7
	v_cmp_ne_u32_e64 s[0:1], 0, v15
	v_cndmask_b32_e32 v5, v13, v5, vcc
	v_cmp_ne_u32_e32 vcc, 0, v5
	v_cndmask_b32_e64 v7, v19, v17, s[0:1]
	v_cndmask_b32_e64 v15, v20, v18, s[0:1]
	v_cndmask_b32_e32 v7, v9, v7, vcc
	v_cndmask_b32_e32 v5, v11, v15, vcc
	v_xor_b32_e32 v7, v7, v3
	v_xor_b32_e32 v5, v5, v3
	v_sub_co_u32_e32 v18, vcc, v7, v3
	v_subb_co_u32_e32 v19, vcc, v5, v3, vcc
.LBB100_45:                             ;   in Loop: Header=BB100_23 Depth=2
	s_andn2_saveexec_b64 s[0:1], s[36:37]
	s_cbranch_execz .LBB100_47
; %bb.46:                               ;   in Loop: Header=BB100_23 Depth=2
	v_cvt_f32_u32_e32 v3, s58
	s_sub_i32 s16, 0, s58
	v_mov_b32_e32 v19, v2
	v_rcp_iflag_f32_e32 v3, v3
	v_mul_f32_e32 v3, 0x4f7ffffe, v3
	v_cvt_u32_f32_e32 v3, v3
	v_mul_lo_u32 v5, s16, v3
	v_mul_hi_u32 v5, v3, v5
	v_add_u32_e32 v3, v3, v5
	v_mul_hi_u32 v3, v16, v3
	v_mul_lo_u32 v5, v3, s58
	v_add_u32_e32 v7, 1, v3
	v_sub_u32_e32 v5, v16, v5
	v_subrev_u32_e32 v9, s58, v5
	v_cmp_le_u32_e32 vcc, s58, v5
	v_cndmask_b32_e32 v5, v5, v9, vcc
	v_cndmask_b32_e32 v3, v3, v7, vcc
	v_add_u32_e32 v7, 1, v3
	v_cmp_le_u32_e32 vcc, s58, v5
	v_cndmask_b32_e32 v18, v3, v7, vcc
.LBB100_47:                             ;   in Loop: Header=BB100_23 Depth=2
	s_or_b64 exec, exec, s[0:1]
	s_add_u32 s0, s4, s34
	s_addc_u32 s1, s5, s35
	s_add_i32 s16, s30, 1
	s_lshl_b64 s[34:35], s[16:17], 2
	s_add_u32 s36, s42, s34
	s_addc_u32 s37, s43, s35
	s_load_dword s59, s[36:37], 0x8
	s_load_dword s16, s[0:1], 0x6c
                                        ; implicit-def: $vgpr20_vgpr21
	s_waitcnt lgkmcnt(0)
	s_ashr_i32 s0, s59, 31
	v_or_b32_e32 v3, s0, v19
	v_cmp_ne_u64_e32 vcc, 0, v[2:3]
	s_and_saveexec_b64 s[36:37], vcc
	s_xor_b64 s[36:37], exec, s[36:37]
	s_cbranch_execz .LBB100_49
; %bb.48:                               ;   in Loop: Header=BB100_23 Depth=2
	s_ashr_i32 s38, s0, 31
	s_add_u32 s40, s59, s38
	s_mov_b32 s39, s38
	s_addc_u32 s41, s0, s38
	s_xor_b64 s[40:41], s[40:41], s[38:39]
	v_cvt_f32_u32_e32 v3, s40
	v_cvt_f32_u32_e32 v5, s41
	s_sub_u32 s31, 0, s40
	s_subb_u32 s39, 0, s41
	v_mov_b32_e32 v17, s41
	v_mac_f32_e32 v3, 0x4f800000, v5
	v_rcp_f32_e32 v3, v3
	v_mul_f32_e32 v3, 0x5f7ffffc, v3
	v_mul_f32_e32 v5, 0x2f800000, v3
	v_trunc_f32_e32 v5, v5
	v_mac_f32_e32 v3, 0xcf800000, v5
	v_cvt_u32_f32_e32 v5, v5
	v_cvt_u32_f32_e32 v3, v3
	v_readfirstlane_b32 s60, v5
	v_readfirstlane_b32 s0, v3
	s_mul_i32 s1, s31, s60
	s_mul_hi_u32 s62, s31, s0
	s_mul_i32 s61, s39, s0
	s_add_i32 s1, s62, s1
	s_add_i32 s1, s1, s61
	s_mul_i32 s63, s31, s0
	s_mul_i32 s62, s0, s1
	s_mul_hi_u32 s64, s0, s63
	s_mul_hi_u32 s61, s0, s1
	s_add_u32 s62, s64, s62
	s_addc_u32 s61, 0, s61
	s_mul_hi_u32 s65, s60, s63
	s_mul_i32 s63, s60, s63
	s_add_u32 s62, s62, s63
	s_mul_hi_u32 s64, s60, s1
	s_addc_u32 s61, s61, s65
	s_addc_u32 s62, s64, 0
	s_mul_i32 s1, s60, s1
	s_add_u32 s1, s61, s1
	s_addc_u32 s61, 0, s62
	s_add_u32 s62, s0, s1
	s_cselect_b64 s[0:1], -1, 0
	s_cmp_lg_u64 s[0:1], 0
	s_addc_u32 s60, s60, s61
	s_mul_i32 s0, s31, s60
	s_mul_hi_u32 s1, s31, s62
	s_add_i32 s0, s1, s0
	s_mul_i32 s39, s39, s62
	s_add_i32 s0, s0, s39
	s_mul_i32 s31, s31, s62
	s_mul_hi_u32 s39, s60, s31
	s_mul_i32 s61, s60, s31
	s_mul_i32 s64, s62, s0
	s_mul_hi_u32 s31, s62, s31
	s_mul_hi_u32 s63, s62, s0
	s_add_u32 s31, s31, s64
	s_addc_u32 s63, 0, s63
	s_add_u32 s31, s31, s61
	s_mul_hi_u32 s1, s60, s0
	s_addc_u32 s31, s63, s39
	s_addc_u32 s1, s1, 0
	s_mul_i32 s0, s60, s0
	s_add_u32 s0, s31, s0
	s_addc_u32 s31, 0, s1
	s_add_u32 s39, s62, s0
	s_cselect_b64 s[0:1], -1, 0
	v_ashrrev_i32_e32 v3, 31, v19
	s_cmp_lg_u64 s[0:1], 0
	v_add_co_u32_e32 v5, vcc, v18, v3
	s_addc_u32 s31, s60, s31
	v_xor_b32_e32 v5, v5, v3
	v_addc_co_u32_e32 v7, vcc, v19, v3, vcc
	v_mad_u64_u32 v[19:20], s[0:1], v5, s31, 0
	v_mul_hi_u32 v9, v5, s39
	v_xor_b32_e32 v7, v7, v3
	v_mad_u64_u32 v[21:22], s[0:1], v7, s31, 0
	v_add_co_u32_e32 v9, vcc, v9, v19
	v_addc_co_u32_e32 v11, vcc, 0, v20, vcc
	v_mad_u64_u32 v[19:20], s[0:1], v7, s39, 0
	v_xor_b32_e32 v3, s38, v3
	v_add_co_u32_e32 v9, vcc, v9, v19
	v_addc_co_u32_e32 v9, vcc, v11, v20, vcc
	v_addc_co_u32_e32 v11, vcc, 0, v22, vcc
	v_add_co_u32_e32 v9, vcc, v9, v21
	v_addc_co_u32_e32 v11, vcc, 0, v11, vcc
	v_mul_lo_u32 v13, s41, v9
	v_mul_lo_u32 v15, s40, v11
	v_mad_u64_u32 v[19:20], s[0:1], s40, v9, 0
	v_add3_u32 v13, v20, v15, v13
	v_sub_u32_e32 v15, v7, v13
	v_sub_co_u32_e32 v5, vcc, v5, v19
	v_subb_co_u32_e64 v15, s[0:1], v15, v17, vcc
	v_subrev_co_u32_e64 v17, s[0:1], s40, v5
	v_subbrev_co_u32_e64 v15, s[0:1], 0, v15, s[0:1]
	v_cmp_le_u32_e64 s[0:1], s41, v15
	v_cndmask_b32_e64 v19, 0, -1, s[0:1]
	v_cmp_le_u32_e64 s[0:1], s40, v17
	v_cndmask_b32_e64 v17, 0, -1, s[0:1]
	v_cmp_eq_u32_e64 s[0:1], s41, v15
	v_cndmask_b32_e64 v15, v19, v17, s[0:1]
	v_add_co_u32_e64 v17, s[0:1], 2, v9
	v_subb_co_u32_e32 v7, vcc, v7, v13, vcc
	v_addc_co_u32_e64 v19, s[0:1], 0, v11, s[0:1]
	v_cmp_le_u32_e32 vcc, s41, v7
	v_add_co_u32_e64 v20, s[0:1], 1, v9
	v_cndmask_b32_e64 v13, 0, -1, vcc
	v_cmp_le_u32_e32 vcc, s40, v5
	v_addc_co_u32_e64 v21, s[0:1], 0, v11, s[0:1]
	v_cndmask_b32_e64 v5, 0, -1, vcc
	v_cmp_eq_u32_e32 vcc, s41, v7
	v_cmp_ne_u32_e64 s[0:1], 0, v15
	v_cndmask_b32_e32 v5, v13, v5, vcc
	v_cmp_ne_u32_e32 vcc, 0, v5
	v_cndmask_b32_e64 v7, v20, v17, s[0:1]
	v_cndmask_b32_e64 v15, v21, v19, s[0:1]
	v_cndmask_b32_e32 v7, v9, v7, vcc
	v_cndmask_b32_e32 v5, v11, v15, vcc
	v_xor_b32_e32 v7, v7, v3
	v_xor_b32_e32 v5, v5, v3
	v_sub_co_u32_e32 v20, vcc, v7, v3
	v_subb_co_u32_e32 v21, vcc, v5, v3, vcc
.LBB100_49:                             ;   in Loop: Header=BB100_23 Depth=2
	s_andn2_saveexec_b64 s[0:1], s[36:37]
	s_cbranch_execz .LBB100_51
; %bb.50:                               ;   in Loop: Header=BB100_23 Depth=2
	v_cvt_f32_u32_e32 v3, s59
	s_sub_i32 s31, 0, s59
	v_mov_b32_e32 v21, v2
	v_rcp_iflag_f32_e32 v3, v3
	v_mul_f32_e32 v3, 0x4f7ffffe, v3
	v_cvt_u32_f32_e32 v3, v3
	v_mul_lo_u32 v5, s31, v3
	v_mul_hi_u32 v5, v3, v5
	v_add_u32_e32 v3, v3, v5
	v_mul_hi_u32 v3, v18, v3
	v_mul_lo_u32 v5, v3, s59
	v_add_u32_e32 v7, 1, v3
	v_sub_u32_e32 v5, v18, v5
	v_subrev_u32_e32 v9, s59, v5
	v_cmp_le_u32_e32 vcc, s59, v5
	v_cndmask_b32_e32 v5, v5, v9, vcc
	v_cndmask_b32_e32 v3, v3, v7, vcc
	v_add_u32_e32 v7, 1, v3
	v_cmp_le_u32_e32 vcc, s59, v5
	v_cndmask_b32_e32 v20, v3, v7, vcc
.LBB100_51:                             ;   in Loop: Header=BB100_23 Depth=2
	s_or_b64 exec, exec, s[0:1]
	s_add_u32 s0, s4, s34
	s_mov_b32 s31, s17
	s_addc_u32 s1, s5, s35
	s_lshl_b64 s[34:35], s[30:31], 2
	s_add_u32 s36, s42, s34
	s_addc_u32 s37, s43, s35
	s_load_dword s60, s[36:37], 0x8
	s_load_dword s31, s[0:1], 0x6c
                                        ; implicit-def: $vgpr22_vgpr23
	s_waitcnt lgkmcnt(0)
	s_ashr_i32 s0, s60, 31
	v_or_b32_e32 v3, s0, v21
	v_cmp_ne_u64_e32 vcc, 0, v[2:3]
	s_and_saveexec_b64 s[36:37], vcc
	s_xor_b64 s[36:37], exec, s[36:37]
	s_cbranch_execz .LBB100_53
; %bb.52:                               ;   in Loop: Header=BB100_23 Depth=2
	s_ashr_i32 s38, s0, 31
	s_add_u32 s40, s60, s38
	s_mov_b32 s39, s38
	s_addc_u32 s41, s0, s38
	s_xor_b64 s[40:41], s[40:41], s[38:39]
	v_cvt_f32_u32_e32 v3, s40
	v_cvt_f32_u32_e32 v5, s41
	s_sub_u32 s39, 0, s40
	s_subb_u32 s61, 0, s41
	v_mov_b32_e32 v17, s41
	v_mac_f32_e32 v3, 0x4f800000, v5
	v_rcp_f32_e32 v3, v3
	v_mul_f32_e32 v3, 0x5f7ffffc, v3
	v_mul_f32_e32 v5, 0x2f800000, v3
	v_trunc_f32_e32 v5, v5
	v_mac_f32_e32 v3, 0xcf800000, v5
	v_cvt_u32_f32_e32 v5, v5
	v_cvt_u32_f32_e32 v3, v3
	v_readfirstlane_b32 s62, v5
	v_readfirstlane_b32 s0, v3
	s_mul_i32 s1, s39, s62
	s_mul_hi_u32 s64, s39, s0
	s_mul_i32 s63, s61, s0
	s_add_i32 s1, s64, s1
	s_add_i32 s1, s1, s63
	s_mul_i32 s65, s39, s0
	s_mul_i32 s64, s0, s1
	s_mul_hi_u32 s66, s0, s65
	s_mul_hi_u32 s63, s0, s1
	s_add_u32 s64, s66, s64
	s_addc_u32 s63, 0, s63
	s_mul_hi_u32 s67, s62, s65
	s_mul_i32 s65, s62, s65
	s_add_u32 s64, s64, s65
	s_mul_hi_u32 s66, s62, s1
	s_addc_u32 s63, s63, s67
	s_addc_u32 s64, s66, 0
	s_mul_i32 s1, s62, s1
	s_add_u32 s1, s63, s1
	s_addc_u32 s63, 0, s64
	s_add_u32 s64, s0, s1
	s_cselect_b64 s[0:1], -1, 0
	s_cmp_lg_u64 s[0:1], 0
	s_addc_u32 s62, s62, s63
	s_mul_i32 s0, s39, s62
	s_mul_hi_u32 s1, s39, s64
	s_add_i32 s0, s1, s0
	s_mul_i32 s61, s61, s64
	s_add_i32 s0, s0, s61
	s_mul_i32 s39, s39, s64
	s_mul_hi_u32 s61, s62, s39
	s_mul_i32 s63, s62, s39
	s_mul_i32 s66, s64, s0
	s_mul_hi_u32 s39, s64, s39
	s_mul_hi_u32 s65, s64, s0
	s_add_u32 s39, s39, s66
	s_addc_u32 s65, 0, s65
	s_add_u32 s39, s39, s63
	s_mul_hi_u32 s1, s62, s0
	s_addc_u32 s39, s65, s61
	s_addc_u32 s1, s1, 0
	s_mul_i32 s0, s62, s0
	s_add_u32 s0, s39, s0
	s_addc_u32 s39, 0, s1
	s_add_u32 s61, s64, s0
	s_cselect_b64 s[0:1], -1, 0
	v_ashrrev_i32_e32 v3, 31, v21
	s_cmp_lg_u64 s[0:1], 0
	v_add_co_u32_e32 v5, vcc, v20, v3
	s_addc_u32 s39, s62, s39
	v_xor_b32_e32 v5, v5, v3
	v_addc_co_u32_e32 v7, vcc, v21, v3, vcc
	v_mad_u64_u32 v[21:22], s[0:1], v5, s39, 0
	v_mul_hi_u32 v9, v5, s61
	v_xor_b32_e32 v7, v7, v3
	v_mad_u64_u32 v[26:27], s[0:1], v7, s39, 0
	v_add_co_u32_e32 v9, vcc, v9, v21
	v_addc_co_u32_e32 v11, vcc, 0, v22, vcc
	v_mad_u64_u32 v[21:22], s[0:1], v7, s61, 0
	v_xor_b32_e32 v3, s38, v3
	v_add_co_u32_e32 v9, vcc, v9, v21
	v_addc_co_u32_e32 v9, vcc, v11, v22, vcc
	v_addc_co_u32_e32 v11, vcc, 0, v27, vcc
	v_add_co_u32_e32 v9, vcc, v9, v26
	v_addc_co_u32_e32 v11, vcc, 0, v11, vcc
	v_mul_lo_u32 v13, s41, v9
	v_mul_lo_u32 v15, s40, v11
	v_mad_u64_u32 v[21:22], s[0:1], s40, v9, 0
	v_add3_u32 v13, v22, v15, v13
	v_sub_u32_e32 v15, v7, v13
	v_sub_co_u32_e32 v5, vcc, v5, v21
	v_subb_co_u32_e64 v15, s[0:1], v15, v17, vcc
	v_subrev_co_u32_e64 v17, s[0:1], s40, v5
	v_subbrev_co_u32_e64 v15, s[0:1], 0, v15, s[0:1]
	v_cmp_le_u32_e64 s[0:1], s41, v15
	v_cndmask_b32_e64 v19, 0, -1, s[0:1]
	v_cmp_le_u32_e64 s[0:1], s40, v17
	v_cndmask_b32_e64 v17, 0, -1, s[0:1]
	v_cmp_eq_u32_e64 s[0:1], s41, v15
	v_cndmask_b32_e64 v15, v19, v17, s[0:1]
	v_add_co_u32_e64 v17, s[0:1], 2, v9
	v_subb_co_u32_e32 v7, vcc, v7, v13, vcc
	v_addc_co_u32_e64 v19, s[0:1], 0, v11, s[0:1]
	v_cmp_le_u32_e32 vcc, s41, v7
	v_add_co_u32_e64 v21, s[0:1], 1, v9
	v_cndmask_b32_e64 v13, 0, -1, vcc
	v_cmp_le_u32_e32 vcc, s40, v5
	v_addc_co_u32_e64 v22, s[0:1], 0, v11, s[0:1]
	v_cndmask_b32_e64 v5, 0, -1, vcc
	v_cmp_eq_u32_e32 vcc, s41, v7
	v_cmp_ne_u32_e64 s[0:1], 0, v15
	v_cndmask_b32_e32 v5, v13, v5, vcc
	v_cmp_ne_u32_e32 vcc, 0, v5
	v_cndmask_b32_e64 v7, v21, v17, s[0:1]
	v_cndmask_b32_e64 v15, v22, v19, s[0:1]
	v_cndmask_b32_e32 v7, v9, v7, vcc
	v_cndmask_b32_e32 v5, v11, v15, vcc
	v_xor_b32_e32 v7, v7, v3
	v_xor_b32_e32 v5, v5, v3
	v_sub_co_u32_e32 v22, vcc, v7, v3
	v_subb_co_u32_e32 v23, vcc, v5, v3, vcc
.LBB100_53:                             ;   in Loop: Header=BB100_23 Depth=2
	s_andn2_saveexec_b64 s[0:1], s[36:37]
	s_cbranch_execz .LBB100_55
; %bb.54:                               ;   in Loop: Header=BB100_23 Depth=2
	v_cvt_f32_u32_e32 v3, s60
	s_sub_i32 s36, 0, s60
	v_mov_b32_e32 v23, v2
	v_rcp_iflag_f32_e32 v3, v3
	v_mul_f32_e32 v3, 0x4f7ffffe, v3
	v_cvt_u32_f32_e32 v3, v3
	v_mul_lo_u32 v5, s36, v3
	v_mul_hi_u32 v5, v3, v5
	v_add_u32_e32 v3, v3, v5
	v_mul_hi_u32 v3, v20, v3
	v_mul_lo_u32 v5, v3, s60
	v_add_u32_e32 v7, 1, v3
	v_sub_u32_e32 v5, v20, v5
	v_subrev_u32_e32 v9, s60, v5
	v_cmp_le_u32_e32 vcc, s60, v5
	v_cndmask_b32_e32 v5, v5, v9, vcc
	v_cndmask_b32_e32 v3, v3, v7, vcc
	v_add_u32_e32 v7, 1, v3
	v_cmp_le_u32_e32 vcc, s60, v5
	v_cndmask_b32_e32 v22, v3, v7, vcc
.LBB100_55:                             ;   in Loop: Header=BB100_23 Depth=2
	s_or_b64 exec, exec, s[0:1]
	v_mul_lo_u32 v3, v8, s25
	v_mul_lo_u32 v5, v10, s50
	;; [unrolled: 1-line block ×3, first 2 shown]
	s_add_u32 s0, s4, s34
	v_sub_u32_e32 v3, v6, v3
	v_mul_lo_u32 v6, v14, s54
	v_sub_u32_e32 v5, v8, v5
	v_mul_lo_u32 v3, s28, v3
	v_mul_lo_u32 v5, s51, v5
	v_sub_u32_e32 v7, v10, v7
	v_sub_u32_e32 v6, v12, v6
	v_mul_lo_u32 v7, s53, v7
	v_mul_lo_u32 v6, s56, v6
	;; [unrolled: 1-line block ×3, first 2 shown]
	v_add3_u32 v3, v3, v4, v5
	v_mul_lo_u32 v4, v18, s58
	s_addc_u32 s1, s5, s35
	v_add3_u32 v3, v7, v3, v6
	v_mul_lo_u32 v6, v20, s59
	v_mul_lo_u32 v7, v22, s60
	s_load_dword s0, s[0:1], 0x6c
	v_sub_u32_e32 v5, v14, v8
	v_sub_u32_e32 v4, v16, v4
	v_mul_lo_u32 v5, s57, v5
	v_mul_lo_u32 v4, s16, v4
	v_sub_u32_e32 v6, v18, v6
	v_sub_u32_e32 v7, v20, v7
	v_mul_lo_u32 v6, s31, v6
	s_waitcnt lgkmcnt(0)
	v_mul_lo_u32 v7, s0, v7
	v_add3_u32 v3, v5, v3, v4
	s_add_i32 s30, s30, -8
	s_cmp_eq_u32 s30, -8
	v_add3_u32 v4, v6, v3, v7
	s_cbranch_scc1 .LBB100_57
; %bb.56:                               ;   in Loop: Header=BB100_23 Depth=2
	v_mov_b32_e32 v6, v22
	v_mov_b32_e32 v7, v23
	s_branch .LBB100_23
.LBB100_57:                             ;   in Loop: Header=BB100_3 Depth=1
	s_load_dword s16, s[2:3], 0x4
	s_waitcnt lgkmcnt(0)
	v_cmp_gt_i32_e32 vcc, s16, v25
	s_and_b64 exec, exec, vcc
	s_cbranch_execz .LBB100_2
; %bb.58:                               ;   in Loop: Header=BB100_3 Depth=1
	v_ashrrev_i32_e32 v3, 31, v4
	v_mov_b32_e32 v6, s13
	v_add_co_u32_e32 v5, vcc, s12, v4
	v_addc_co_u32_e32 v6, vcc, v6, v3, vcc
	v_add_u32_e32 v3, 1, v25
	v_cmp_gt_i32_e32 vcc, s16, v3
	global_store_byte v[5:6], v2, off
	s_and_b64 exec, exec, vcc
	s_cbranch_execz .LBB100_2
; %bb.59:                               ;   in Loop: Header=BB100_3 Depth=1
	v_sub_u32_e32 v5, v3, v24
	v_ashrrev_i32_e32 v6, 31, v5
	v_cmp_gt_i64_e32 vcc, s[8:9], v[5:6]
	s_and_saveexec_b64 s[0:1], vcc
	s_cbranch_execz .LBB100_61
; %bb.60:                               ;   in Loop: Header=BB100_3 Depth=1
	v_add_u32_e32 v3, s29, v4
	v_ashrrev_i32_e32 v6, 31, v3
	v_mov_b32_e32 v7, s13
	v_add_co_u32_e32 v5, vcc, s12, v3
	v_addc_co_u32_e32 v6, vcc, v7, v6, vcc
	global_store_byte v[5:6], v2, off
.LBB100_61:                             ;   in Loop: Header=BB100_3 Depth=1
	s_or_b64 exec, exec, s[0:1]
	v_add_u32_e32 v3, 2, v25
	v_cmp_gt_i32_e32 vcc, s16, v3
	s_and_b64 exec, exec, vcc
	s_cbranch_execz .LBB100_2
; %bb.62:                               ;   in Loop: Header=BB100_3 Depth=1
	v_sub_u32_e32 v5, v3, v24
	v_ashrrev_i32_e32 v6, 31, v5
	v_cmp_gt_i64_e32 vcc, s[8:9], v[5:6]
	s_and_saveexec_b64 s[0:1], vcc
	s_cbranch_execz .LBB100_64
; %bb.63:                               ;   in Loop: Header=BB100_3 Depth=1
	v_lshl_add_u32 v3, s29, 1, v4
	v_ashrrev_i32_e32 v6, 31, v3
	v_mov_b32_e32 v7, s13
	v_add_co_u32_e32 v5, vcc, s12, v3
	v_addc_co_u32_e32 v6, vcc, v7, v6, vcc
	global_store_byte v[5:6], v2, off
.LBB100_64:                             ;   in Loop: Header=BB100_3 Depth=1
	s_or_b64 exec, exec, s[0:1]
	v_add_u32_e32 v3, 3, v25
	v_cmp_gt_i32_e32 vcc, s16, v3
	s_and_b64 exec, exec, vcc
	s_cbranch_execz .LBB100_2
; %bb.65:                               ;   in Loop: Header=BB100_3 Depth=1
	v_sub_u32_e32 v5, v3, v24
	v_ashrrev_i32_e32 v6, 31, v5
	v_cmp_gt_i64_e32 vcc, s[8:9], v[5:6]
	s_and_b64 exec, exec, vcc
	s_cbranch_execz .LBB100_2
; %bb.66:                               ;   in Loop: Header=BB100_3 Depth=1
	v_mad_u64_u32 v[3:4], s[0:1], s29, 3, v[4:5]
	v_mov_b32_e32 v4, s13
	v_ashrrev_i32_e32 v5, 31, v3
	v_add_co_u32_e32 v3, vcc, s12, v3
	v_addc_co_u32_e32 v4, vcc, v4, v5, vcc
	global_store_byte v[3:4], v2, off
	s_branch .LBB100_2
.LBB100_67:
	s_endpgm
	.section	.rodata,"a",@progbits
	.p2align	6, 0x0
	.amdhsa_kernel _ZN2at6native16triu_tril_kernelIbiLb1ELi4ELb1EEEvNS_4cuda6detail10TensorInfoIT_T0_EENS4_IKS5_S6_EEllS6_
		.amdhsa_group_segment_fixed_size 0
		.amdhsa_private_segment_fixed_size 0
		.amdhsa_kernarg_size 712
		.amdhsa_user_sgpr_count 6
		.amdhsa_user_sgpr_private_segment_buffer 1
		.amdhsa_user_sgpr_dispatch_ptr 0
		.amdhsa_user_sgpr_queue_ptr 0
		.amdhsa_user_sgpr_kernarg_segment_ptr 1
		.amdhsa_user_sgpr_dispatch_id 0
		.amdhsa_user_sgpr_flat_scratch_init 0
		.amdhsa_user_sgpr_private_segment_size 0
		.amdhsa_uses_dynamic_stack 0
		.amdhsa_system_sgpr_private_segment_wavefront_offset 0
		.amdhsa_system_sgpr_workgroup_id_x 1
		.amdhsa_system_sgpr_workgroup_id_y 0
		.amdhsa_system_sgpr_workgroup_id_z 0
		.amdhsa_system_sgpr_workgroup_info 0
		.amdhsa_system_vgpr_workitem_id 0
		.amdhsa_next_free_vgpr 28
		.amdhsa_next_free_sgpr 68
		.amdhsa_reserve_vcc 1
		.amdhsa_reserve_flat_scratch 0
		.amdhsa_float_round_mode_32 0
		.amdhsa_float_round_mode_16_64 0
		.amdhsa_float_denorm_mode_32 3
		.amdhsa_float_denorm_mode_16_64 3
		.amdhsa_dx10_clamp 1
		.amdhsa_ieee_mode 1
		.amdhsa_fp16_overflow 0
		.amdhsa_exception_fp_ieee_invalid_op 0
		.amdhsa_exception_fp_denorm_src 0
		.amdhsa_exception_fp_ieee_div_zero 0
		.amdhsa_exception_fp_ieee_overflow 0
		.amdhsa_exception_fp_ieee_underflow 0
		.amdhsa_exception_fp_ieee_inexact 0
		.amdhsa_exception_int_div_zero 0
	.end_amdhsa_kernel
	.section	.text._ZN2at6native16triu_tril_kernelIbiLb1ELi4ELb1EEEvNS_4cuda6detail10TensorInfoIT_T0_EENS4_IKS5_S6_EEllS6_,"axG",@progbits,_ZN2at6native16triu_tril_kernelIbiLb1ELi4ELb1EEEvNS_4cuda6detail10TensorInfoIT_T0_EENS4_IKS5_S6_EEllS6_,comdat
.Lfunc_end100:
	.size	_ZN2at6native16triu_tril_kernelIbiLb1ELi4ELb1EEEvNS_4cuda6detail10TensorInfoIT_T0_EENS4_IKS5_S6_EEllS6_, .Lfunc_end100-_ZN2at6native16triu_tril_kernelIbiLb1ELi4ELb1EEEvNS_4cuda6detail10TensorInfoIT_T0_EENS4_IKS5_S6_EEllS6_
                                        ; -- End function
	.set _ZN2at6native16triu_tril_kernelIbiLb1ELi4ELb1EEEvNS_4cuda6detail10TensorInfoIT_T0_EENS4_IKS5_S6_EEllS6_.num_vgpr, 28
	.set _ZN2at6native16triu_tril_kernelIbiLb1ELi4ELb1EEEvNS_4cuda6detail10TensorInfoIT_T0_EENS4_IKS5_S6_EEllS6_.num_agpr, 0
	.set _ZN2at6native16triu_tril_kernelIbiLb1ELi4ELb1EEEvNS_4cuda6detail10TensorInfoIT_T0_EENS4_IKS5_S6_EEllS6_.numbered_sgpr, 68
	.set _ZN2at6native16triu_tril_kernelIbiLb1ELi4ELb1EEEvNS_4cuda6detail10TensorInfoIT_T0_EENS4_IKS5_S6_EEllS6_.num_named_barrier, 0
	.set _ZN2at6native16triu_tril_kernelIbiLb1ELi4ELb1EEEvNS_4cuda6detail10TensorInfoIT_T0_EENS4_IKS5_S6_EEllS6_.private_seg_size, 0
	.set _ZN2at6native16triu_tril_kernelIbiLb1ELi4ELb1EEEvNS_4cuda6detail10TensorInfoIT_T0_EENS4_IKS5_S6_EEllS6_.uses_vcc, 1
	.set _ZN2at6native16triu_tril_kernelIbiLb1ELi4ELb1EEEvNS_4cuda6detail10TensorInfoIT_T0_EENS4_IKS5_S6_EEllS6_.uses_flat_scratch, 0
	.set _ZN2at6native16triu_tril_kernelIbiLb1ELi4ELb1EEEvNS_4cuda6detail10TensorInfoIT_T0_EENS4_IKS5_S6_EEllS6_.has_dyn_sized_stack, 0
	.set _ZN2at6native16triu_tril_kernelIbiLb1ELi4ELb1EEEvNS_4cuda6detail10TensorInfoIT_T0_EENS4_IKS5_S6_EEllS6_.has_recursion, 0
	.set _ZN2at6native16triu_tril_kernelIbiLb1ELi4ELb1EEEvNS_4cuda6detail10TensorInfoIT_T0_EENS4_IKS5_S6_EEllS6_.has_indirect_call, 0
	.section	.AMDGPU.csdata,"",@progbits
; Kernel info:
; codeLenInByte = 9444
; TotalNumSgprs: 72
; NumVgprs: 28
; ScratchSize: 0
; MemoryBound: 0
; FloatMode: 240
; IeeeMode: 1
; LDSByteSize: 0 bytes/workgroup (compile time only)
; SGPRBlocks: 8
; VGPRBlocks: 6
; NumSGPRsForWavesPerEU: 72
; NumVGPRsForWavesPerEU: 28
; Occupancy: 9
; WaveLimiterHint : 0
; COMPUTE_PGM_RSRC2:SCRATCH_EN: 0
; COMPUTE_PGM_RSRC2:USER_SGPR: 6
; COMPUTE_PGM_RSRC2:TRAP_HANDLER: 0
; COMPUTE_PGM_RSRC2:TGID_X_EN: 1
; COMPUTE_PGM_RSRC2:TGID_Y_EN: 0
; COMPUTE_PGM_RSRC2:TGID_Z_EN: 0
; COMPUTE_PGM_RSRC2:TIDIG_COMP_CNT: 0
	.section	.text._ZN2at6native16triu_tril_kernelIbiLb1ELi4ELb0EEEvNS_4cuda6detail10TensorInfoIT_T0_EENS4_IKS5_S6_EEllS6_,"axG",@progbits,_ZN2at6native16triu_tril_kernelIbiLb1ELi4ELb0EEEvNS_4cuda6detail10TensorInfoIT_T0_EENS4_IKS5_S6_EEllS6_,comdat
	.protected	_ZN2at6native16triu_tril_kernelIbiLb1ELi4ELb0EEEvNS_4cuda6detail10TensorInfoIT_T0_EENS4_IKS5_S6_EEllS6_ ; -- Begin function _ZN2at6native16triu_tril_kernelIbiLb1ELi4ELb0EEEvNS_4cuda6detail10TensorInfoIT_T0_EENS4_IKS5_S6_EEllS6_
	.globl	_ZN2at6native16triu_tril_kernelIbiLb1ELi4ELb0EEEvNS_4cuda6detail10TensorInfoIT_T0_EENS4_IKS5_S6_EEllS6_
	.p2align	8
	.type	_ZN2at6native16triu_tril_kernelIbiLb1ELi4ELb0EEEvNS_4cuda6detail10TensorInfoIT_T0_EENS4_IKS5_S6_EEllS6_,@function
_ZN2at6native16triu_tril_kernelIbiLb1ELi4ELb0EEEvNS_4cuda6detail10TensorInfoIT_T0_EENS4_IKS5_S6_EEllS6_: ; @_ZN2at6native16triu_tril_kernelIbiLb1ELi4ELb0EEEvNS_4cuda6detail10TensorInfoIT_T0_EENS4_IKS5_S6_EEllS6_
; %bb.0:
	s_load_dword s2, s[4:5], 0x1d4
	s_load_dwordx4 s[12:15], s[4:5], 0x1b0
	s_add_u32 s0, s4, 0x1c8
	v_mov_b32_e32 v2, 0
	s_addc_u32 s1, s5, 0
	s_waitcnt lgkmcnt(0)
	s_and_b32 s2, s2, 0xffff
	v_mov_b32_e32 v1, v2
	v_mov_b32_e32 v3, s6
	v_mad_u64_u32 v[0:1], s[6:7], s2, v3, v[0:1]
	v_lshlrev_b64 v[0:1], 2, v[0:1]
	v_cmp_gt_i64_e32 vcc, s[14:15], v[0:1]
	s_and_saveexec_b64 s[6:7], vcc
	s_cbranch_execz .LBB101_54
; %bb.1:
	s_load_dword s33, s[4:5], 0x1c0
	s_load_dwordx2 s[16:17], s[4:5], 0xd8
	s_load_dwordx2 s[26:27], s[4:5], 0x0
	s_load_dword s6, s[4:5], 0x1a8
	s_load_dword s3, s[0:1], 0x0
	s_add_u32 s42, s4, 0xd8
	s_addc_u32 s43, s5, 0
	s_waitcnt lgkmcnt(0)
	s_ashr_i32 s44, s33, 31
	s_ashr_i32 s7, s6, 31
	s_lshl_b64 s[0:1], s[6:7], 2
	s_add_u32 s8, s42, s0
	s_addc_u32 s9, s43, s1
	s_load_dwordx2 s[18:19], s[8:9], 0x0
	s_load_dwordx2 s[22:23], s[8:9], 0x64
	s_mul_i32 s3, s3, s2
	v_cmp_gt_i64_e64 s[20:21], s[6:7], 2
	s_mov_b32 s29, 0
	s_waitcnt lgkmcnt(0)
	s_ashr_i32 s45, s18, 31
	s_add_u32 s0, s4, s0
	s_addc_u32 s1, s5, s1
	s_load_dwordx2 s[24:25], s[0:1], 0x64
	s_add_i32 s46, s6, -3
	s_lshl_b32 s47, s3, 2
	s_and_b32 s48, s6, 3
	s_cmp_lg_u32 s48, 2
	s_cselect_b64 s[30:31], -1, 0
	s_cmp_gt_u32 s46, 2
	s_cselect_b64 s[34:35], -1, 0
	s_ashr_i32 s49, s23, 31
	s_mov_b32 s50, s23
	s_add_i32 s23, s23, s23
	s_waitcnt lgkmcnt(0)
	s_ashr_i32 s51, s25, 31
	s_mov_b32 s52, s25
	s_add_i32 s25, s25, s25
	s_mov_b64 s[36:37], 0
	s_ashr_i32 s38, s44, 31
	s_branch .LBB101_3
.LBB101_2:                              ;   in Loop: Header=BB101_3 Depth=1
	s_or_b64 exec, exec, s[0:1]
	v_add_co_u32_e32 v0, vcc, s47, v0
	v_addc_co_u32_e32 v1, vcc, 0, v1, vcc
	v_cmp_le_i64_e32 vcc, s[14:15], v[0:1]
	s_or_b64 s[36:37], vcc, s[36:37]
	s_andn2_b64 exec, exec, s[36:37]
	s_cbranch_execz .LBB101_54
.LBB101_3:                              ; =>This Loop Header: Depth=1
                                        ;     Child Loop BB101_13 Depth 2
                                        ;     Child Loop BB101_21 Depth 2
	v_or_b32_e32 v3, s44, v1
	v_cmp_ne_u64_e32 vcc, 0, v[2:3]
                                        ; implicit-def: $vgpr4_vgpr5
	s_and_saveexec_b64 s[0:1], vcc
	s_xor_b64 s[2:3], exec, s[0:1]
	s_cbranch_execz .LBB101_5
; %bb.4:                                ;   in Loop: Header=BB101_3 Depth=1
	s_add_u32 s0, s33, s38
	s_mov_b32 s39, s38
	s_addc_u32 s1, s44, s38
	s_xor_b64 s[6:7], s[0:1], s[38:39]
	v_cvt_f32_u32_e32 v3, s6
	v_cvt_f32_u32_e32 v4, s7
	s_sub_u32 s8, 0, s6
	s_subb_u32 s9, 0, s7
	v_ashrrev_i32_e32 v7, 31, v1
	v_mac_f32_e32 v3, 0x4f800000, v4
	v_rcp_f32_e32 v3, v3
	v_mul_f32_e32 v3, 0x5f7ffffc, v3
	v_mul_f32_e32 v4, 0x2f800000, v3
	v_trunc_f32_e32 v4, v4
	v_mac_f32_e32 v3, 0xcf800000, v4
	v_cvt_u32_f32_e32 v4, v4
	v_cvt_u32_f32_e32 v3, v3
	v_readfirstlane_b32 s10, v4
	v_readfirstlane_b32 s0, v3
	s_mul_i32 s1, s8, s10
	s_mul_hi_u32 s28, s8, s0
	s_mul_i32 s11, s9, s0
	s_add_i32 s1, s28, s1
	s_add_i32 s1, s1, s11
	s_mul_i32 s39, s8, s0
	s_mul_i32 s28, s0, s1
	s_mul_hi_u32 s40, s0, s39
	s_mul_hi_u32 s11, s0, s1
	s_add_u32 s28, s40, s28
	s_addc_u32 s11, 0, s11
	s_mul_hi_u32 s41, s10, s39
	s_mul_i32 s39, s10, s39
	s_add_u32 s28, s28, s39
	s_mul_hi_u32 s40, s10, s1
	s_addc_u32 s11, s11, s41
	s_addc_u32 s28, s40, 0
	s_mul_i32 s1, s10, s1
	s_add_u32 s1, s11, s1
	s_addc_u32 s11, 0, s28
	s_add_u32 s28, s0, s1
	s_cselect_b64 s[0:1], -1, 0
	s_cmp_lg_u64 s[0:1], 0
	s_addc_u32 s10, s10, s11
	s_mul_i32 s0, s8, s10
	s_mul_hi_u32 s1, s8, s28
	s_add_i32 s0, s1, s0
	s_mul_i32 s9, s9, s28
	s_add_i32 s0, s0, s9
	s_mul_i32 s8, s8, s28
	s_mul_hi_u32 s9, s10, s8
	s_mul_i32 s11, s10, s8
	s_mul_i32 s40, s28, s0
	s_mul_hi_u32 s8, s28, s8
	s_mul_hi_u32 s39, s28, s0
	s_add_u32 s8, s8, s40
	s_addc_u32 s39, 0, s39
	s_add_u32 s8, s8, s11
	s_mul_hi_u32 s1, s10, s0
	s_addc_u32 s8, s39, s9
	s_addc_u32 s1, s1, 0
	s_mul_i32 s0, s10, s0
	s_add_u32 s0, s8, s0
	s_addc_u32 s8, 0, s1
	s_add_u32 s9, s28, s0
	s_cselect_b64 s[0:1], -1, 0
	s_cmp_lg_u64 s[0:1], 0
	v_add_co_u32_e32 v3, vcc, v0, v7
	s_addc_u32 s8, s10, s8
	v_xor_b32_e32 v8, v3, v7
	v_mad_u64_u32 v[3:4], s[0:1], v8, s8, 0
	v_mul_hi_u32 v6, v8, s9
	v_addc_co_u32_e32 v5, vcc, v1, v7, vcc
	v_xor_b32_e32 v9, v5, v7
	v_add_co_u32_e32 v10, vcc, v6, v3
	v_addc_co_u32_e32 v11, vcc, 0, v4, vcc
	v_mad_u64_u32 v[3:4], s[0:1], v9, s9, 0
	v_mad_u64_u32 v[5:6], s[0:1], v9, s8, 0
	v_add_co_u32_e32 v3, vcc, v10, v3
	v_addc_co_u32_e32 v3, vcc, v11, v4, vcc
	v_addc_co_u32_e32 v4, vcc, 0, v6, vcc
	v_add_co_u32_e32 v5, vcc, v3, v5
	v_addc_co_u32_e32 v6, vcc, 0, v4, vcc
	v_mul_lo_u32 v10, s7, v5
	v_mul_lo_u32 v11, s6, v6
	v_mad_u64_u32 v[3:4], s[0:1], s6, v5, 0
	v_add3_u32 v4, v4, v11, v10
	v_sub_u32_e32 v10, v9, v4
	v_mov_b32_e32 v11, s7
	v_sub_co_u32_e32 v3, vcc, v8, v3
	v_subb_co_u32_e64 v8, s[0:1], v10, v11, vcc
	v_subrev_co_u32_e64 v10, s[0:1], s6, v3
	v_subbrev_co_u32_e64 v8, s[0:1], 0, v8, s[0:1]
	v_cmp_le_u32_e64 s[0:1], s7, v8
	v_cndmask_b32_e64 v11, 0, -1, s[0:1]
	v_cmp_le_u32_e64 s[0:1], s6, v10
	v_cndmask_b32_e64 v10, 0, -1, s[0:1]
	v_cmp_eq_u32_e64 s[0:1], s7, v8
	v_cndmask_b32_e64 v8, v11, v10, s[0:1]
	v_add_co_u32_e64 v10, s[0:1], 2, v5
	v_subb_co_u32_e32 v4, vcc, v9, v4, vcc
	v_addc_co_u32_e64 v11, s[0:1], 0, v6, s[0:1]
	v_cmp_le_u32_e32 vcc, s7, v4
	v_add_co_u32_e64 v12, s[0:1], 1, v5
	v_cndmask_b32_e64 v9, 0, -1, vcc
	v_cmp_le_u32_e32 vcc, s6, v3
	v_addc_co_u32_e64 v13, s[0:1], 0, v6, s[0:1]
	v_cndmask_b32_e64 v3, 0, -1, vcc
	v_cmp_eq_u32_e32 vcc, s7, v4
	v_cmp_ne_u32_e64 s[0:1], 0, v8
	v_cndmask_b32_e32 v3, v9, v3, vcc
	v_cmp_ne_u32_e32 vcc, 0, v3
	v_cndmask_b32_e64 v4, v12, v10, s[0:1]
	v_cndmask_b32_e64 v8, v13, v11, s[0:1]
	v_cndmask_b32_e32 v4, v5, v4, vcc
	v_xor_b32_e32 v5, s38, v7
	v_cndmask_b32_e32 v3, v6, v8, vcc
	v_xor_b32_e32 v4, v4, v5
	v_xor_b32_e32 v3, v3, v5
	v_sub_co_u32_e32 v4, vcc, v4, v5
	v_subb_co_u32_e32 v5, vcc, v3, v5, vcc
.LBB101_5:                              ;   in Loop: Header=BB101_3 Depth=1
	s_andn2_saveexec_b64 s[0:1], s[2:3]
	s_cbranch_execz .LBB101_7
; %bb.6:                                ;   in Loop: Header=BB101_3 Depth=1
	v_cvt_f32_u32_e32 v3, s33
	s_sub_i32 s2, 0, s33
	v_rcp_iflag_f32_e32 v3, v3
	v_mul_f32_e32 v3, 0x4f7ffffe, v3
	v_cvt_u32_f32_e32 v3, v3
	v_mul_lo_u32 v4, s2, v3
	v_mul_hi_u32 v4, v3, v4
	v_add_u32_e32 v3, v3, v4
	v_mul_hi_u32 v3, v0, v3
	v_mul_lo_u32 v4, v3, s33
	v_add_u32_e32 v5, 1, v3
	v_sub_u32_e32 v4, v0, v4
	v_subrev_u32_e32 v6, s33, v4
	v_cmp_le_u32_e32 vcc, s33, v4
	v_cndmask_b32_e32 v4, v4, v6, vcc
	v_cndmask_b32_e32 v3, v3, v5, vcc
	v_add_u32_e32 v5, 1, v3
	v_cmp_le_u32_e32 vcc, s33, v4
	v_cndmask_b32_e32 v4, v3, v5, vcc
	v_mov_b32_e32 v5, v2
.LBB101_7:                              ;   in Loop: Header=BB101_3 Depth=1
	s_or_b64 exec, exec, s[0:1]
	v_or_b32_e32 v3, s45, v5
	v_cmp_ne_u64_e32 vcc, 0, v[2:3]
                                        ; implicit-def: $vgpr8_vgpr9
	s_and_saveexec_b64 s[0:1], vcc
	s_xor_b64 s[2:3], exec, s[0:1]
	s_cbranch_execz .LBB101_9
; %bb.8:                                ;   in Loop: Header=BB101_3 Depth=1
	s_ashr_i32 s6, s45, 31
	s_add_u32 s0, s18, s6
	s_mov_b32 s7, s6
	s_addc_u32 s1, s45, s6
	s_xor_b64 s[8:9], s[0:1], s[6:7]
	v_cvt_f32_u32_e32 v3, s8
	v_cvt_f32_u32_e32 v6, s9
	s_sub_u32 s7, 0, s8
	s_subb_u32 s10, 0, s9
	v_mac_f32_e32 v3, 0x4f800000, v6
	v_rcp_f32_e32 v3, v3
	v_mul_f32_e32 v3, 0x5f7ffffc, v3
	v_mul_f32_e32 v6, 0x2f800000, v3
	v_trunc_f32_e32 v6, v6
	v_mac_f32_e32 v3, 0xcf800000, v6
	v_cvt_u32_f32_e32 v6, v6
	v_cvt_u32_f32_e32 v3, v3
	v_readfirstlane_b32 s11, v6
	v_readfirstlane_b32 s0, v3
	s_mul_i32 s1, s7, s11
	s_mul_hi_u32 s39, s7, s0
	s_mul_i32 s28, s10, s0
	s_add_i32 s1, s39, s1
	s_add_i32 s1, s1, s28
	s_mul_i32 s40, s7, s0
	s_mul_i32 s39, s0, s1
	s_mul_hi_u32 s41, s0, s40
	s_mul_hi_u32 s28, s0, s1
	s_add_u32 s39, s41, s39
	s_addc_u32 s28, 0, s28
	s_mul_hi_u32 s53, s11, s40
	s_mul_i32 s40, s11, s40
	s_add_u32 s39, s39, s40
	s_mul_hi_u32 s41, s11, s1
	s_addc_u32 s28, s28, s53
	s_addc_u32 s39, s41, 0
	s_mul_i32 s1, s11, s1
	s_add_u32 s1, s28, s1
	s_addc_u32 s28, 0, s39
	s_add_u32 s39, s0, s1
	s_cselect_b64 s[0:1], -1, 0
	s_cmp_lg_u64 s[0:1], 0
	s_addc_u32 s11, s11, s28
	s_mul_i32 s0, s7, s11
	s_mul_hi_u32 s1, s7, s39
	s_add_i32 s0, s1, s0
	s_mul_i32 s10, s10, s39
	s_add_i32 s0, s0, s10
	s_mul_i32 s7, s7, s39
	s_mul_hi_u32 s10, s11, s7
	s_mul_i32 s28, s11, s7
	s_mul_i32 s41, s39, s0
	s_mul_hi_u32 s7, s39, s7
	s_mul_hi_u32 s40, s39, s0
	s_add_u32 s7, s7, s41
	s_addc_u32 s40, 0, s40
	s_add_u32 s7, s7, s28
	s_mul_hi_u32 s1, s11, s0
	s_addc_u32 s7, s40, s10
	s_addc_u32 s1, s1, 0
	s_mul_i32 s0, s11, s0
	s_add_u32 s0, s7, s0
	s_addc_u32 s7, 0, s1
	s_add_u32 s10, s39, s0
	s_cselect_b64 s[0:1], -1, 0
	v_ashrrev_i32_e32 v3, 31, v5
	s_cmp_lg_u64 s[0:1], 0
	v_add_co_u32_e32 v6, vcc, v4, v3
	s_addc_u32 s7, s11, s7
	v_xor_b32_e32 v9, v6, v3
	v_addc_co_u32_e32 v7, vcc, v5, v3, vcc
	v_mad_u64_u32 v[5:6], s[0:1], v9, s7, 0
	v_mul_hi_u32 v8, v9, s10
	v_xor_b32_e32 v10, v7, v3
	v_xor_b32_e32 v3, s6, v3
	v_add_co_u32_e32 v11, vcc, v8, v5
	v_addc_co_u32_e32 v12, vcc, 0, v6, vcc
	v_mad_u64_u32 v[5:6], s[0:1], v10, s10, 0
	v_mad_u64_u32 v[7:8], s[0:1], v10, s7, 0
	v_add_co_u32_e32 v5, vcc, v11, v5
	v_addc_co_u32_e32 v5, vcc, v12, v6, vcc
	v_addc_co_u32_e32 v6, vcc, 0, v8, vcc
	v_add_co_u32_e32 v7, vcc, v5, v7
	v_addc_co_u32_e32 v8, vcc, 0, v6, vcc
	v_mul_lo_u32 v11, s9, v7
	v_mul_lo_u32 v12, s8, v8
	v_mad_u64_u32 v[5:6], s[0:1], s8, v7, 0
	v_add3_u32 v6, v6, v12, v11
	v_sub_u32_e32 v11, v10, v6
	v_mov_b32_e32 v12, s9
	v_sub_co_u32_e32 v5, vcc, v9, v5
	v_subb_co_u32_e64 v9, s[0:1], v11, v12, vcc
	v_subrev_co_u32_e64 v11, s[0:1], s8, v5
	v_subbrev_co_u32_e64 v9, s[0:1], 0, v9, s[0:1]
	v_cmp_le_u32_e64 s[0:1], s9, v9
	v_cndmask_b32_e64 v12, 0, -1, s[0:1]
	v_cmp_le_u32_e64 s[0:1], s8, v11
	v_cndmask_b32_e64 v11, 0, -1, s[0:1]
	v_cmp_eq_u32_e64 s[0:1], s9, v9
	v_cndmask_b32_e64 v9, v12, v11, s[0:1]
	v_add_co_u32_e64 v11, s[0:1], 2, v7
	v_subb_co_u32_e32 v6, vcc, v10, v6, vcc
	v_addc_co_u32_e64 v12, s[0:1], 0, v8, s[0:1]
	v_cmp_le_u32_e32 vcc, s9, v6
	v_add_co_u32_e64 v13, s[0:1], 1, v7
	v_cndmask_b32_e64 v10, 0, -1, vcc
	v_cmp_le_u32_e32 vcc, s8, v5
	v_addc_co_u32_e64 v14, s[0:1], 0, v8, s[0:1]
	v_cndmask_b32_e64 v5, 0, -1, vcc
	v_cmp_eq_u32_e32 vcc, s9, v6
	v_cmp_ne_u32_e64 s[0:1], 0, v9
	v_cndmask_b32_e32 v5, v10, v5, vcc
	v_cmp_ne_u32_e32 vcc, 0, v5
	v_cndmask_b32_e64 v6, v13, v11, s[0:1]
	v_cndmask_b32_e64 v9, v14, v12, s[0:1]
	v_cndmask_b32_e32 v6, v7, v6, vcc
	v_cndmask_b32_e32 v5, v8, v9, vcc
	v_xor_b32_e32 v6, v6, v3
	v_xor_b32_e32 v5, v5, v3
	v_sub_co_u32_e32 v8, vcc, v6, v3
	v_subb_co_u32_e32 v9, vcc, v5, v3, vcc
.LBB101_9:                              ;   in Loop: Header=BB101_3 Depth=1
	s_andn2_saveexec_b64 s[0:1], s[2:3]
	s_cbranch_execz .LBB101_11
; %bb.10:                               ;   in Loop: Header=BB101_3 Depth=1
	v_cvt_f32_u32_e32 v3, s18
	s_sub_i32 s2, 0, s18
	v_mov_b32_e32 v9, v2
	v_rcp_iflag_f32_e32 v3, v3
	v_mul_f32_e32 v3, 0x4f7ffffe, v3
	v_cvt_u32_f32_e32 v3, v3
	v_mul_lo_u32 v5, s2, v3
	v_mul_hi_u32 v5, v3, v5
	v_add_u32_e32 v3, v3, v5
	v_mul_hi_u32 v3, v4, v3
	v_mul_lo_u32 v5, v3, s18
	v_add_u32_e32 v6, 1, v3
	v_sub_u32_e32 v5, v4, v5
	v_subrev_u32_e32 v7, s18, v5
	v_cmp_le_u32_e32 vcc, s18, v5
	v_cndmask_b32_e32 v5, v5, v7, vcc
	v_cndmask_b32_e32 v3, v3, v6, vcc
	v_add_u32_e32 v6, 1, v3
	v_cmp_le_u32_e32 vcc, s18, v5
	v_cndmask_b32_e32 v8, v3, v6, vcc
.LBB101_11:                             ;   in Loop: Header=BB101_3 Depth=1
	s_or_b64 exec, exec, s[0:1]
	v_mad_u64_u32 v[5:6], s[0:1], v4, s33, 0
	v_mad_u64_u32 v[6:7], s[0:1], v8, s18, 0
	v_sub_co_u32_e32 v18, vcc, v0, v5
	v_mul_lo_u32 v3, s50, v18
	v_sub_co_u32_e32 v19, vcc, v4, v6
	v_mul_lo_u32 v4, s52, v18
	s_andn2_b64 vcc, exec, s[20:21]
	v_mad_u64_u32 v[6:7], s[0:1], s22, v19, v[3:4]
	v_mad_u64_u32 v[4:5], s[0:1], s24, v19, v[4:5]
	s_cbranch_vccnz .LBB101_39
; %bb.12:                               ;   in Loop: Header=BB101_3 Depth=1
	s_mov_b32 s39, 1
	s_andn2_b64 vcc, exec, s[30:31]
	s_mov_b32 s28, s46
	s_mov_b32 s0, s46
	s_cbranch_vccnz .LBB101_20
.LBB101_13:                             ;   Parent Loop BB101_3 Depth=1
                                        ; =>  This Inner Loop Header: Depth=2
	s_lshl_b64 s[2:3], s[28:29], 2
	s_add_u32 s6, s42, s2
	s_addc_u32 s7, s43, s3
	s_load_dword s53, s[6:7], 0x8
                                        ; implicit-def: $vgpr10_vgpr11
	s_waitcnt lgkmcnt(0)
	s_ashr_i32 s0, s53, 31
	v_or_b32_e32 v3, s0, v9
	v_cmp_ne_u64_e32 vcc, 0, v[2:3]
	s_and_saveexec_b64 s[8:9], vcc
	s_xor_b64 s[8:9], exec, s[8:9]
	s_cbranch_execz .LBB101_15
; %bb.14:                               ;   in Loop: Header=BB101_13 Depth=2
	s_ashr_i32 s10, s0, 31
	s_add_u32 s40, s53, s10
	s_mov_b32 s11, s10
	s_addc_u32 s41, s0, s10
	s_xor_b64 s[40:41], s[40:41], s[10:11]
	v_cvt_f32_u32_e32 v3, s40
	v_cvt_f32_u32_e32 v5, s41
	s_sub_u32 s11, 0, s40
	s_subb_u32 s54, 0, s41
	v_mac_f32_e32 v3, 0x4f800000, v5
	v_rcp_f32_e32 v3, v3
	v_mul_f32_e32 v3, 0x5f7ffffc, v3
	v_mul_f32_e32 v5, 0x2f800000, v3
	v_trunc_f32_e32 v5, v5
	v_mac_f32_e32 v3, 0xcf800000, v5
	v_cvt_u32_f32_e32 v5, v5
	v_cvt_u32_f32_e32 v3, v3
	v_readfirstlane_b32 s55, v5
	v_readfirstlane_b32 s0, v3
	s_mul_i32 s1, s11, s55
	s_mul_hi_u32 s57, s11, s0
	s_mul_i32 s56, s54, s0
	s_add_i32 s1, s57, s1
	s_add_i32 s1, s1, s56
	s_mul_i32 s58, s11, s0
	s_mul_i32 s57, s0, s1
	s_mul_hi_u32 s59, s0, s58
	s_mul_hi_u32 s56, s0, s1
	s_add_u32 s57, s59, s57
	s_addc_u32 s56, 0, s56
	s_mul_hi_u32 s60, s55, s58
	s_mul_i32 s58, s55, s58
	s_add_u32 s57, s57, s58
	s_mul_hi_u32 s59, s55, s1
	s_addc_u32 s56, s56, s60
	s_addc_u32 s57, s59, 0
	s_mul_i32 s1, s55, s1
	s_add_u32 s1, s56, s1
	s_addc_u32 s56, 0, s57
	s_add_u32 s57, s0, s1
	s_cselect_b64 s[0:1], -1, 0
	s_cmp_lg_u64 s[0:1], 0
	s_addc_u32 s55, s55, s56
	s_mul_i32 s0, s11, s55
	s_mul_hi_u32 s1, s11, s57
	s_add_i32 s0, s1, s0
	s_mul_i32 s54, s54, s57
	s_add_i32 s0, s0, s54
	s_mul_i32 s11, s11, s57
	s_mul_hi_u32 s54, s55, s11
	s_mul_i32 s56, s55, s11
	s_mul_i32 s59, s57, s0
	s_mul_hi_u32 s11, s57, s11
	s_mul_hi_u32 s58, s57, s0
	s_add_u32 s11, s11, s59
	s_addc_u32 s58, 0, s58
	s_add_u32 s11, s11, s56
	s_mul_hi_u32 s1, s55, s0
	s_addc_u32 s11, s58, s54
	s_addc_u32 s1, s1, 0
	s_mul_i32 s0, s55, s0
	s_add_u32 s0, s11, s0
	s_addc_u32 s11, 0, s1
	s_add_u32 s54, s57, s0
	s_cselect_b64 s[0:1], -1, 0
	v_ashrrev_i32_e32 v3, 31, v9
	s_cmp_lg_u64 s[0:1], 0
	v_add_co_u32_e32 v5, vcc, v8, v3
	s_addc_u32 s11, s55, s11
	v_xor_b32_e32 v5, v5, v3
	v_addc_co_u32_e32 v7, vcc, v9, v3, vcc
	v_mad_u64_u32 v[9:10], s[0:1], v5, s11, 0
	v_mul_hi_u32 v11, v5, s54
	v_xor_b32_e32 v7, v7, v3
	v_xor_b32_e32 v3, s10, v3
	v_add_co_u32_e32 v13, vcc, v11, v9
	v_addc_co_u32_e32 v14, vcc, 0, v10, vcc
	v_mad_u64_u32 v[9:10], s[0:1], v7, s54, 0
	v_mad_u64_u32 v[11:12], s[0:1], v7, s11, 0
	v_add_co_u32_e32 v9, vcc, v13, v9
	v_addc_co_u32_e32 v9, vcc, v14, v10, vcc
	v_addc_co_u32_e32 v10, vcc, 0, v12, vcc
	v_add_co_u32_e32 v11, vcc, v9, v11
	v_addc_co_u32_e32 v12, vcc, 0, v10, vcc
	v_mul_lo_u32 v13, s41, v11
	v_mul_lo_u32 v14, s40, v12
	v_mad_u64_u32 v[9:10], s[0:1], s40, v11, 0
	v_add3_u32 v10, v10, v14, v13
	v_sub_u32_e32 v13, v7, v10
	v_mov_b32_e32 v14, s41
	v_sub_co_u32_e32 v5, vcc, v5, v9
	v_subb_co_u32_e64 v9, s[0:1], v13, v14, vcc
	v_subrev_co_u32_e64 v13, s[0:1], s40, v5
	v_subbrev_co_u32_e64 v9, s[0:1], 0, v9, s[0:1]
	v_cmp_le_u32_e64 s[0:1], s41, v9
	v_cndmask_b32_e64 v14, 0, -1, s[0:1]
	v_cmp_le_u32_e64 s[0:1], s40, v13
	v_cndmask_b32_e64 v13, 0, -1, s[0:1]
	v_cmp_eq_u32_e64 s[0:1], s41, v9
	v_cndmask_b32_e64 v9, v14, v13, s[0:1]
	v_add_co_u32_e64 v13, s[0:1], 2, v11
	v_subb_co_u32_e32 v7, vcc, v7, v10, vcc
	v_addc_co_u32_e64 v14, s[0:1], 0, v12, s[0:1]
	v_cmp_le_u32_e32 vcc, s41, v7
	v_add_co_u32_e64 v15, s[0:1], 1, v11
	v_cndmask_b32_e64 v10, 0, -1, vcc
	v_cmp_le_u32_e32 vcc, s40, v5
	v_addc_co_u32_e64 v16, s[0:1], 0, v12, s[0:1]
	v_cndmask_b32_e64 v5, 0, -1, vcc
	v_cmp_eq_u32_e32 vcc, s41, v7
	v_cmp_ne_u32_e64 s[0:1], 0, v9
	v_cndmask_b32_e32 v5, v10, v5, vcc
	v_cmp_ne_u32_e32 vcc, 0, v5
	v_cndmask_b32_e64 v7, v15, v13, s[0:1]
	v_cndmask_b32_e64 v9, v16, v14, s[0:1]
	v_cndmask_b32_e32 v7, v11, v7, vcc
	v_cndmask_b32_e32 v5, v12, v9, vcc
	v_xor_b32_e32 v7, v7, v3
	v_xor_b32_e32 v5, v5, v3
	v_sub_co_u32_e32 v10, vcc, v7, v3
	v_subb_co_u32_e32 v11, vcc, v5, v3, vcc
.LBB101_15:                             ;   in Loop: Header=BB101_13 Depth=2
	s_andn2_saveexec_b64 s[0:1], s[8:9]
	s_cbranch_execz .LBB101_17
; %bb.16:                               ;   in Loop: Header=BB101_13 Depth=2
	v_cvt_f32_u32_e32 v3, s53
	s_sub_i32 s8, 0, s53
	v_mov_b32_e32 v11, v2
	v_rcp_iflag_f32_e32 v3, v3
	v_mul_f32_e32 v3, 0x4f7ffffe, v3
	v_cvt_u32_f32_e32 v3, v3
	v_mul_lo_u32 v5, s8, v3
	v_mul_hi_u32 v5, v3, v5
	v_add_u32_e32 v3, v3, v5
	v_mul_hi_u32 v3, v8, v3
	v_mul_lo_u32 v5, v3, s53
	v_add_u32_e32 v7, 1, v3
	v_sub_u32_e32 v5, v8, v5
	v_subrev_u32_e32 v9, s53, v5
	v_cmp_le_u32_e32 vcc, s53, v5
	v_cndmask_b32_e32 v5, v5, v9, vcc
	v_cndmask_b32_e32 v3, v3, v7, vcc
	v_add_u32_e32 v7, 1, v3
	v_cmp_le_u32_e32 vcc, s53, v5
	v_cndmask_b32_e32 v10, v3, v7, vcc
.LBB101_17:                             ;   in Loop: Header=BB101_13 Depth=2
	s_or_b64 exec, exec, s[0:1]
	s_add_u32 s0, s4, s2
	s_addc_u32 s1, s5, s3
	v_mul_lo_u32 v3, v10, s53
	s_load_dword s6, s[6:7], 0x6c
	s_add_i32 s28, s28, -1
	s_load_dword s2, s[0:1], 0x6c
	v_sub_u32_e32 v3, v8, v3
	s_waitcnt lgkmcnt(0)
	v_mad_u64_u32 v[6:7], s[0:1], s6, v3, v[6:7]
	v_mad_u64_u32 v[4:5], s[0:1], s2, v3, v[4:5]
	s_xor_b32 s0, s48, s39
	s_add_i32 s39, s39, 1
	s_cmp_lg_u32 s0, 2
	s_cbranch_scc0 .LBB101_19
; %bb.18:                               ;   in Loop: Header=BB101_13 Depth=2
	v_mov_b32_e32 v8, v10
	v_mov_b32_e32 v9, v11
	s_branch .LBB101_13
.LBB101_19:                             ;   in Loop: Header=BB101_3 Depth=1
	v_mov_b32_e32 v8, v10
	s_mov_b32 s0, s28
	v_mov_b32_e32 v9, v11
.LBB101_20:                             ;   in Loop: Header=BB101_3 Depth=1
	s_and_b64 vcc, exec, s[34:35]
	s_mov_b32 s28, s0
	s_cbranch_vccz .LBB101_39
.LBB101_21:                             ;   Parent Loop BB101_3 Depth=1
                                        ; =>  This Inner Loop Header: Depth=2
	s_lshl_b64 s[2:3], s[28:29], 2
	s_add_u32 s6, s42, s2
	s_addc_u32 s7, s43, s3
	s_load_dword s39, s[6:7], 0x8
                                        ; implicit-def: $vgpr10_vgpr11
	s_waitcnt lgkmcnt(0)
	s_ashr_i32 s0, s39, 31
	v_or_b32_e32 v3, s0, v9
	v_cmp_ne_u64_e32 vcc, 0, v[2:3]
	s_and_saveexec_b64 s[8:9], vcc
	s_xor_b64 s[8:9], exec, s[8:9]
	s_cbranch_execz .LBB101_23
; %bb.22:                               ;   in Loop: Header=BB101_21 Depth=2
	s_ashr_i32 s10, s0, 31
	s_add_u32 s40, s39, s10
	s_mov_b32 s11, s10
	s_addc_u32 s41, s0, s10
	s_xor_b64 s[40:41], s[40:41], s[10:11]
	v_cvt_f32_u32_e32 v3, s40
	v_cvt_f32_u32_e32 v5, s41
	s_sub_u32 s11, 0, s40
	s_subb_u32 s53, 0, s41
	v_mac_f32_e32 v3, 0x4f800000, v5
	v_rcp_f32_e32 v3, v3
	v_mul_f32_e32 v3, 0x5f7ffffc, v3
	v_mul_f32_e32 v5, 0x2f800000, v3
	v_trunc_f32_e32 v5, v5
	v_mac_f32_e32 v3, 0xcf800000, v5
	v_cvt_u32_f32_e32 v5, v5
	v_cvt_u32_f32_e32 v3, v3
	v_readfirstlane_b32 s54, v5
	v_readfirstlane_b32 s0, v3
	s_mul_i32 s1, s11, s54
	s_mul_hi_u32 s56, s11, s0
	s_mul_i32 s55, s53, s0
	s_add_i32 s1, s56, s1
	s_add_i32 s1, s1, s55
	s_mul_i32 s57, s11, s0
	s_mul_i32 s56, s0, s1
	s_mul_hi_u32 s58, s0, s57
	s_mul_hi_u32 s55, s0, s1
	s_add_u32 s56, s58, s56
	s_addc_u32 s55, 0, s55
	s_mul_hi_u32 s59, s54, s57
	s_mul_i32 s57, s54, s57
	s_add_u32 s56, s56, s57
	s_mul_hi_u32 s58, s54, s1
	s_addc_u32 s55, s55, s59
	s_addc_u32 s56, s58, 0
	s_mul_i32 s1, s54, s1
	s_add_u32 s1, s55, s1
	s_addc_u32 s55, 0, s56
	s_add_u32 s56, s0, s1
	s_cselect_b64 s[0:1], -1, 0
	s_cmp_lg_u64 s[0:1], 0
	s_addc_u32 s54, s54, s55
	s_mul_i32 s0, s11, s54
	s_mul_hi_u32 s1, s11, s56
	s_add_i32 s0, s1, s0
	s_mul_i32 s53, s53, s56
	s_add_i32 s0, s0, s53
	s_mul_i32 s11, s11, s56
	s_mul_hi_u32 s53, s54, s11
	s_mul_i32 s55, s54, s11
	s_mul_i32 s58, s56, s0
	s_mul_hi_u32 s11, s56, s11
	s_mul_hi_u32 s57, s56, s0
	s_add_u32 s11, s11, s58
	s_addc_u32 s57, 0, s57
	s_add_u32 s11, s11, s55
	s_mul_hi_u32 s1, s54, s0
	s_addc_u32 s11, s57, s53
	s_addc_u32 s1, s1, 0
	s_mul_i32 s0, s54, s0
	s_add_u32 s0, s11, s0
	s_addc_u32 s11, 0, s1
	s_add_u32 s53, s56, s0
	s_cselect_b64 s[0:1], -1, 0
	v_ashrrev_i32_e32 v3, 31, v9
	s_cmp_lg_u64 s[0:1], 0
	v_add_co_u32_e32 v5, vcc, v8, v3
	s_addc_u32 s11, s54, s11
	v_xor_b32_e32 v5, v5, v3
	v_addc_co_u32_e32 v7, vcc, v9, v3, vcc
	v_mad_u64_u32 v[9:10], s[0:1], v5, s11, 0
	v_mul_hi_u32 v11, v5, s53
	v_xor_b32_e32 v7, v7, v3
	v_xor_b32_e32 v3, s10, v3
	v_add_co_u32_e32 v13, vcc, v11, v9
	v_addc_co_u32_e32 v14, vcc, 0, v10, vcc
	v_mad_u64_u32 v[9:10], s[0:1], v7, s53, 0
	v_mad_u64_u32 v[11:12], s[0:1], v7, s11, 0
	v_add_co_u32_e32 v9, vcc, v13, v9
	v_addc_co_u32_e32 v9, vcc, v14, v10, vcc
	v_addc_co_u32_e32 v10, vcc, 0, v12, vcc
	v_add_co_u32_e32 v11, vcc, v9, v11
	v_addc_co_u32_e32 v12, vcc, 0, v10, vcc
	v_mul_lo_u32 v13, s41, v11
	v_mul_lo_u32 v14, s40, v12
	v_mad_u64_u32 v[9:10], s[0:1], s40, v11, 0
	v_add3_u32 v10, v10, v14, v13
	v_sub_u32_e32 v13, v7, v10
	v_mov_b32_e32 v14, s41
	v_sub_co_u32_e32 v5, vcc, v5, v9
	v_subb_co_u32_e64 v9, s[0:1], v13, v14, vcc
	v_subrev_co_u32_e64 v13, s[0:1], s40, v5
	v_subbrev_co_u32_e64 v9, s[0:1], 0, v9, s[0:1]
	v_cmp_le_u32_e64 s[0:1], s41, v9
	v_cndmask_b32_e64 v14, 0, -1, s[0:1]
	v_cmp_le_u32_e64 s[0:1], s40, v13
	v_cndmask_b32_e64 v13, 0, -1, s[0:1]
	v_cmp_eq_u32_e64 s[0:1], s41, v9
	v_cndmask_b32_e64 v9, v14, v13, s[0:1]
	v_add_co_u32_e64 v13, s[0:1], 2, v11
	v_subb_co_u32_e32 v7, vcc, v7, v10, vcc
	v_addc_co_u32_e64 v14, s[0:1], 0, v12, s[0:1]
	v_cmp_le_u32_e32 vcc, s41, v7
	v_add_co_u32_e64 v15, s[0:1], 1, v11
	v_cndmask_b32_e64 v10, 0, -1, vcc
	v_cmp_le_u32_e32 vcc, s40, v5
	v_addc_co_u32_e64 v16, s[0:1], 0, v12, s[0:1]
	v_cndmask_b32_e64 v5, 0, -1, vcc
	v_cmp_eq_u32_e32 vcc, s41, v7
	v_cmp_ne_u32_e64 s[0:1], 0, v9
	v_cndmask_b32_e32 v5, v10, v5, vcc
	v_cmp_ne_u32_e32 vcc, 0, v5
	v_cndmask_b32_e64 v7, v15, v13, s[0:1]
	v_cndmask_b32_e64 v9, v16, v14, s[0:1]
	v_cndmask_b32_e32 v7, v11, v7, vcc
	v_cndmask_b32_e32 v5, v12, v9, vcc
	v_xor_b32_e32 v7, v7, v3
	v_xor_b32_e32 v5, v5, v3
	v_sub_co_u32_e32 v10, vcc, v7, v3
	v_subb_co_u32_e32 v11, vcc, v5, v3, vcc
.LBB101_23:                             ;   in Loop: Header=BB101_21 Depth=2
	s_andn2_saveexec_b64 s[0:1], s[8:9]
	s_cbranch_execz .LBB101_25
; %bb.24:                               ;   in Loop: Header=BB101_21 Depth=2
	v_cvt_f32_u32_e32 v3, s39
	s_sub_i32 s8, 0, s39
	v_mov_b32_e32 v11, v2
	v_rcp_iflag_f32_e32 v3, v3
	v_mul_f32_e32 v3, 0x4f7ffffe, v3
	v_cvt_u32_f32_e32 v3, v3
	v_mul_lo_u32 v5, s8, v3
	v_mul_hi_u32 v5, v3, v5
	v_add_u32_e32 v3, v3, v5
	v_mul_hi_u32 v3, v8, v3
	v_mul_lo_u32 v5, v3, s39
	v_add_u32_e32 v7, 1, v3
	v_sub_u32_e32 v5, v8, v5
	v_subrev_u32_e32 v9, s39, v5
	v_cmp_le_u32_e32 vcc, s39, v5
	v_cndmask_b32_e32 v5, v5, v9, vcc
	v_cndmask_b32_e32 v3, v3, v7, vcc
	v_add_u32_e32 v7, 1, v3
	v_cmp_le_u32_e32 vcc, s39, v5
	v_cndmask_b32_e32 v10, v3, v7, vcc
.LBB101_25:                             ;   in Loop: Header=BB101_21 Depth=2
	s_or_b64 exec, exec, s[0:1]
	s_add_u32 s0, s4, s2
	s_addc_u32 s1, s5, s3
	s_add_i32 s2, s28, -1
	s_mov_b32 s3, s29
	s_lshl_b64 s[8:9], s[2:3], 2
	s_add_u32 s2, s42, s8
	s_addc_u32 s3, s43, s9
	s_load_dword s55, s[2:3], 0x8
	s_load_dword s54, s[6:7], 0x6c
	;; [unrolled: 1-line block ×3, first 2 shown]
                                        ; implicit-def: $vgpr12_vgpr13
	s_waitcnt lgkmcnt(0)
	s_ashr_i32 s0, s55, 31
	v_or_b32_e32 v3, s0, v11
	v_cmp_ne_u64_e32 vcc, 0, v[2:3]
	s_and_saveexec_b64 s[6:7], vcc
	s_xor_b64 s[6:7], exec, s[6:7]
	s_cbranch_execz .LBB101_27
; %bb.26:                               ;   in Loop: Header=BB101_21 Depth=2
	s_ashr_i32 s10, s0, 31
	s_add_u32 s40, s55, s10
	s_mov_b32 s11, s10
	s_addc_u32 s41, s0, s10
	s_xor_b64 s[40:41], s[40:41], s[10:11]
	v_cvt_f32_u32_e32 v3, s40
	v_cvt_f32_u32_e32 v5, s41
	s_sub_u32 s11, 0, s40
	s_subb_u32 s56, 0, s41
	v_mac_f32_e32 v3, 0x4f800000, v5
	v_rcp_f32_e32 v3, v3
	v_mul_f32_e32 v3, 0x5f7ffffc, v3
	v_mul_f32_e32 v5, 0x2f800000, v3
	v_trunc_f32_e32 v5, v5
	v_mac_f32_e32 v3, 0xcf800000, v5
	v_cvt_u32_f32_e32 v5, v5
	v_cvt_u32_f32_e32 v3, v3
	v_readfirstlane_b32 s57, v5
	v_readfirstlane_b32 s0, v3
	s_mul_i32 s1, s11, s57
	s_mul_hi_u32 s59, s11, s0
	s_mul_i32 s58, s56, s0
	s_add_i32 s1, s59, s1
	s_add_i32 s1, s1, s58
	s_mul_i32 s60, s11, s0
	s_mul_i32 s59, s0, s1
	s_mul_hi_u32 s61, s0, s60
	s_mul_hi_u32 s58, s0, s1
	s_add_u32 s59, s61, s59
	s_addc_u32 s58, 0, s58
	s_mul_hi_u32 s62, s57, s60
	s_mul_i32 s60, s57, s60
	s_add_u32 s59, s59, s60
	s_mul_hi_u32 s61, s57, s1
	s_addc_u32 s58, s58, s62
	s_addc_u32 s59, s61, 0
	s_mul_i32 s1, s57, s1
	s_add_u32 s1, s58, s1
	s_addc_u32 s58, 0, s59
	s_add_u32 s59, s0, s1
	s_cselect_b64 s[0:1], -1, 0
	s_cmp_lg_u64 s[0:1], 0
	s_addc_u32 s57, s57, s58
	s_mul_i32 s0, s11, s57
	s_mul_hi_u32 s1, s11, s59
	s_add_i32 s0, s1, s0
	s_mul_i32 s56, s56, s59
	s_add_i32 s0, s0, s56
	s_mul_i32 s11, s11, s59
	s_mul_hi_u32 s56, s57, s11
	s_mul_i32 s58, s57, s11
	s_mul_i32 s61, s59, s0
	s_mul_hi_u32 s11, s59, s11
	s_mul_hi_u32 s60, s59, s0
	s_add_u32 s11, s11, s61
	s_addc_u32 s60, 0, s60
	s_add_u32 s11, s11, s58
	s_mul_hi_u32 s1, s57, s0
	s_addc_u32 s11, s60, s56
	s_addc_u32 s1, s1, 0
	s_mul_i32 s0, s57, s0
	s_add_u32 s0, s11, s0
	s_addc_u32 s11, 0, s1
	s_add_u32 s56, s59, s0
	s_cselect_b64 s[0:1], -1, 0
	v_ashrrev_i32_e32 v3, 31, v11
	s_cmp_lg_u64 s[0:1], 0
	v_add_co_u32_e32 v5, vcc, v10, v3
	s_addc_u32 s11, s57, s11
	v_xor_b32_e32 v5, v5, v3
	v_addc_co_u32_e32 v7, vcc, v11, v3, vcc
	v_mad_u64_u32 v[11:12], s[0:1], v5, s11, 0
	v_mul_hi_u32 v9, v5, s56
	v_xor_b32_e32 v7, v7, v3
	v_mad_u64_u32 v[13:14], s[0:1], v7, s11, 0
	v_add_co_u32_e32 v9, vcc, v9, v11
	v_addc_co_u32_e32 v15, vcc, 0, v12, vcc
	v_mad_u64_u32 v[11:12], s[0:1], v7, s56, 0
	v_xor_b32_e32 v3, s10, v3
	v_add_co_u32_e32 v9, vcc, v9, v11
	v_addc_co_u32_e32 v9, vcc, v15, v12, vcc
	v_addc_co_u32_e32 v11, vcc, 0, v14, vcc
	v_add_co_u32_e32 v9, vcc, v9, v13
	v_addc_co_u32_e32 v13, vcc, 0, v11, vcc
	v_mul_lo_u32 v14, s41, v9
	v_mul_lo_u32 v15, s40, v13
	v_mad_u64_u32 v[11:12], s[0:1], s40, v9, 0
	v_add3_u32 v12, v12, v15, v14
	v_sub_u32_e32 v14, v7, v12
	v_mov_b32_e32 v15, s41
	v_sub_co_u32_e32 v5, vcc, v5, v11
	v_subb_co_u32_e64 v11, s[0:1], v14, v15, vcc
	v_subrev_co_u32_e64 v14, s[0:1], s40, v5
	v_subbrev_co_u32_e64 v11, s[0:1], 0, v11, s[0:1]
	v_cmp_le_u32_e64 s[0:1], s41, v11
	v_cndmask_b32_e64 v15, 0, -1, s[0:1]
	v_cmp_le_u32_e64 s[0:1], s40, v14
	v_cndmask_b32_e64 v14, 0, -1, s[0:1]
	v_cmp_eq_u32_e64 s[0:1], s41, v11
	v_cndmask_b32_e64 v11, v15, v14, s[0:1]
	v_add_co_u32_e64 v14, s[0:1], 2, v9
	v_subb_co_u32_e32 v7, vcc, v7, v12, vcc
	v_addc_co_u32_e64 v15, s[0:1], 0, v13, s[0:1]
	v_cmp_le_u32_e32 vcc, s41, v7
	v_add_co_u32_e64 v16, s[0:1], 1, v9
	v_cndmask_b32_e64 v12, 0, -1, vcc
	v_cmp_le_u32_e32 vcc, s40, v5
	v_addc_co_u32_e64 v17, s[0:1], 0, v13, s[0:1]
	v_cndmask_b32_e64 v5, 0, -1, vcc
	v_cmp_eq_u32_e32 vcc, s41, v7
	v_cmp_ne_u32_e64 s[0:1], 0, v11
	v_cndmask_b32_e32 v5, v12, v5, vcc
	v_cmp_ne_u32_e32 vcc, 0, v5
	v_cndmask_b32_e64 v7, v16, v14, s[0:1]
	v_cndmask_b32_e64 v11, v17, v15, s[0:1]
	v_cndmask_b32_e32 v7, v9, v7, vcc
	v_cndmask_b32_e32 v5, v13, v11, vcc
	v_xor_b32_e32 v7, v7, v3
	v_xor_b32_e32 v5, v5, v3
	v_sub_co_u32_e32 v12, vcc, v7, v3
	v_subb_co_u32_e32 v13, vcc, v5, v3, vcc
.LBB101_27:                             ;   in Loop: Header=BB101_21 Depth=2
	s_andn2_saveexec_b64 s[0:1], s[6:7]
	s_cbranch_execz .LBB101_29
; %bb.28:                               ;   in Loop: Header=BB101_21 Depth=2
	v_cvt_f32_u32_e32 v3, s55
	s_sub_i32 s6, 0, s55
	v_mov_b32_e32 v13, v2
	v_rcp_iflag_f32_e32 v3, v3
	v_mul_f32_e32 v3, 0x4f7ffffe, v3
	v_cvt_u32_f32_e32 v3, v3
	v_mul_lo_u32 v5, s6, v3
	v_mul_hi_u32 v5, v3, v5
	v_add_u32_e32 v3, v3, v5
	v_mul_hi_u32 v3, v10, v3
	v_mul_lo_u32 v5, v3, s55
	v_add_u32_e32 v7, 1, v3
	v_sub_u32_e32 v5, v10, v5
	v_subrev_u32_e32 v9, s55, v5
	v_cmp_le_u32_e32 vcc, s55, v5
	v_cndmask_b32_e32 v5, v5, v9, vcc
	v_cndmask_b32_e32 v3, v3, v7, vcc
	v_add_u32_e32 v7, 1, v3
	v_cmp_le_u32_e32 vcc, s55, v5
	v_cndmask_b32_e32 v12, v3, v7, vcc
.LBB101_29:                             ;   in Loop: Header=BB101_21 Depth=2
	s_or_b64 exec, exec, s[0:1]
	s_add_u32 s0, s4, s8
	s_addc_u32 s1, s5, s9
	s_add_i32 s6, s28, -2
	s_mov_b32 s7, s29
	s_lshl_b64 s[6:7], s[6:7], 2
	s_add_u32 s8, s42, s6
	s_addc_u32 s9, s43, s7
	s_load_dword s57, s[8:9], 0x8
	s_load_dword s58, s[2:3], 0x6c
	;; [unrolled: 1-line block ×3, first 2 shown]
                                        ; implicit-def: $vgpr14_vgpr15
	s_waitcnt lgkmcnt(0)
	s_ashr_i32 s0, s57, 31
	v_or_b32_e32 v3, s0, v13
	v_cmp_ne_u64_e32 vcc, 0, v[2:3]
	s_and_saveexec_b64 s[2:3], vcc
	s_xor_b64 s[2:3], exec, s[2:3]
	s_cbranch_execz .LBB101_31
; %bb.30:                               ;   in Loop: Header=BB101_21 Depth=2
	s_ashr_i32 s10, s0, 31
	s_add_u32 s40, s57, s10
	s_mov_b32 s11, s10
	s_addc_u32 s41, s0, s10
	s_xor_b64 s[40:41], s[40:41], s[10:11]
	v_cvt_f32_u32_e32 v3, s40
	v_cvt_f32_u32_e32 v5, s41
	s_sub_u32 s11, 0, s40
	s_subb_u32 s59, 0, s41
	v_mac_f32_e32 v3, 0x4f800000, v5
	v_rcp_f32_e32 v3, v3
	v_mul_f32_e32 v3, 0x5f7ffffc, v3
	v_mul_f32_e32 v5, 0x2f800000, v3
	v_trunc_f32_e32 v5, v5
	v_mac_f32_e32 v3, 0xcf800000, v5
	v_cvt_u32_f32_e32 v5, v5
	v_cvt_u32_f32_e32 v3, v3
	v_readfirstlane_b32 s60, v5
	v_readfirstlane_b32 s0, v3
	s_mul_i32 s1, s11, s60
	s_mul_hi_u32 s62, s11, s0
	s_mul_i32 s61, s59, s0
	s_add_i32 s1, s62, s1
	s_add_i32 s1, s1, s61
	s_mul_i32 s63, s11, s0
	s_mul_i32 s62, s0, s1
	s_mul_hi_u32 s64, s0, s63
	s_mul_hi_u32 s61, s0, s1
	s_add_u32 s62, s64, s62
	s_addc_u32 s61, 0, s61
	s_mul_hi_u32 s65, s60, s63
	s_mul_i32 s63, s60, s63
	s_add_u32 s62, s62, s63
	s_mul_hi_u32 s64, s60, s1
	s_addc_u32 s61, s61, s65
	s_addc_u32 s62, s64, 0
	s_mul_i32 s1, s60, s1
	s_add_u32 s1, s61, s1
	s_addc_u32 s61, 0, s62
	s_add_u32 s62, s0, s1
	s_cselect_b64 s[0:1], -1, 0
	s_cmp_lg_u64 s[0:1], 0
	s_addc_u32 s60, s60, s61
	s_mul_i32 s0, s11, s60
	s_mul_hi_u32 s1, s11, s62
	s_add_i32 s0, s1, s0
	s_mul_i32 s59, s59, s62
	s_add_i32 s0, s0, s59
	s_mul_i32 s11, s11, s62
	s_mul_hi_u32 s59, s60, s11
	s_mul_i32 s61, s60, s11
	s_mul_i32 s64, s62, s0
	s_mul_hi_u32 s11, s62, s11
	s_mul_hi_u32 s63, s62, s0
	s_add_u32 s11, s11, s64
	s_addc_u32 s63, 0, s63
	s_add_u32 s11, s11, s61
	s_mul_hi_u32 s1, s60, s0
	s_addc_u32 s11, s63, s59
	s_addc_u32 s1, s1, 0
	s_mul_i32 s0, s60, s0
	s_add_u32 s0, s11, s0
	s_addc_u32 s11, 0, s1
	s_add_u32 s59, s62, s0
	s_cselect_b64 s[0:1], -1, 0
	v_ashrrev_i32_e32 v3, 31, v13
	s_cmp_lg_u64 s[0:1], 0
	v_add_co_u32_e32 v5, vcc, v12, v3
	s_addc_u32 s11, s60, s11
	v_xor_b32_e32 v5, v5, v3
	v_addc_co_u32_e32 v7, vcc, v13, v3, vcc
	v_mad_u64_u32 v[13:14], s[0:1], v5, s11, 0
	v_mul_hi_u32 v9, v5, s59
	v_xor_b32_e32 v7, v7, v3
	v_mad_u64_u32 v[15:16], s[0:1], v7, s11, 0
	v_add_co_u32_e32 v9, vcc, v9, v13
	v_addc_co_u32_e32 v11, vcc, 0, v14, vcc
	v_mad_u64_u32 v[13:14], s[0:1], v7, s59, 0
	v_xor_b32_e32 v3, s10, v3
	v_add_co_u32_e32 v9, vcc, v9, v13
	v_addc_co_u32_e32 v9, vcc, v11, v14, vcc
	v_addc_co_u32_e32 v11, vcc, 0, v16, vcc
	v_add_co_u32_e32 v9, vcc, v9, v15
	v_addc_co_u32_e32 v11, vcc, 0, v11, vcc
	v_mul_lo_u32 v15, s41, v9
	v_mul_lo_u32 v16, s40, v11
	v_mad_u64_u32 v[13:14], s[0:1], s40, v9, 0
	v_add3_u32 v14, v14, v16, v15
	v_sub_u32_e32 v15, v7, v14
	v_mov_b32_e32 v16, s41
	v_sub_co_u32_e32 v5, vcc, v5, v13
	v_subb_co_u32_e64 v13, s[0:1], v15, v16, vcc
	v_subrev_co_u32_e64 v15, s[0:1], s40, v5
	v_subbrev_co_u32_e64 v13, s[0:1], 0, v13, s[0:1]
	v_cmp_le_u32_e64 s[0:1], s41, v13
	v_cndmask_b32_e64 v16, 0, -1, s[0:1]
	v_cmp_le_u32_e64 s[0:1], s40, v15
	v_cndmask_b32_e64 v15, 0, -1, s[0:1]
	v_cmp_eq_u32_e64 s[0:1], s41, v13
	v_cndmask_b32_e64 v13, v16, v15, s[0:1]
	v_add_co_u32_e64 v15, s[0:1], 2, v9
	v_subb_co_u32_e32 v7, vcc, v7, v14, vcc
	v_addc_co_u32_e64 v16, s[0:1], 0, v11, s[0:1]
	v_cmp_le_u32_e32 vcc, s41, v7
	v_add_co_u32_e64 v17, s[0:1], 1, v9
	v_cndmask_b32_e64 v14, 0, -1, vcc
	v_cmp_le_u32_e32 vcc, s40, v5
	v_addc_co_u32_e64 v20, s[0:1], 0, v11, s[0:1]
	v_cndmask_b32_e64 v5, 0, -1, vcc
	v_cmp_eq_u32_e32 vcc, s41, v7
	v_cmp_ne_u32_e64 s[0:1], 0, v13
	v_cndmask_b32_e32 v5, v14, v5, vcc
	v_cmp_ne_u32_e32 vcc, 0, v5
	v_cndmask_b32_e64 v7, v17, v15, s[0:1]
	v_cndmask_b32_e64 v13, v20, v16, s[0:1]
	v_cndmask_b32_e32 v7, v9, v7, vcc
	v_cndmask_b32_e32 v5, v11, v13, vcc
	v_xor_b32_e32 v7, v7, v3
	v_xor_b32_e32 v5, v5, v3
	v_sub_co_u32_e32 v14, vcc, v7, v3
	v_subb_co_u32_e32 v15, vcc, v5, v3, vcc
.LBB101_31:                             ;   in Loop: Header=BB101_21 Depth=2
	s_andn2_saveexec_b64 s[0:1], s[2:3]
	s_cbranch_execz .LBB101_33
; %bb.32:                               ;   in Loop: Header=BB101_21 Depth=2
	v_cvt_f32_u32_e32 v3, s57
	s_sub_i32 s2, 0, s57
	v_mov_b32_e32 v15, v2
	v_rcp_iflag_f32_e32 v3, v3
	v_mul_f32_e32 v3, 0x4f7ffffe, v3
	v_cvt_u32_f32_e32 v3, v3
	v_mul_lo_u32 v5, s2, v3
	v_mul_hi_u32 v5, v3, v5
	v_add_u32_e32 v3, v3, v5
	v_mul_hi_u32 v3, v12, v3
	v_mul_lo_u32 v5, v3, s57
	v_add_u32_e32 v7, 1, v3
	v_sub_u32_e32 v5, v12, v5
	v_subrev_u32_e32 v9, s57, v5
	v_cmp_le_u32_e32 vcc, s57, v5
	v_cndmask_b32_e32 v5, v5, v9, vcc
	v_cndmask_b32_e32 v3, v3, v7, vcc
	v_add_u32_e32 v7, 1, v3
	v_cmp_le_u32_e32 vcc, s57, v5
	v_cndmask_b32_e32 v14, v3, v7, vcc
.LBB101_33:                             ;   in Loop: Header=BB101_21 Depth=2
	s_or_b64 exec, exec, s[0:1]
	s_add_u32 s0, s4, s6
	s_addc_u32 s1, s5, s7
	s_add_i32 s2, s28, -3
	s_mov_b32 s3, s29
	s_lshl_b64 s[2:3], s[2:3], 2
	s_add_u32 s6, s42, s2
	s_addc_u32 s7, s43, s3
	s_load_dword s60, s[6:7], 0x8
	s_load_dword s61, s[8:9], 0x6c
	s_load_dword s59, s[0:1], 0x6c
                                        ; implicit-def: $vgpr16_vgpr17
	s_waitcnt lgkmcnt(0)
	s_ashr_i32 s0, s60, 31
	v_or_b32_e32 v3, s0, v15
	v_cmp_ne_u64_e32 vcc, 0, v[2:3]
	s_and_saveexec_b64 s[8:9], vcc
	s_xor_b64 s[8:9], exec, s[8:9]
	s_cbranch_execz .LBB101_35
; %bb.34:                               ;   in Loop: Header=BB101_21 Depth=2
	s_ashr_i32 s10, s0, 31
	s_add_u32 s40, s60, s10
	s_mov_b32 s11, s10
	s_addc_u32 s41, s0, s10
	s_xor_b64 s[40:41], s[40:41], s[10:11]
	v_cvt_f32_u32_e32 v3, s40
	v_cvt_f32_u32_e32 v5, s41
	s_sub_u32 s11, 0, s40
	s_subb_u32 s62, 0, s41
	v_mac_f32_e32 v3, 0x4f800000, v5
	v_rcp_f32_e32 v3, v3
	v_mul_f32_e32 v3, 0x5f7ffffc, v3
	v_mul_f32_e32 v5, 0x2f800000, v3
	v_trunc_f32_e32 v5, v5
	v_mac_f32_e32 v3, 0xcf800000, v5
	v_cvt_u32_f32_e32 v5, v5
	v_cvt_u32_f32_e32 v3, v3
	v_readfirstlane_b32 s63, v5
	v_readfirstlane_b32 s0, v3
	s_mul_i32 s1, s11, s63
	s_mul_hi_u32 s65, s11, s0
	s_mul_i32 s64, s62, s0
	s_add_i32 s1, s65, s1
	s_add_i32 s1, s1, s64
	s_mul_i32 s66, s11, s0
	s_mul_i32 s65, s0, s1
	s_mul_hi_u32 s67, s0, s66
	s_mul_hi_u32 s64, s0, s1
	s_add_u32 s65, s67, s65
	s_addc_u32 s64, 0, s64
	s_mul_hi_u32 s68, s63, s66
	s_mul_i32 s66, s63, s66
	s_add_u32 s65, s65, s66
	s_mul_hi_u32 s67, s63, s1
	s_addc_u32 s64, s64, s68
	s_addc_u32 s65, s67, 0
	s_mul_i32 s1, s63, s1
	s_add_u32 s1, s64, s1
	s_addc_u32 s64, 0, s65
	s_add_u32 s65, s0, s1
	s_cselect_b64 s[0:1], -1, 0
	s_cmp_lg_u64 s[0:1], 0
	s_addc_u32 s63, s63, s64
	s_mul_i32 s0, s11, s63
	s_mul_hi_u32 s1, s11, s65
	s_add_i32 s0, s1, s0
	s_mul_i32 s62, s62, s65
	s_add_i32 s0, s0, s62
	s_mul_i32 s11, s11, s65
	s_mul_hi_u32 s62, s63, s11
	s_mul_i32 s64, s63, s11
	s_mul_i32 s67, s65, s0
	s_mul_hi_u32 s11, s65, s11
	s_mul_hi_u32 s66, s65, s0
	s_add_u32 s11, s11, s67
	s_addc_u32 s66, 0, s66
	s_add_u32 s11, s11, s64
	s_mul_hi_u32 s1, s63, s0
	s_addc_u32 s11, s66, s62
	s_addc_u32 s1, s1, 0
	s_mul_i32 s0, s63, s0
	s_add_u32 s0, s11, s0
	s_addc_u32 s11, 0, s1
	s_add_u32 s62, s65, s0
	s_cselect_b64 s[0:1], -1, 0
	v_ashrrev_i32_e32 v3, 31, v15
	s_cmp_lg_u64 s[0:1], 0
	v_add_co_u32_e32 v5, vcc, v14, v3
	s_addc_u32 s11, s63, s11
	v_xor_b32_e32 v5, v5, v3
	v_addc_co_u32_e32 v7, vcc, v15, v3, vcc
	v_mad_u64_u32 v[15:16], s[0:1], v5, s11, 0
	v_mul_hi_u32 v9, v5, s62
	v_xor_b32_e32 v7, v7, v3
	v_mad_u64_u32 v[20:21], s[0:1], v7, s11, 0
	v_add_co_u32_e32 v9, vcc, v9, v15
	v_addc_co_u32_e32 v11, vcc, 0, v16, vcc
	v_mad_u64_u32 v[15:16], s[0:1], v7, s62, 0
	v_xor_b32_e32 v3, s10, v3
	v_add_co_u32_e32 v9, vcc, v9, v15
	v_addc_co_u32_e32 v9, vcc, v11, v16, vcc
	v_addc_co_u32_e32 v11, vcc, 0, v21, vcc
	v_add_co_u32_e32 v9, vcc, v9, v20
	v_addc_co_u32_e32 v11, vcc, 0, v11, vcc
	v_mul_lo_u32 v13, s41, v9
	v_mul_lo_u32 v17, s40, v11
	v_mad_u64_u32 v[15:16], s[0:1], s40, v9, 0
	v_add3_u32 v13, v16, v17, v13
	v_sub_u32_e32 v16, v7, v13
	v_mov_b32_e32 v17, s41
	v_sub_co_u32_e32 v5, vcc, v5, v15
	v_subb_co_u32_e64 v15, s[0:1], v16, v17, vcc
	v_subrev_co_u32_e64 v16, s[0:1], s40, v5
	v_subbrev_co_u32_e64 v15, s[0:1], 0, v15, s[0:1]
	v_cmp_le_u32_e64 s[0:1], s41, v15
	v_cndmask_b32_e64 v17, 0, -1, s[0:1]
	v_cmp_le_u32_e64 s[0:1], s40, v16
	v_cndmask_b32_e64 v16, 0, -1, s[0:1]
	v_cmp_eq_u32_e64 s[0:1], s41, v15
	v_cndmask_b32_e64 v15, v17, v16, s[0:1]
	v_add_co_u32_e64 v16, s[0:1], 2, v9
	v_subb_co_u32_e32 v7, vcc, v7, v13, vcc
	v_addc_co_u32_e64 v17, s[0:1], 0, v11, s[0:1]
	v_cmp_le_u32_e32 vcc, s41, v7
	v_add_co_u32_e64 v20, s[0:1], 1, v9
	v_cndmask_b32_e64 v13, 0, -1, vcc
	v_cmp_le_u32_e32 vcc, s40, v5
	v_addc_co_u32_e64 v21, s[0:1], 0, v11, s[0:1]
	v_cndmask_b32_e64 v5, 0, -1, vcc
	v_cmp_eq_u32_e32 vcc, s41, v7
	v_cmp_ne_u32_e64 s[0:1], 0, v15
	v_cndmask_b32_e32 v5, v13, v5, vcc
	v_cmp_ne_u32_e32 vcc, 0, v5
	v_cndmask_b32_e64 v7, v20, v16, s[0:1]
	v_cndmask_b32_e64 v15, v21, v17, s[0:1]
	v_cndmask_b32_e32 v7, v9, v7, vcc
	v_cndmask_b32_e32 v5, v11, v15, vcc
	v_xor_b32_e32 v7, v7, v3
	v_xor_b32_e32 v5, v5, v3
	v_sub_co_u32_e32 v16, vcc, v7, v3
	v_subb_co_u32_e32 v17, vcc, v5, v3, vcc
.LBB101_35:                             ;   in Loop: Header=BB101_21 Depth=2
	s_andn2_saveexec_b64 s[0:1], s[8:9]
	s_cbranch_execz .LBB101_37
; %bb.36:                               ;   in Loop: Header=BB101_21 Depth=2
	v_cvt_f32_u32_e32 v3, s60
	s_sub_i32 s8, 0, s60
	v_mov_b32_e32 v17, v2
	v_rcp_iflag_f32_e32 v3, v3
	v_mul_f32_e32 v3, 0x4f7ffffe, v3
	v_cvt_u32_f32_e32 v3, v3
	v_mul_lo_u32 v5, s8, v3
	v_mul_hi_u32 v5, v3, v5
	v_add_u32_e32 v3, v3, v5
	v_mul_hi_u32 v3, v14, v3
	v_mul_lo_u32 v5, v3, s60
	v_add_u32_e32 v7, 1, v3
	v_sub_u32_e32 v5, v14, v5
	v_subrev_u32_e32 v9, s60, v5
	v_cmp_le_u32_e32 vcc, s60, v5
	v_cndmask_b32_e32 v5, v5, v9, vcc
	v_cndmask_b32_e32 v3, v3, v7, vcc
	v_add_u32_e32 v7, 1, v3
	v_cmp_le_u32_e32 vcc, s60, v5
	v_cndmask_b32_e32 v16, v3, v7, vcc
.LBB101_37:                             ;   in Loop: Header=BB101_21 Depth=2
	s_or_b64 exec, exec, s[0:1]
	v_mul_lo_u32 v3, v10, s39
	v_mul_lo_u32 v5, v12, s55
	;; [unrolled: 1-line block ×3, first 2 shown]
	s_add_u32 s0, s4, s2
	v_sub_u32_e32 v3, v8, v3
	v_sub_u32_e32 v5, v10, v5
	v_mul_lo_u32 v7, s54, v3
	v_mul_lo_u32 v8, s58, v5
	s_addc_u32 s1, s5, s3
	s_load_dword s6, s[6:7], 0x6c
	v_mul_lo_u32 v3, s53, v3
	v_add3_u32 v6, v7, v6, v8
	v_sub_u32_e32 v7, v12, v9
	v_mul_lo_u32 v9, v16, s60
	s_load_dword s0, s[0:1], 0x6c
	v_mul_lo_u32 v5, s56, v5
	v_mul_lo_u32 v8, s61, v7
	v_sub_u32_e32 v9, v14, v9
	s_waitcnt lgkmcnt(0)
	v_mul_lo_u32 v10, s6, v9
	v_add3_u32 v3, v3, v4, v5
	v_mul_lo_u32 v4, s59, v7
	v_mul_lo_u32 v5, s0, v9
	s_add_i32 s28, s28, -4
	v_add3_u32 v6, v8, v6, v10
	s_cmp_eq_u32 s28, -1
	v_add3_u32 v4, v4, v3, v5
	s_cbranch_scc1 .LBB101_39
; %bb.38:                               ;   in Loop: Header=BB101_21 Depth=2
	v_mov_b32_e32 v8, v16
	v_mov_b32_e32 v9, v17
	s_branch .LBB101_21
.LBB101_39:                             ;   in Loop: Header=BB101_3 Depth=1
	v_sub_u32_e32 v5, v18, v19
	v_add_u32_e32 v7, 4, v5
	v_ashrrev_i32_e32 v8, 31, v7
	v_cmp_le_i64_e32 vcc, s[12:13], v[7:8]
	v_mov_b32_e32 v3, 0
	s_and_saveexec_b64 s[40:41], vcc
	s_cbranch_execz .LBB101_49
; %bb.40:                               ;   in Loop: Header=BB101_3 Depth=1
	v_cmp_gt_i32_e32 vcc, s19, v18
	v_mov_b32_e32 v3, 0
	v_mov_b32_e32 v9, 0
	;; [unrolled: 1-line block ×4, first 2 shown]
	s_and_saveexec_b64 s[0:1], vcc
	s_cbranch_execz .LBB101_48
; %bb.41:                               ;   in Loop: Header=BB101_3 Depth=1
	v_ashrrev_i32_e32 v3, 31, v6
	v_mov_b32_e32 v8, s17
	v_add_co_u32_e32 v7, vcc, s16, v6
	v_addc_co_u32_e32 v8, vcc, v8, v3, vcc
	global_load_ubyte v3, v[7:8], off
	v_add_u32_e32 v10, 1, v18
	v_mov_b32_e32 v9, 0
	v_cmp_gt_i32_e32 vcc, s19, v10
	v_mov_b32_e32 v10, 0
	v_mov_b32_e32 v11, 0
	s_and_saveexec_b64 s[2:3], vcc
	s_xor_b64 s[2:3], exec, s[2:3]
	s_cbranch_execz .LBB101_47
; %bb.42:                               ;   in Loop: Header=BB101_3 Depth=1
	v_mov_b32_e32 v9, s49
	v_add_co_u32_e32 v7, vcc, s50, v7
	v_addc_co_u32_e32 v8, vcc, v8, v9, vcc
	global_load_ubyte v9, v[7:8], off
	v_add_u32_e32 v7, 2, v18
	v_mov_b32_e32 v10, 0
	v_cmp_gt_i32_e32 vcc, s19, v7
	v_mov_b32_e32 v11, 0
	s_and_saveexec_b64 s[6:7], vcc
	s_xor_b64 s[6:7], exec, s[6:7]
	s_cbranch_execz .LBB101_46
; %bb.43:                               ;   in Loop: Header=BB101_3 Depth=1
	v_add_u32_e32 v6, s23, v6
	v_ashrrev_i32_e32 v8, 31, v6
	v_mov_b32_e32 v10, s17
	v_add_co_u32_e32 v7, vcc, s16, v6
	v_addc_co_u32_e32 v8, vcc, v10, v8, vcc
	global_load_ubyte v10, v[7:8], off
	v_add_u32_e32 v7, 3, v18
	v_mov_b32_e32 v11, 0
	v_cmp_gt_i32_e32 vcc, s19, v7
	s_and_saveexec_b64 s[8:9], vcc
	s_xor_b64 s[8:9], exec, s[8:9]
	s_cbranch_execz .LBB101_45
; %bb.44:                               ;   in Loop: Header=BB101_3 Depth=1
	v_add_u32_e32 v6, s50, v6
	v_ashrrev_i32_e32 v7, 31, v6
	v_mov_b32_e32 v8, s17
	v_add_co_u32_e32 v6, vcc, s16, v6
	v_addc_co_u32_e32 v7, vcc, v8, v7, vcc
	global_load_ubyte v11, v[6:7], off
.LBB101_45:                             ;   in Loop: Header=BB101_3 Depth=1
	s_or_b64 exec, exec, s[8:9]
.LBB101_46:                             ;   in Loop: Header=BB101_3 Depth=1
	s_or_b64 exec, exec, s[6:7]
.LBB101_47:                             ;   in Loop: Header=BB101_3 Depth=1
	s_or_b64 exec, exec, s[2:3]
.LBB101_48:                             ;   in Loop: Header=BB101_3 Depth=1
	s_or_b64 exec, exec, s[0:1]
	v_ashrrev_i32_e32 v6, 31, v5
	v_cmp_le_i64_e32 vcc, s[12:13], v[5:6]
	s_waitcnt vmcnt(0)
	v_and_b32_e32 v6, 1, v11
	v_cmp_eq_u32_e64 s[0:1], 1, v6
	v_and_b32_e32 v6, 1, v10
	v_cmp_eq_u32_e64 s[2:3], 1, v6
	;; [unrolled: 2-line block ×3, first 2 shown]
	v_add_u32_e32 v6, 1, v5
	v_ashrrev_i32_e32 v7, 31, v6
	v_and_b32_e32 v3, 1, v3
	v_cmp_le_i64_e64 s[10:11], s[12:13], v[6:7]
	v_add_u32_e32 v6, 2, v5
	v_cmp_eq_u32_e64 s[8:9], 1, v3
	v_ashrrev_i32_e32 v7, 31, v6
	v_add_u32_e32 v5, 3, v5
	s_and_b64 s[8:9], vcc, s[8:9]
	s_and_b64 s[6:7], s[10:11], s[6:7]
	v_cmp_le_i64_e32 vcc, s[12:13], v[6:7]
	v_ashrrev_i32_e32 v6, 31, v5
	v_cndmask_b32_e64 v8, 0, 1, s[6:7]
	v_cmp_le_i64_e64 s[6:7], s[12:13], v[5:6]
	s_and_b64 s[2:3], vcc, s[2:3]
	s_and_b64 s[0:1], s[6:7], s[0:1]
	v_cndmask_b32_e64 v6, 0, 1, s[0:1]
	v_cndmask_b32_e64 v3, 0, 1, s[8:9]
	v_cndmask_b32_e64 v5, 0, 1, s[2:3]
	v_lshlrev_b16_e32 v7, 8, v8
	v_lshlrev_b16_e32 v6, 8, v6
	v_or_b32_e32 v3, v3, v7
	v_or_b32_sdwa v5, v5, v6 dst_sel:WORD_1 dst_unused:UNUSED_PAD src0_sel:DWORD src1_sel:DWORD
	v_or_b32_sdwa v3, v3, v5 dst_sel:DWORD dst_unused:UNUSED_PAD src0_sel:WORD_0 src1_sel:DWORD
.LBB101_49:                             ;   in Loop: Header=BB101_3 Depth=1
	s_or_b64 exec, exec, s[40:41]
	v_cmp_gt_i32_e32 vcc, s19, v18
	s_and_saveexec_b64 s[0:1], vcc
	s_cbranch_execz .LBB101_2
; %bb.50:                               ;   in Loop: Header=BB101_3 Depth=1
	v_ashrrev_i32_e32 v6, 31, v4
	v_mov_b32_e32 v7, s27
	v_add_co_u32_e32 v5, vcc, s26, v4
	v_addc_co_u32_e32 v6, vcc, v7, v6, vcc
	v_add_u32_e32 v7, 1, v18
	v_cmp_gt_i32_e32 vcc, s19, v7
	global_store_byte v[5:6], v3, off
	s_and_saveexec_b64 s[2:3], vcc
	s_xor_b64 s[2:3], exec, s[2:3]
	s_cbranch_execz .LBB101_2
; %bb.51:                               ;   in Loop: Header=BB101_3 Depth=1
	v_mov_b32_e32 v8, s51
	v_add_co_u32_e32 v5, vcc, s52, v5
	v_lshrrev_b32_e32 v7, 8, v3
	v_addc_co_u32_e32 v6, vcc, v6, v8, vcc
	global_store_byte v[5:6], v7, off
	v_add_u32_e32 v5, 2, v18
	v_cmp_gt_i32_e32 vcc, s19, v5
	s_and_saveexec_b64 s[2:3], vcc
	s_xor_b64 s[2:3], exec, s[2:3]
	s_cbranch_execz .LBB101_2
; %bb.52:                               ;   in Loop: Header=BB101_3 Depth=1
	v_add_u32_e32 v4, s25, v4
	v_ashrrev_i32_e32 v6, 31, v4
	v_mov_b32_e32 v7, s27
	v_add_co_u32_e32 v5, vcc, s26, v4
	v_addc_co_u32_e32 v6, vcc, v7, v6, vcc
	global_store_byte_d16_hi v[5:6], v3, off
	v_add_u32_e32 v5, 3, v18
	v_cmp_gt_i32_e32 vcc, s19, v5
	s_and_saveexec_b64 s[2:3], vcc
	s_xor_b64 s[2:3], exec, s[2:3]
	s_cbranch_execz .LBB101_2
; %bb.53:                               ;   in Loop: Header=BB101_3 Depth=1
	v_lshrrev_b32_e32 v5, 24, v3
	v_add_u32_e32 v3, s52, v4
	v_ashrrev_i32_e32 v4, 31, v3
	v_mov_b32_e32 v6, s27
	v_add_co_u32_e32 v3, vcc, s26, v3
	v_addc_co_u32_e32 v4, vcc, v6, v4, vcc
	global_store_byte v[3:4], v5, off
	s_branch .LBB101_2
.LBB101_54:
	s_endpgm
	.section	.rodata,"a",@progbits
	.p2align	6, 0x0
	.amdhsa_kernel _ZN2at6native16triu_tril_kernelIbiLb1ELi4ELb0EEEvNS_4cuda6detail10TensorInfoIT_T0_EENS4_IKS5_S6_EEllS6_
		.amdhsa_group_segment_fixed_size 0
		.amdhsa_private_segment_fixed_size 0
		.amdhsa_kernarg_size 712
		.amdhsa_user_sgpr_count 6
		.amdhsa_user_sgpr_private_segment_buffer 1
		.amdhsa_user_sgpr_dispatch_ptr 0
		.amdhsa_user_sgpr_queue_ptr 0
		.amdhsa_user_sgpr_kernarg_segment_ptr 1
		.amdhsa_user_sgpr_dispatch_id 0
		.amdhsa_user_sgpr_flat_scratch_init 0
		.amdhsa_user_sgpr_private_segment_size 0
		.amdhsa_uses_dynamic_stack 0
		.amdhsa_system_sgpr_private_segment_wavefront_offset 0
		.amdhsa_system_sgpr_workgroup_id_x 1
		.amdhsa_system_sgpr_workgroup_id_y 0
		.amdhsa_system_sgpr_workgroup_id_z 0
		.amdhsa_system_sgpr_workgroup_info 0
		.amdhsa_system_vgpr_workitem_id 0
		.amdhsa_next_free_vgpr 22
		.amdhsa_next_free_sgpr 69
		.amdhsa_reserve_vcc 1
		.amdhsa_reserve_flat_scratch 0
		.amdhsa_float_round_mode_32 0
		.amdhsa_float_round_mode_16_64 0
		.amdhsa_float_denorm_mode_32 3
		.amdhsa_float_denorm_mode_16_64 3
		.amdhsa_dx10_clamp 1
		.amdhsa_ieee_mode 1
		.amdhsa_fp16_overflow 0
		.amdhsa_exception_fp_ieee_invalid_op 0
		.amdhsa_exception_fp_denorm_src 0
		.amdhsa_exception_fp_ieee_div_zero 0
		.amdhsa_exception_fp_ieee_overflow 0
		.amdhsa_exception_fp_ieee_underflow 0
		.amdhsa_exception_fp_ieee_inexact 0
		.amdhsa_exception_int_div_zero 0
	.end_amdhsa_kernel
	.section	.text._ZN2at6native16triu_tril_kernelIbiLb1ELi4ELb0EEEvNS_4cuda6detail10TensorInfoIT_T0_EENS4_IKS5_S6_EEllS6_,"axG",@progbits,_ZN2at6native16triu_tril_kernelIbiLb1ELi4ELb0EEEvNS_4cuda6detail10TensorInfoIT_T0_EENS4_IKS5_S6_EEllS6_,comdat
.Lfunc_end101:
	.size	_ZN2at6native16triu_tril_kernelIbiLb1ELi4ELb0EEEvNS_4cuda6detail10TensorInfoIT_T0_EENS4_IKS5_S6_EEllS6_, .Lfunc_end101-_ZN2at6native16triu_tril_kernelIbiLb1ELi4ELb0EEEvNS_4cuda6detail10TensorInfoIT_T0_EENS4_IKS5_S6_EEllS6_
                                        ; -- End function
	.set _ZN2at6native16triu_tril_kernelIbiLb1ELi4ELb0EEEvNS_4cuda6detail10TensorInfoIT_T0_EENS4_IKS5_S6_EEllS6_.num_vgpr, 22
	.set _ZN2at6native16triu_tril_kernelIbiLb1ELi4ELb0EEEvNS_4cuda6detail10TensorInfoIT_T0_EENS4_IKS5_S6_EEllS6_.num_agpr, 0
	.set _ZN2at6native16triu_tril_kernelIbiLb1ELi4ELb0EEEvNS_4cuda6detail10TensorInfoIT_T0_EENS4_IKS5_S6_EEllS6_.numbered_sgpr, 69
	.set _ZN2at6native16triu_tril_kernelIbiLb1ELi4ELb0EEEvNS_4cuda6detail10TensorInfoIT_T0_EENS4_IKS5_S6_EEllS6_.num_named_barrier, 0
	.set _ZN2at6native16triu_tril_kernelIbiLb1ELi4ELb0EEEvNS_4cuda6detail10TensorInfoIT_T0_EENS4_IKS5_S6_EEllS6_.private_seg_size, 0
	.set _ZN2at6native16triu_tril_kernelIbiLb1ELi4ELb0EEEvNS_4cuda6detail10TensorInfoIT_T0_EENS4_IKS5_S6_EEllS6_.uses_vcc, 1
	.set _ZN2at6native16triu_tril_kernelIbiLb1ELi4ELb0EEEvNS_4cuda6detail10TensorInfoIT_T0_EENS4_IKS5_S6_EEllS6_.uses_flat_scratch, 0
	.set _ZN2at6native16triu_tril_kernelIbiLb1ELi4ELb0EEEvNS_4cuda6detail10TensorInfoIT_T0_EENS4_IKS5_S6_EEllS6_.has_dyn_sized_stack, 0
	.set _ZN2at6native16triu_tril_kernelIbiLb1ELi4ELb0EEEvNS_4cuda6detail10TensorInfoIT_T0_EENS4_IKS5_S6_EEllS6_.has_recursion, 0
	.set _ZN2at6native16triu_tril_kernelIbiLb1ELi4ELb0EEEvNS_4cuda6detail10TensorInfoIT_T0_EENS4_IKS5_S6_EEllS6_.has_indirect_call, 0
	.section	.AMDGPU.csdata,"",@progbits
; Kernel info:
; codeLenInByte = 6712
; TotalNumSgprs: 73
; NumVgprs: 22
; ScratchSize: 0
; MemoryBound: 0
; FloatMode: 240
; IeeeMode: 1
; LDSByteSize: 0 bytes/workgroup (compile time only)
; SGPRBlocks: 9
; VGPRBlocks: 5
; NumSGPRsForWavesPerEU: 73
; NumVGPRsForWavesPerEU: 22
; Occupancy: 10
; WaveLimiterHint : 1
; COMPUTE_PGM_RSRC2:SCRATCH_EN: 0
; COMPUTE_PGM_RSRC2:USER_SGPR: 6
; COMPUTE_PGM_RSRC2:TRAP_HANDLER: 0
; COMPUTE_PGM_RSRC2:TGID_X_EN: 1
; COMPUTE_PGM_RSRC2:TGID_Y_EN: 0
; COMPUTE_PGM_RSRC2:TGID_Z_EN: 0
; COMPUTE_PGM_RSRC2:TIDIG_COMP_CNT: 0
	.section	.text._ZN2at6native16triu_tril_kernelIblLb1ELi4ELb1EEEvNS_4cuda6detail10TensorInfoIT_T0_EENS4_IKS5_S6_EEllS6_,"axG",@progbits,_ZN2at6native16triu_tril_kernelIblLb1ELi4ELb1EEEvNS_4cuda6detail10TensorInfoIT_T0_EENS4_IKS5_S6_EEllS6_,comdat
	.protected	_ZN2at6native16triu_tril_kernelIblLb1ELi4ELb1EEEvNS_4cuda6detail10TensorInfoIT_T0_EENS4_IKS5_S6_EEllS6_ ; -- Begin function _ZN2at6native16triu_tril_kernelIblLb1ELi4ELb1EEEvNS_4cuda6detail10TensorInfoIT_T0_EENS4_IKS5_S6_EEllS6_
	.globl	_ZN2at6native16triu_tril_kernelIblLb1ELi4ELb1EEEvNS_4cuda6detail10TensorInfoIT_T0_EENS4_IKS5_S6_EEllS6_
	.p2align	8
	.type	_ZN2at6native16triu_tril_kernelIblLb1ELi4ELb1EEEvNS_4cuda6detail10TensorInfoIT_T0_EENS4_IKS5_S6_EEllS6_,@function
_ZN2at6native16triu_tril_kernelIblLb1ELi4ELb1EEEvNS_4cuda6detail10TensorInfoIT_T0_EENS4_IKS5_S6_EEllS6_: ; @_ZN2at6native16triu_tril_kernelIblLb1ELi4ELb1EEEvNS_4cuda6detail10TensorInfoIT_T0_EENS4_IKS5_S6_EEllS6_
; %bb.0:
	s_load_dword s2, s[4:5], 0x364
	s_load_dwordx4 s[8:11], s[4:5], 0x340
	s_add_u32 s0, s4, 0x358
	v_mov_b32_e32 v2, 0
	s_addc_u32 s1, s5, 0
	s_waitcnt lgkmcnt(0)
	s_and_b32 s2, s2, 0xffff
	v_mov_b32_e32 v1, v2
	v_mov_b32_e32 v3, s6
	v_mad_u64_u32 v[0:1], s[6:7], s2, v3, v[0:1]
	v_lshlrev_b64 v[0:1], 2, v[0:1]
	v_cmp_gt_i64_e32 vcc, s[10:11], v[0:1]
	s_and_saveexec_b64 s[6:7], vcc
	s_cbranch_execz .LBB102_47
; %bb.1:
	s_load_dword s1, s[0:1], 0x0
	s_add_u32 s34, s4, 0x1a0
	s_load_dword s0, s[4:5], 0x338
	s_addc_u32 s35, s5, 0
	s_load_dwordx2 s[6:7], s[4:5], 0x350
	s_load_dwordx2 s[12:13], s[4:5], 0x0
	s_waitcnt lgkmcnt(0)
	s_mul_i32 s24, s1, s2
	s_mov_b32 s25, 0
	s_add_i32 s2, s0, -2
	s_ashr_i32 s3, s2, 31
	s_ashr_i32 s1, s0, 31
	s_lshl_b64 s[16:17], s[2:3], 3
	s_add_u32 s16, s34, s16
	s_addc_u32 s17, s35, s17
	s_lshl_b64 s[22:23], s[0:1], 3
	s_add_u32 s18, s4, s22
	s_addc_u32 s19, s5, s23
	s_add_i32 s20, s0, -3
	s_ashr_i32 s21, s20, 31
	s_add_u32 s22, s34, s22
	v_cmp_gt_i64_e64 s[14:15], s[0:1], 2
	s_addc_u32 s23, s35, s23
	s_lshl_b32 s33, s24, 2
	s_and_b32 s24, s2, 3
	s_and_b32 s0, s20, 3
	s_cmp_lg_u32 s0, 3
	s_cselect_b64 s[26:27], -1, 0
	s_cmp_gt_u32 s20, 2
	s_cselect_b64 s[28:29], -1, 0
	s_lshl_b64 s[0:1], s[20:21], 3
	s_add_u32 s2, s4, s0
	s_addc_u32 s3, s5, s1
	s_add_u32 s30, s2, 0xd0
	s_addc_u32 s31, s3, 0
	;; [unrolled: 2-line block ×3, first 2 shown]
	s_add_u32 s34, s0, 8
	s_load_dwordx2 s[16:17], s[16:17], 0x8
	s_addc_u32 s35, s1, 0
	s_add_u32 s64, s4, 0xb8
	s_addc_u32 s65, s5, 0
	s_add_u32 s66, s4, 0x190
	s_addc_u32 s67, s5, 0
	s_mov_b64 s[4:5], 0
	s_branch .LBB102_3
.LBB102_2:                              ;   in Loop: Header=BB102_3 Depth=1
	s_or_b64 exec, exec, s[36:37]
	v_add_co_u32_e32 v0, vcc, s33, v0
	v_addc_co_u32_e32 v1, vcc, 0, v1, vcc
	v_cmp_le_i64_e32 vcc, s[10:11], v[0:1]
	s_or_b64 s[4:5], vcc, s[4:5]
	s_andn2_b64 exec, exec, s[4:5]
	s_cbranch_execz .LBB102_47
.LBB102_3:                              ; =>This Loop Header: Depth=1
                                        ;     Child Loop BB102_17 Depth 2
                                        ;     Child Loop BB102_22 Depth 2
	v_or_b32_e32 v3, s7, v1
	v_cmp_ne_u64_e32 vcc, 0, v[2:3]
                                        ; implicit-def: $vgpr6_vgpr7
	s_and_saveexec_b64 s[0:1], vcc
	s_xor_b64 s[2:3], exec, s[0:1]
	s_cbranch_execz .LBB102_5
; %bb.4:                                ;   in Loop: Header=BB102_3 Depth=1
	s_ashr_i32 s36, s7, 31
	s_add_u32 s0, s6, s36
	s_mov_b32 s37, s36
	s_addc_u32 s1, s7, s36
	s_xor_b64 s[38:39], s[0:1], s[36:37]
	v_cvt_f32_u32_e32 v3, s38
	v_cvt_f32_u32_e32 v4, s39
	s_sub_u32 s37, 0, s38
	s_subb_u32 s40, 0, s39
	v_ashrrev_i32_e32 v7, 31, v1
	v_mac_f32_e32 v3, 0x4f800000, v4
	v_rcp_f32_e32 v3, v3
	v_mul_f32_e32 v3, 0x5f7ffffc, v3
	v_mul_f32_e32 v4, 0x2f800000, v3
	v_trunc_f32_e32 v4, v4
	v_mac_f32_e32 v3, 0xcf800000, v4
	v_cvt_u32_f32_e32 v4, v4
	v_cvt_u32_f32_e32 v3, v3
	v_readfirstlane_b32 s41, v4
	v_readfirstlane_b32 s0, v3
	s_mul_i32 s1, s37, s41
	s_mul_hi_u32 s43, s37, s0
	s_mul_i32 s42, s40, s0
	s_add_i32 s1, s43, s1
	s_add_i32 s1, s1, s42
	s_mul_i32 s44, s37, s0
	s_mul_i32 s43, s0, s1
	s_mul_hi_u32 s45, s0, s44
	s_mul_hi_u32 s42, s0, s1
	s_add_u32 s43, s45, s43
	s_addc_u32 s42, 0, s42
	s_mul_hi_u32 s46, s41, s44
	s_mul_i32 s44, s41, s44
	s_add_u32 s43, s43, s44
	s_mul_hi_u32 s45, s41, s1
	s_addc_u32 s42, s42, s46
	s_addc_u32 s43, s45, 0
	s_mul_i32 s1, s41, s1
	s_add_u32 s1, s42, s1
	s_addc_u32 s42, 0, s43
	s_add_u32 s43, s0, s1
	s_cselect_b64 s[0:1], -1, 0
	s_cmp_lg_u64 s[0:1], 0
	s_addc_u32 s41, s41, s42
	s_mul_i32 s0, s37, s41
	s_mul_hi_u32 s1, s37, s43
	s_add_i32 s0, s1, s0
	s_mul_i32 s40, s40, s43
	s_add_i32 s0, s0, s40
	s_mul_i32 s37, s37, s43
	s_mul_hi_u32 s40, s41, s37
	s_mul_i32 s42, s41, s37
	s_mul_i32 s45, s43, s0
	s_mul_hi_u32 s37, s43, s37
	s_mul_hi_u32 s44, s43, s0
	s_add_u32 s37, s37, s45
	s_addc_u32 s44, 0, s44
	s_add_u32 s37, s37, s42
	s_mul_hi_u32 s1, s41, s0
	s_addc_u32 s37, s44, s40
	s_addc_u32 s1, s1, 0
	s_mul_i32 s0, s41, s0
	s_add_u32 s0, s37, s0
	s_addc_u32 s37, 0, s1
	s_add_u32 s40, s43, s0
	s_cselect_b64 s[0:1], -1, 0
	s_cmp_lg_u64 s[0:1], 0
	v_add_co_u32_e32 v3, vcc, v0, v7
	s_addc_u32 s37, s41, s37
	v_xor_b32_e32 v8, v3, v7
	v_mad_u64_u32 v[3:4], s[0:1], v8, s37, 0
	v_mul_hi_u32 v6, v8, s40
	v_addc_co_u32_e32 v5, vcc, v1, v7, vcc
	v_xor_b32_e32 v9, v5, v7
	v_add_co_u32_e32 v10, vcc, v6, v3
	v_addc_co_u32_e32 v11, vcc, 0, v4, vcc
	v_mad_u64_u32 v[3:4], s[0:1], v9, s40, 0
	v_mad_u64_u32 v[5:6], s[0:1], v9, s37, 0
	v_add_co_u32_e32 v3, vcc, v10, v3
	v_addc_co_u32_e32 v3, vcc, v11, v4, vcc
	v_addc_co_u32_e32 v4, vcc, 0, v6, vcc
	v_add_co_u32_e32 v5, vcc, v3, v5
	v_addc_co_u32_e32 v6, vcc, 0, v4, vcc
	v_mul_lo_u32 v10, s39, v5
	v_mul_lo_u32 v11, s38, v6
	v_mad_u64_u32 v[3:4], s[0:1], s38, v5, 0
	v_add3_u32 v4, v4, v11, v10
	v_sub_u32_e32 v10, v9, v4
	v_mov_b32_e32 v11, s39
	v_sub_co_u32_e32 v3, vcc, v8, v3
	v_subb_co_u32_e64 v8, s[0:1], v10, v11, vcc
	v_subrev_co_u32_e64 v10, s[0:1], s38, v3
	v_subbrev_co_u32_e64 v8, s[0:1], 0, v8, s[0:1]
	v_cmp_le_u32_e64 s[0:1], s39, v8
	v_cndmask_b32_e64 v11, 0, -1, s[0:1]
	v_cmp_le_u32_e64 s[0:1], s38, v10
	v_cndmask_b32_e64 v10, 0, -1, s[0:1]
	v_cmp_eq_u32_e64 s[0:1], s39, v8
	v_cndmask_b32_e64 v8, v11, v10, s[0:1]
	v_add_co_u32_e64 v10, s[0:1], 2, v5
	v_subb_co_u32_e32 v4, vcc, v9, v4, vcc
	v_addc_co_u32_e64 v11, s[0:1], 0, v6, s[0:1]
	v_cmp_le_u32_e32 vcc, s39, v4
	v_add_co_u32_e64 v12, s[0:1], 1, v5
	v_cndmask_b32_e64 v9, 0, -1, vcc
	v_cmp_le_u32_e32 vcc, s38, v3
	v_addc_co_u32_e64 v13, s[0:1], 0, v6, s[0:1]
	v_cndmask_b32_e64 v3, 0, -1, vcc
	v_cmp_eq_u32_e32 vcc, s39, v4
	v_cmp_ne_u32_e64 s[0:1], 0, v8
	v_cndmask_b32_e32 v3, v9, v3, vcc
	v_cmp_ne_u32_e32 vcc, 0, v3
	v_cndmask_b32_e64 v4, v12, v10, s[0:1]
	v_cndmask_b32_e64 v8, v13, v11, s[0:1]
	v_cndmask_b32_e32 v4, v5, v4, vcc
	v_xor_b32_e32 v5, s36, v7
	v_cndmask_b32_e32 v3, v6, v8, vcc
	v_xor_b32_e32 v4, v4, v5
	v_xor_b32_e32 v3, v3, v5
	v_sub_co_u32_e32 v6, vcc, v4, v5
	v_subb_co_u32_e32 v7, vcc, v3, v5, vcc
.LBB102_5:                              ;   in Loop: Header=BB102_3 Depth=1
	s_andn2_saveexec_b64 s[0:1], s[2:3]
	s_cbranch_execz .LBB102_7
; %bb.6:                                ;   in Loop: Header=BB102_3 Depth=1
	v_cvt_f32_u32_e32 v3, s6
	s_sub_i32 s2, 0, s6
	v_mov_b32_e32 v7, v2
	v_rcp_iflag_f32_e32 v3, v3
	v_mul_f32_e32 v3, 0x4f7ffffe, v3
	v_cvt_u32_f32_e32 v3, v3
	v_mul_lo_u32 v4, s2, v3
	v_mul_hi_u32 v4, v3, v4
	v_add_u32_e32 v3, v3, v4
	v_mul_hi_u32 v3, v0, v3
	v_mul_lo_u32 v4, v3, s6
	v_add_u32_e32 v5, 1, v3
	v_sub_u32_e32 v4, v0, v4
	v_subrev_u32_e32 v6, s6, v4
	v_cmp_le_u32_e32 vcc, s6, v4
	v_cndmask_b32_e32 v4, v4, v6, vcc
	v_cndmask_b32_e32 v3, v3, v5, vcc
	v_add_u32_e32 v5, 1, v3
	v_cmp_le_u32_e32 vcc, s6, v4
	v_cndmask_b32_e32 v6, v3, v5, vcc
.LBB102_7:                              ;   in Loop: Header=BB102_3 Depth=1
	s_or_b64 exec, exec, s[0:1]
	s_waitcnt lgkmcnt(0)
	v_or_b32_e32 v3, s17, v7
	v_cmp_ne_u64_e32 vcc, 0, v[2:3]
                                        ; implicit-def: $vgpr8_vgpr9
	s_and_saveexec_b64 s[0:1], vcc
	s_xor_b64 s[2:3], exec, s[0:1]
	s_cbranch_execz .LBB102_9
; %bb.8:                                ;   in Loop: Header=BB102_3 Depth=1
	s_ashr_i32 s36, s17, 31
	s_add_u32 s0, s16, s36
	s_mov_b32 s37, s36
	s_addc_u32 s1, s17, s36
	s_xor_b64 s[38:39], s[0:1], s[36:37]
	v_cvt_f32_u32_e32 v3, s38
	v_cvt_f32_u32_e32 v4, s39
	s_sub_u32 s37, 0, s38
	s_subb_u32 s40, 0, s39
	v_ashrrev_i32_e32 v5, 31, v7
	v_mac_f32_e32 v3, 0x4f800000, v4
	v_rcp_f32_e32 v3, v3
	v_mul_f32_e32 v3, 0x5f7ffffc, v3
	v_mul_f32_e32 v4, 0x2f800000, v3
	v_trunc_f32_e32 v4, v4
	v_mac_f32_e32 v3, 0xcf800000, v4
	v_cvt_u32_f32_e32 v4, v4
	v_cvt_u32_f32_e32 v3, v3
	v_readfirstlane_b32 s41, v4
	v_readfirstlane_b32 s0, v3
	s_mul_i32 s1, s37, s41
	s_mul_hi_u32 s43, s37, s0
	s_mul_i32 s42, s40, s0
	s_add_i32 s1, s43, s1
	s_add_i32 s1, s1, s42
	s_mul_i32 s44, s37, s0
	s_mul_i32 s43, s0, s1
	s_mul_hi_u32 s45, s0, s44
	s_mul_hi_u32 s42, s0, s1
	s_add_u32 s43, s45, s43
	s_addc_u32 s42, 0, s42
	s_mul_hi_u32 s46, s41, s44
	s_mul_i32 s44, s41, s44
	s_add_u32 s43, s43, s44
	s_mul_hi_u32 s45, s41, s1
	s_addc_u32 s42, s42, s46
	s_addc_u32 s43, s45, 0
	s_mul_i32 s1, s41, s1
	s_add_u32 s1, s42, s1
	s_addc_u32 s42, 0, s43
	s_add_u32 s43, s0, s1
	s_cselect_b64 s[0:1], -1, 0
	s_cmp_lg_u64 s[0:1], 0
	s_addc_u32 s41, s41, s42
	s_mul_i32 s0, s37, s41
	s_mul_hi_u32 s1, s37, s43
	s_add_i32 s0, s1, s0
	s_mul_i32 s40, s40, s43
	s_add_i32 s0, s0, s40
	s_mul_i32 s37, s37, s43
	s_mul_hi_u32 s40, s41, s37
	s_mul_i32 s42, s41, s37
	s_mul_i32 s45, s43, s0
	s_mul_hi_u32 s37, s43, s37
	s_mul_hi_u32 s44, s43, s0
	s_add_u32 s37, s37, s45
	s_addc_u32 s44, 0, s44
	s_add_u32 s37, s37, s42
	s_mul_hi_u32 s1, s41, s0
	s_addc_u32 s37, s44, s40
	s_addc_u32 s1, s1, 0
	s_mul_i32 s0, s41, s0
	s_add_u32 s0, s37, s0
	s_addc_u32 s37, 0, s1
	s_add_u32 s40, s43, s0
	s_cselect_b64 s[0:1], -1, 0
	s_cmp_lg_u64 s[0:1], 0
	v_add_co_u32_e32 v3, vcc, v6, v5
	s_addc_u32 s37, s41, s37
	v_xor_b32_e32 v10, v3, v5
	v_mad_u64_u32 v[3:4], s[0:1], v10, s37, 0
	v_mul_hi_u32 v9, v10, s40
	v_addc_co_u32_e32 v8, vcc, v7, v5, vcc
	v_xor_b32_e32 v11, v8, v5
	v_add_co_u32_e32 v12, vcc, v9, v3
	v_addc_co_u32_e32 v13, vcc, 0, v4, vcc
	v_mad_u64_u32 v[3:4], s[0:1], v11, s40, 0
	v_mad_u64_u32 v[8:9], s[0:1], v11, s37, 0
	v_add_co_u32_e32 v3, vcc, v12, v3
	v_addc_co_u32_e32 v3, vcc, v13, v4, vcc
	v_addc_co_u32_e32 v4, vcc, 0, v9, vcc
	v_add_co_u32_e32 v8, vcc, v3, v8
	v_addc_co_u32_e32 v9, vcc, 0, v4, vcc
	v_mul_lo_u32 v12, s39, v8
	v_mul_lo_u32 v13, s38, v9
	v_mad_u64_u32 v[3:4], s[0:1], s38, v8, 0
	v_xor_b32_e32 v5, s36, v5
	v_add3_u32 v4, v4, v13, v12
	v_sub_u32_e32 v12, v11, v4
	v_mov_b32_e32 v13, s39
	v_sub_co_u32_e32 v3, vcc, v10, v3
	v_subb_co_u32_e64 v10, s[0:1], v12, v13, vcc
	v_subrev_co_u32_e64 v12, s[0:1], s38, v3
	v_subbrev_co_u32_e64 v10, s[0:1], 0, v10, s[0:1]
	v_cmp_le_u32_e64 s[0:1], s39, v10
	v_cndmask_b32_e64 v13, 0, -1, s[0:1]
	v_cmp_le_u32_e64 s[0:1], s38, v12
	v_cndmask_b32_e64 v12, 0, -1, s[0:1]
	v_cmp_eq_u32_e64 s[0:1], s39, v10
	v_cndmask_b32_e64 v10, v13, v12, s[0:1]
	v_add_co_u32_e64 v12, s[0:1], 2, v8
	v_subb_co_u32_e32 v4, vcc, v11, v4, vcc
	v_addc_co_u32_e64 v13, s[0:1], 0, v9, s[0:1]
	v_cmp_le_u32_e32 vcc, s39, v4
	v_add_co_u32_e64 v14, s[0:1], 1, v8
	v_cndmask_b32_e64 v11, 0, -1, vcc
	v_cmp_le_u32_e32 vcc, s38, v3
	v_addc_co_u32_e64 v15, s[0:1], 0, v9, s[0:1]
	v_cndmask_b32_e64 v3, 0, -1, vcc
	v_cmp_eq_u32_e32 vcc, s39, v4
	v_cmp_ne_u32_e64 s[0:1], 0, v10
	v_cndmask_b32_e32 v3, v11, v3, vcc
	v_cmp_ne_u32_e32 vcc, 0, v3
	v_cndmask_b32_e64 v4, v14, v12, s[0:1]
	v_cndmask_b32_e64 v10, v15, v13, s[0:1]
	v_cndmask_b32_e32 v4, v8, v4, vcc
	v_cndmask_b32_e32 v3, v9, v10, vcc
	v_xor_b32_e32 v4, v4, v5
	v_xor_b32_e32 v3, v3, v5
	v_sub_co_u32_e32 v8, vcc, v4, v5
	v_subb_co_u32_e32 v9, vcc, v3, v5, vcc
.LBB102_9:                              ;   in Loop: Header=BB102_3 Depth=1
	s_andn2_saveexec_b64 s[0:1], s[2:3]
	s_cbranch_execz .LBB102_11
; %bb.10:                               ;   in Loop: Header=BB102_3 Depth=1
	v_cvt_f32_u32_e32 v3, s16
	s_sub_i32 s2, 0, s16
	v_mov_b32_e32 v9, v2
	v_rcp_iflag_f32_e32 v3, v3
	v_mul_f32_e32 v3, 0x4f7ffffe, v3
	v_cvt_u32_f32_e32 v3, v3
	v_mul_lo_u32 v4, s2, v3
	v_mul_hi_u32 v4, v3, v4
	v_add_u32_e32 v3, v3, v4
	v_mul_hi_u32 v3, v6, v3
	v_mul_lo_u32 v4, v3, s16
	v_add_u32_e32 v5, 1, v3
	v_sub_u32_e32 v4, v6, v4
	v_subrev_u32_e32 v8, s16, v4
	v_cmp_le_u32_e32 vcc, s16, v4
	v_cndmask_b32_e32 v4, v4, v8, vcc
	v_cndmask_b32_e32 v3, v3, v5, vcc
	v_add_u32_e32 v5, 1, v3
	v_cmp_le_u32_e32 vcc, s16, v4
	v_cndmask_b32_e32 v8, v3, v5, vcc
.LBB102_11:                             ;   in Loop: Header=BB102_3 Depth=1
	s_or_b64 exec, exec, s[0:1]
	v_mul_lo_u32 v5, v7, s6
	v_mul_lo_u32 v10, v6, s7
	v_mad_u64_u32 v[3:4], s[0:1], v6, s6, 0
	v_mul_lo_u32 v12, v9, s16
	v_mul_lo_u32 v13, v8, s17
	v_add3_u32 v5, v4, v10, v5
	v_mad_u64_u32 v[10:11], s[0:1], v8, s16, 0
	v_sub_co_u32_e32 v4, vcc, v0, v3
	v_subb_co_u32_e32 v5, vcc, v1, v5, vcc
	v_add3_u32 v3, v11, v13, v12
	v_sub_co_u32_e32 v18, vcc, v6, v10
	v_subb_co_u32_e32 v19, vcc, v7, v3, vcc
	v_sub_co_u32_e32 v6, vcc, v4, v18
	v_subb_co_u32_e32 v7, vcc, v5, v19, vcc
	v_cmp_gt_i64_e32 vcc, s[8:9], v[6:7]
	s_and_saveexec_b64 s[36:37], vcc
	s_cbranch_execz .LBB102_2
; %bb.12:                               ;   in Loop: Header=BB102_3 Depth=1
	s_load_dwordx4 s[0:3], s[18:19], 0xc0
	s_andn2_b64 vcc, exec, s[14:15]
	s_waitcnt lgkmcnt(0)
	v_mul_lo_u32 v3, s3, v4
	v_mul_lo_u32 v10, s2, v5
	v_mad_u64_u32 v[6:7], s[38:39], s2, v4, 0
	v_mul_lo_u32 v11, s0, v19
	v_add3_u32 v7, v7, v10, v3
	v_mad_u64_u32 v[6:7], s[38:39], s0, v18, v[6:7]
	v_mul_lo_u32 v3, s1, v18
	v_add3_u32 v7, v3, v7, v11
	s_cbranch_vccnz .LBB102_38
; %bb.13:                               ;   in Loop: Header=BB102_3 Depth=1
	s_andn2_b64 vcc, exec, s[26:27]
	s_mov_b64 s[38:39], s[24:25]
	s_mov_b64 s[40:41], s[34:35]
	;; [unrolled: 1-line block ×4, first 2 shown]
	s_cbranch_vccz .LBB102_17
.LBB102_14:                             ;   in Loop: Header=BB102_3 Depth=1
	s_andn2_b64 vcc, exec, s[28:29]
	s_cbranch_vccnz .LBB102_38
; %bb.15:                               ;   in Loop: Header=BB102_3 Depth=1
	s_lshl_b64 s[0:1], s[42:43], 3
	s_add_u32 s38, s64, s0
	s_addc_u32 s39, s65, s1
	s_add_u32 s40, s66, s0
	s_addc_u32 s41, s67, s1
	;; [unrolled: 2-line block ×3, first 2 shown]
	s_branch .LBB102_22
.LBB102_16:                             ;   in Loop: Header=BB102_17 Depth=2
	s_or_b64 exec, exec, s[0:1]
	v_mul_lo_u32 v3, v11, s46
	v_mul_lo_u32 v14, v10, s47
	v_mad_u64_u32 v[12:13], s[0:1], v10, s46, 0
	s_load_dwordx2 s[0:1], s[44:45], 0x0
	s_add_u32 s42, s42, -1
	v_add3_u32 v3, v13, v14, v3
	v_sub_co_u32_e32 v8, vcc, v8, v12
	s_addc_u32 s43, s43, -1
	v_subb_co_u32_e32 v3, vcc, v9, v3, vcc
	s_add_u32 s44, s44, -8
	s_waitcnt lgkmcnt(0)
	v_mul_lo_u32 v3, s0, v3
	v_mul_lo_u32 v9, s1, v8
	v_mad_u64_u32 v[6:7], s[0:1], s0, v8, v[6:7]
	s_addc_u32 s45, s45, -1
	s_add_u32 s40, s40, -8
	s_addc_u32 s41, s41, -1
	s_add_u32 s38, s38, -1
	s_addc_u32 s39, s39, -1
	v_add3_u32 v7, v9, v7, v3
	v_mov_b32_e32 v8, v10
	s_cmp_lg_u64 s[38:39], 0
	v_mov_b32_e32 v9, v11
	s_cbranch_scc0 .LBB102_14
.LBB102_17:                             ;   Parent Loop BB102_3 Depth=1
                                        ; =>  This Inner Loop Header: Depth=2
	s_load_dwordx2 s[46:47], s[40:41], 0x0
                                        ; implicit-def: $vgpr10_vgpr11
	s_waitcnt lgkmcnt(0)
	v_or_b32_e32 v3, s47, v9
	v_cmp_ne_u64_e32 vcc, 0, v[2:3]
	s_and_saveexec_b64 s[0:1], vcc
	s_xor_b64 s[48:49], exec, s[0:1]
	s_cbranch_execz .LBB102_19
; %bb.18:                               ;   in Loop: Header=BB102_17 Depth=2
	s_ashr_i32 s50, s47, 31
	s_add_u32 s0, s46, s50
	s_mov_b32 s51, s50
	s_addc_u32 s1, s47, s50
	s_xor_b64 s[52:53], s[0:1], s[50:51]
	v_cvt_f32_u32_e32 v3, s52
	v_cvt_f32_u32_e32 v10, s53
	s_sub_u32 s51, 0, s52
	s_subb_u32 s54, 0, s53
	v_mac_f32_e32 v3, 0x4f800000, v10
	v_rcp_f32_e32 v3, v3
	v_mul_f32_e32 v3, 0x5f7ffffc, v3
	v_mul_f32_e32 v10, 0x2f800000, v3
	v_trunc_f32_e32 v10, v10
	v_mac_f32_e32 v3, 0xcf800000, v10
	v_cvt_u32_f32_e32 v10, v10
	v_cvt_u32_f32_e32 v3, v3
	v_readfirstlane_b32 s55, v10
	v_readfirstlane_b32 s0, v3
	s_mul_i32 s1, s51, s55
	s_mul_hi_u32 s57, s51, s0
	s_mul_i32 s56, s54, s0
	s_add_i32 s1, s57, s1
	s_add_i32 s1, s1, s56
	s_mul_i32 s58, s51, s0
	s_mul_i32 s57, s0, s1
	s_mul_hi_u32 s59, s0, s58
	s_mul_hi_u32 s56, s0, s1
	s_add_u32 s57, s59, s57
	s_addc_u32 s56, 0, s56
	s_mul_hi_u32 s60, s55, s58
	s_mul_i32 s58, s55, s58
	s_add_u32 s57, s57, s58
	s_mul_hi_u32 s59, s55, s1
	s_addc_u32 s56, s56, s60
	s_addc_u32 s57, s59, 0
	s_mul_i32 s1, s55, s1
	s_add_u32 s1, s56, s1
	s_addc_u32 s56, 0, s57
	s_add_u32 s57, s0, s1
	s_cselect_b64 s[0:1], -1, 0
	s_cmp_lg_u64 s[0:1], 0
	s_addc_u32 s55, s55, s56
	s_mul_i32 s0, s51, s55
	s_mul_hi_u32 s1, s51, s57
	s_add_i32 s0, s1, s0
	s_mul_i32 s54, s54, s57
	s_add_i32 s0, s0, s54
	s_mul_i32 s51, s51, s57
	s_mul_hi_u32 s54, s55, s51
	s_mul_i32 s56, s55, s51
	s_mul_i32 s59, s57, s0
	s_mul_hi_u32 s51, s57, s51
	s_mul_hi_u32 s58, s57, s0
	s_add_u32 s51, s51, s59
	s_addc_u32 s58, 0, s58
	s_add_u32 s51, s51, s56
	s_mul_hi_u32 s1, s55, s0
	s_addc_u32 s51, s58, s54
	s_addc_u32 s1, s1, 0
	s_mul_i32 s0, s55, s0
	s_add_u32 s0, s51, s0
	s_addc_u32 s51, 0, s1
	s_add_u32 s54, s57, s0
	s_cselect_b64 s[0:1], -1, 0
	v_ashrrev_i32_e32 v3, 31, v9
	s_cmp_lg_u64 s[0:1], 0
	v_add_co_u32_e32 v10, vcc, v8, v3
	s_addc_u32 s51, s55, s51
	v_xor_b32_e32 v14, v10, v3
	v_mad_u64_u32 v[10:11], s[0:1], v14, s51, 0
	v_mul_hi_u32 v13, v14, s54
	v_addc_co_u32_e32 v12, vcc, v9, v3, vcc
	v_xor_b32_e32 v15, v12, v3
	v_add_co_u32_e32 v16, vcc, v13, v10
	v_addc_co_u32_e32 v17, vcc, 0, v11, vcc
	v_mad_u64_u32 v[10:11], s[0:1], v15, s54, 0
	v_mad_u64_u32 v[12:13], s[0:1], v15, s51, 0
	v_add_co_u32_e32 v10, vcc, v16, v10
	v_addc_co_u32_e32 v10, vcc, v17, v11, vcc
	v_addc_co_u32_e32 v11, vcc, 0, v13, vcc
	v_add_co_u32_e32 v12, vcc, v10, v12
	v_addc_co_u32_e32 v13, vcc, 0, v11, vcc
	v_mul_lo_u32 v16, s53, v12
	v_mul_lo_u32 v17, s52, v13
	v_mad_u64_u32 v[10:11], s[0:1], s52, v12, 0
	v_xor_b32_e32 v3, s50, v3
	v_add3_u32 v11, v11, v17, v16
	v_sub_u32_e32 v16, v15, v11
	v_mov_b32_e32 v17, s53
	v_sub_co_u32_e32 v10, vcc, v14, v10
	v_subb_co_u32_e64 v14, s[0:1], v16, v17, vcc
	v_subrev_co_u32_e64 v16, s[0:1], s52, v10
	v_subbrev_co_u32_e64 v14, s[0:1], 0, v14, s[0:1]
	v_cmp_le_u32_e64 s[0:1], s53, v14
	v_cndmask_b32_e64 v17, 0, -1, s[0:1]
	v_cmp_le_u32_e64 s[0:1], s52, v16
	v_cndmask_b32_e64 v16, 0, -1, s[0:1]
	v_cmp_eq_u32_e64 s[0:1], s53, v14
	v_cndmask_b32_e64 v14, v17, v16, s[0:1]
	v_add_co_u32_e64 v16, s[0:1], 2, v12
	v_subb_co_u32_e32 v11, vcc, v15, v11, vcc
	v_addc_co_u32_e64 v17, s[0:1], 0, v13, s[0:1]
	v_cmp_le_u32_e32 vcc, s53, v11
	v_add_co_u32_e64 v20, s[0:1], 1, v12
	v_cndmask_b32_e64 v15, 0, -1, vcc
	v_cmp_le_u32_e32 vcc, s52, v10
	v_addc_co_u32_e64 v21, s[0:1], 0, v13, s[0:1]
	v_cndmask_b32_e64 v10, 0, -1, vcc
	v_cmp_eq_u32_e32 vcc, s53, v11
	v_cmp_ne_u32_e64 s[0:1], 0, v14
	v_cndmask_b32_e32 v10, v15, v10, vcc
	v_cndmask_b32_e64 v14, v21, v17, s[0:1]
	v_cmp_ne_u32_e32 vcc, 0, v10
	v_cndmask_b32_e64 v11, v20, v16, s[0:1]
	v_cndmask_b32_e32 v10, v13, v14, vcc
	v_cndmask_b32_e32 v11, v12, v11, vcc
	v_xor_b32_e32 v12, v10, v3
	v_xor_b32_e32 v10, v11, v3
	v_sub_co_u32_e32 v10, vcc, v10, v3
	v_subb_co_u32_e32 v11, vcc, v12, v3, vcc
.LBB102_19:                             ;   in Loop: Header=BB102_17 Depth=2
	s_andn2_saveexec_b64 s[0:1], s[48:49]
	s_cbranch_execz .LBB102_16
; %bb.20:                               ;   in Loop: Header=BB102_17 Depth=2
	v_cvt_f32_u32_e32 v3, s46
	s_sub_i32 s48, 0, s46
	v_rcp_iflag_f32_e32 v3, v3
	v_mul_f32_e32 v3, 0x4f7ffffe, v3
	v_cvt_u32_f32_e32 v3, v3
	v_mul_lo_u32 v10, s48, v3
	v_mul_hi_u32 v10, v3, v10
	v_add_u32_e32 v3, v3, v10
	v_mul_hi_u32 v3, v8, v3
	v_mul_lo_u32 v10, v3, s46
	v_add_u32_e32 v11, 1, v3
	v_sub_u32_e32 v10, v8, v10
	v_subrev_u32_e32 v12, s46, v10
	v_cmp_le_u32_e32 vcc, s46, v10
	v_cndmask_b32_e32 v10, v10, v12, vcc
	v_cndmask_b32_e32 v3, v3, v11, vcc
	v_add_u32_e32 v11, 1, v3
	v_cmp_le_u32_e32 vcc, s46, v10
	v_cndmask_b32_e32 v10, v3, v11, vcc
	v_mov_b32_e32 v11, v2
	s_branch .LBB102_16
.LBB102_21:                             ;   in Loop: Header=BB102_22 Depth=2
	s_or_b64 exec, exec, s[0:1]
	v_mul_lo_u32 v3, v11, s44
	v_mul_lo_u32 v22, v10, s45
	v_mad_u64_u32 v[20:21], s[0:1], v10, s44, 0
	v_add3_u32 v3, v21, v22, v3
	v_sub_co_u32_e32 v8, vcc, v8, v20
	v_subb_co_u32_e32 v3, vcc, v9, v3, vcc
	v_mul_lo_u32 v3, s48, v3
	v_mul_lo_u32 v20, s49, v8
	v_mad_u64_u32 v[6:7], s[0:1], s48, v8, v[6:7]
	v_mul_lo_u32 v21, v13, s46
	v_mul_lo_u32 v22, v12, s47
	v_mad_u64_u32 v[8:9], s[0:1], v12, s46, 0
	v_add3_u32 v7, v20, v7, v3
	v_mul_lo_u32 v20, v14, s51
	v_add3_u32 v3, v9, v22, v21
	v_sub_co_u32_e32 v8, vcc, v10, v8
	v_subb_co_u32_e32 v3, vcc, v11, v3, vcc
	v_mad_u64_u32 v[6:7], s[0:1], s52, v8, v[6:7]
	v_mul_lo_u32 v3, s52, v3
	v_mul_lo_u32 v10, s53, v8
	;; [unrolled: 1-line block ×3, first 2 shown]
	v_mad_u64_u32 v[8:9], s[0:1], v14, s50, 0
	v_add3_u32 v7, v10, v7, v3
	v_add3_u32 v3, v9, v20, v11
	v_sub_co_u32_e32 v8, vcc, v12, v8
	v_subb_co_u32_e32 v3, vcc, v13, v3, vcc
	v_mad_u64_u32 v[6:7], s[0:1], s56, v8, v[6:7]
	v_mul_lo_u32 v3, s56, v3
	v_mul_lo_u32 v10, s57, v8
	;; [unrolled: 1-line block ×4, first 2 shown]
	v_mad_u64_u32 v[8:9], s[0:1], v16, s54, 0
	s_load_dwordx2 s[0:1], s[38:39], 0x0
	v_add3_u32 v7, v10, v7, v3
	v_add3_u32 v3, v9, v12, v11
	v_sub_co_u32_e32 v8, vcc, v14, v8
	v_subb_co_u32_e32 v3, vcc, v15, v3, vcc
	s_add_u32 s38, s38, 0xffffffe0
	s_waitcnt lgkmcnt(0)
	v_mad_u64_u32 v[6:7], s[44:45], s0, v8, v[6:7]
	v_mul_lo_u32 v3, s0, v3
	v_mul_lo_u32 v8, s1, v8
	s_addc_u32 s39, s39, -1
	s_add_u32 s40, s40, 0xffffffe0
	s_addc_u32 s41, s41, -1
	s_add_u32 s42, s42, -4
	v_add3_u32 v7, v8, v7, v3
	s_addc_u32 s43, s43, -1
	v_mov_b32_e32 v8, v16
	s_cmp_eq_u64 s[42:43], 0
	v_mov_b32_e32 v9, v17
	s_cbranch_scc1 .LBB102_38
.LBB102_22:                             ;   Parent Loop BB102_3 Depth=1
                                        ; =>  This Inner Loop Header: Depth=2
	s_load_dwordx2 s[44:45], s[40:41], 0x18
                                        ; implicit-def: $vgpr10_vgpr11
	s_waitcnt lgkmcnt(0)
	v_or_b32_e32 v3, s45, v9
	v_cmp_ne_u64_e32 vcc, 0, v[2:3]
	s_and_saveexec_b64 s[0:1], vcc
	s_xor_b64 s[46:47], exec, s[0:1]
	s_cbranch_execz .LBB102_24
; %bb.23:                               ;   in Loop: Header=BB102_22 Depth=2
	s_ashr_i32 s48, s45, 31
	s_add_u32 s0, s44, s48
	s_mov_b32 s49, s48
	s_addc_u32 s1, s45, s48
	s_xor_b64 s[50:51], s[0:1], s[48:49]
	v_cvt_f32_u32_e32 v3, s50
	v_cvt_f32_u32_e32 v10, s51
	s_sub_u32 s49, 0, s50
	s_subb_u32 s52, 0, s51
	v_mac_f32_e32 v3, 0x4f800000, v10
	v_rcp_f32_e32 v3, v3
	v_mul_f32_e32 v3, 0x5f7ffffc, v3
	v_mul_f32_e32 v10, 0x2f800000, v3
	v_trunc_f32_e32 v10, v10
	v_mac_f32_e32 v3, 0xcf800000, v10
	v_cvt_u32_f32_e32 v10, v10
	v_cvt_u32_f32_e32 v3, v3
	v_readfirstlane_b32 s53, v10
	v_readfirstlane_b32 s0, v3
	s_mul_i32 s1, s49, s53
	s_mul_hi_u32 s55, s49, s0
	s_mul_i32 s54, s52, s0
	s_add_i32 s1, s55, s1
	s_add_i32 s1, s1, s54
	s_mul_i32 s56, s49, s0
	s_mul_i32 s55, s0, s1
	s_mul_hi_u32 s57, s0, s56
	s_mul_hi_u32 s54, s0, s1
	s_add_u32 s55, s57, s55
	s_addc_u32 s54, 0, s54
	s_mul_hi_u32 s58, s53, s56
	s_mul_i32 s56, s53, s56
	s_add_u32 s55, s55, s56
	s_mul_hi_u32 s57, s53, s1
	s_addc_u32 s54, s54, s58
	s_addc_u32 s55, s57, 0
	s_mul_i32 s1, s53, s1
	s_add_u32 s1, s54, s1
	s_addc_u32 s54, 0, s55
	s_add_u32 s55, s0, s1
	s_cselect_b64 s[0:1], -1, 0
	s_cmp_lg_u64 s[0:1], 0
	s_addc_u32 s53, s53, s54
	s_mul_i32 s0, s49, s53
	s_mul_hi_u32 s1, s49, s55
	s_add_i32 s0, s1, s0
	s_mul_i32 s52, s52, s55
	s_add_i32 s0, s0, s52
	s_mul_i32 s49, s49, s55
	s_mul_hi_u32 s52, s53, s49
	s_mul_i32 s54, s53, s49
	s_mul_i32 s57, s55, s0
	s_mul_hi_u32 s49, s55, s49
	s_mul_hi_u32 s56, s55, s0
	s_add_u32 s49, s49, s57
	s_addc_u32 s56, 0, s56
	s_add_u32 s49, s49, s54
	s_mul_hi_u32 s1, s53, s0
	s_addc_u32 s49, s56, s52
	s_addc_u32 s1, s1, 0
	s_mul_i32 s0, s53, s0
	s_add_u32 s0, s49, s0
	s_addc_u32 s49, 0, s1
	s_add_u32 s52, s55, s0
	s_cselect_b64 s[0:1], -1, 0
	v_ashrrev_i32_e32 v3, 31, v9
	s_cmp_lg_u64 s[0:1], 0
	v_add_co_u32_e32 v10, vcc, v8, v3
	s_addc_u32 s49, s53, s49
	v_xor_b32_e32 v14, v10, v3
	v_mad_u64_u32 v[10:11], s[0:1], v14, s49, 0
	v_mul_hi_u32 v13, v14, s52
	v_addc_co_u32_e32 v12, vcc, v9, v3, vcc
	v_xor_b32_e32 v15, v12, v3
	v_add_co_u32_e32 v16, vcc, v13, v10
	v_addc_co_u32_e32 v17, vcc, 0, v11, vcc
	v_mad_u64_u32 v[10:11], s[0:1], v15, s52, 0
	v_mad_u64_u32 v[12:13], s[0:1], v15, s49, 0
	v_add_co_u32_e32 v10, vcc, v16, v10
	v_addc_co_u32_e32 v10, vcc, v17, v11, vcc
	v_addc_co_u32_e32 v11, vcc, 0, v13, vcc
	v_add_co_u32_e32 v12, vcc, v10, v12
	v_addc_co_u32_e32 v13, vcc, 0, v11, vcc
	v_mul_lo_u32 v16, s51, v12
	v_mul_lo_u32 v17, s50, v13
	v_mad_u64_u32 v[10:11], s[0:1], s50, v12, 0
	v_xor_b32_e32 v3, s48, v3
	v_add3_u32 v11, v11, v17, v16
	v_sub_u32_e32 v16, v15, v11
	v_mov_b32_e32 v17, s51
	v_sub_co_u32_e32 v10, vcc, v14, v10
	v_subb_co_u32_e64 v14, s[0:1], v16, v17, vcc
	v_subrev_co_u32_e64 v16, s[0:1], s50, v10
	v_subbrev_co_u32_e64 v14, s[0:1], 0, v14, s[0:1]
	v_cmp_le_u32_e64 s[0:1], s51, v14
	v_cndmask_b32_e64 v17, 0, -1, s[0:1]
	v_cmp_le_u32_e64 s[0:1], s50, v16
	v_cndmask_b32_e64 v16, 0, -1, s[0:1]
	v_cmp_eq_u32_e64 s[0:1], s51, v14
	v_cndmask_b32_e64 v14, v17, v16, s[0:1]
	v_add_co_u32_e64 v16, s[0:1], 2, v12
	v_subb_co_u32_e32 v11, vcc, v15, v11, vcc
	v_addc_co_u32_e64 v17, s[0:1], 0, v13, s[0:1]
	v_cmp_le_u32_e32 vcc, s51, v11
	v_add_co_u32_e64 v20, s[0:1], 1, v12
	v_cndmask_b32_e64 v15, 0, -1, vcc
	v_cmp_le_u32_e32 vcc, s50, v10
	v_addc_co_u32_e64 v21, s[0:1], 0, v13, s[0:1]
	v_cndmask_b32_e64 v10, 0, -1, vcc
	v_cmp_eq_u32_e32 vcc, s51, v11
	v_cmp_ne_u32_e64 s[0:1], 0, v14
	v_cndmask_b32_e32 v10, v15, v10, vcc
	v_cndmask_b32_e64 v14, v21, v17, s[0:1]
	v_cmp_ne_u32_e32 vcc, 0, v10
	v_cndmask_b32_e64 v11, v20, v16, s[0:1]
	v_cndmask_b32_e32 v10, v13, v14, vcc
	v_cndmask_b32_e32 v11, v12, v11, vcc
	v_xor_b32_e32 v12, v10, v3
	v_xor_b32_e32 v10, v11, v3
	v_sub_co_u32_e32 v10, vcc, v10, v3
	v_subb_co_u32_e32 v11, vcc, v12, v3, vcc
.LBB102_24:                             ;   in Loop: Header=BB102_22 Depth=2
	s_andn2_saveexec_b64 s[0:1], s[46:47]
	s_cbranch_execz .LBB102_26
; %bb.25:                               ;   in Loop: Header=BB102_22 Depth=2
	v_cvt_f32_u32_e32 v3, s44
	s_sub_i32 s46, 0, s44
	v_rcp_iflag_f32_e32 v3, v3
	v_mul_f32_e32 v3, 0x4f7ffffe, v3
	v_cvt_u32_f32_e32 v3, v3
	v_mul_lo_u32 v10, s46, v3
	v_mul_hi_u32 v10, v3, v10
	v_add_u32_e32 v3, v3, v10
	v_mul_hi_u32 v3, v8, v3
	v_mul_lo_u32 v10, v3, s44
	v_add_u32_e32 v11, 1, v3
	v_sub_u32_e32 v10, v8, v10
	v_subrev_u32_e32 v12, s44, v10
	v_cmp_le_u32_e32 vcc, s44, v10
	v_cndmask_b32_e32 v10, v10, v12, vcc
	v_cndmask_b32_e32 v3, v3, v11, vcc
	v_add_u32_e32 v11, 1, v3
	v_cmp_le_u32_e32 vcc, s44, v10
	v_cndmask_b32_e32 v10, v3, v11, vcc
	v_mov_b32_e32 v11, v2
.LBB102_26:                             ;   in Loop: Header=BB102_22 Depth=2
	s_or_b64 exec, exec, s[0:1]
	s_load_dwordx2 s[46:47], s[40:41], 0x10
	s_load_dwordx2 s[48:49], s[38:39], 0x18
                                        ; implicit-def: $vgpr12_vgpr13
	s_waitcnt lgkmcnt(0)
	v_or_b32_e32 v3, s47, v11
	v_cmp_ne_u64_e32 vcc, 0, v[2:3]
	s_and_saveexec_b64 s[0:1], vcc
	s_xor_b64 s[50:51], exec, s[0:1]
	s_cbranch_execz .LBB102_28
; %bb.27:                               ;   in Loop: Header=BB102_22 Depth=2
	s_ashr_i32 s52, s47, 31
	s_add_u32 s0, s46, s52
	s_mov_b32 s53, s52
	s_addc_u32 s1, s47, s52
	s_xor_b64 s[54:55], s[0:1], s[52:53]
	v_cvt_f32_u32_e32 v3, s54
	v_cvt_f32_u32_e32 v12, s55
	s_sub_u32 s53, 0, s54
	s_subb_u32 s56, 0, s55
	v_mac_f32_e32 v3, 0x4f800000, v12
	v_rcp_f32_e32 v3, v3
	v_mul_f32_e32 v3, 0x5f7ffffc, v3
	v_mul_f32_e32 v12, 0x2f800000, v3
	v_trunc_f32_e32 v12, v12
	v_mac_f32_e32 v3, 0xcf800000, v12
	v_cvt_u32_f32_e32 v12, v12
	v_cvt_u32_f32_e32 v3, v3
	v_readfirstlane_b32 s57, v12
	v_readfirstlane_b32 s0, v3
	s_mul_i32 s1, s53, s57
	s_mul_hi_u32 s59, s53, s0
	s_mul_i32 s58, s56, s0
	s_add_i32 s1, s59, s1
	s_add_i32 s1, s1, s58
	s_mul_i32 s60, s53, s0
	s_mul_i32 s59, s0, s1
	s_mul_hi_u32 s61, s0, s60
	s_mul_hi_u32 s58, s0, s1
	s_add_u32 s59, s61, s59
	s_addc_u32 s58, 0, s58
	s_mul_hi_u32 s62, s57, s60
	s_mul_i32 s60, s57, s60
	s_add_u32 s59, s59, s60
	s_mul_hi_u32 s61, s57, s1
	s_addc_u32 s58, s58, s62
	s_addc_u32 s59, s61, 0
	s_mul_i32 s1, s57, s1
	s_add_u32 s1, s58, s1
	s_addc_u32 s58, 0, s59
	s_add_u32 s59, s0, s1
	s_cselect_b64 s[0:1], -1, 0
	s_cmp_lg_u64 s[0:1], 0
	s_addc_u32 s57, s57, s58
	s_mul_i32 s0, s53, s57
	s_mul_hi_u32 s1, s53, s59
	s_add_i32 s0, s1, s0
	s_mul_i32 s56, s56, s59
	s_add_i32 s0, s0, s56
	s_mul_i32 s53, s53, s59
	s_mul_hi_u32 s56, s57, s53
	s_mul_i32 s58, s57, s53
	s_mul_i32 s61, s59, s0
	s_mul_hi_u32 s53, s59, s53
	s_mul_hi_u32 s60, s59, s0
	s_add_u32 s53, s53, s61
	s_addc_u32 s60, 0, s60
	s_add_u32 s53, s53, s58
	s_mul_hi_u32 s1, s57, s0
	s_addc_u32 s53, s60, s56
	s_addc_u32 s1, s1, 0
	s_mul_i32 s0, s57, s0
	s_add_u32 s0, s53, s0
	s_addc_u32 s53, 0, s1
	s_add_u32 s56, s59, s0
	s_cselect_b64 s[0:1], -1, 0
	v_ashrrev_i32_e32 v3, 31, v11
	s_cmp_lg_u64 s[0:1], 0
	v_add_co_u32_e32 v12, vcc, v10, v3
	s_addc_u32 s53, s57, s53
	v_xor_b32_e32 v16, v12, v3
	v_mad_u64_u32 v[12:13], s[0:1], v16, s53, 0
	v_mul_hi_u32 v15, v16, s56
	v_addc_co_u32_e32 v14, vcc, v11, v3, vcc
	v_xor_b32_e32 v17, v14, v3
	v_add_co_u32_e32 v20, vcc, v15, v12
	v_addc_co_u32_e32 v21, vcc, 0, v13, vcc
	v_mad_u64_u32 v[12:13], s[0:1], v17, s56, 0
	v_mad_u64_u32 v[14:15], s[0:1], v17, s53, 0
	v_add_co_u32_e32 v12, vcc, v20, v12
	v_addc_co_u32_e32 v12, vcc, v21, v13, vcc
	v_addc_co_u32_e32 v13, vcc, 0, v15, vcc
	v_add_co_u32_e32 v14, vcc, v12, v14
	v_addc_co_u32_e32 v15, vcc, 0, v13, vcc
	v_mul_lo_u32 v20, s55, v14
	v_mul_lo_u32 v21, s54, v15
	v_mad_u64_u32 v[12:13], s[0:1], s54, v14, 0
	v_xor_b32_e32 v3, s52, v3
	v_add3_u32 v13, v13, v21, v20
	v_sub_u32_e32 v20, v17, v13
	v_mov_b32_e32 v21, s55
	v_sub_co_u32_e32 v12, vcc, v16, v12
	v_subb_co_u32_e64 v16, s[0:1], v20, v21, vcc
	v_subrev_co_u32_e64 v20, s[0:1], s54, v12
	v_subbrev_co_u32_e64 v16, s[0:1], 0, v16, s[0:1]
	v_cmp_le_u32_e64 s[0:1], s55, v16
	v_cndmask_b32_e64 v21, 0, -1, s[0:1]
	v_cmp_le_u32_e64 s[0:1], s54, v20
	v_cndmask_b32_e64 v20, 0, -1, s[0:1]
	v_cmp_eq_u32_e64 s[0:1], s55, v16
	v_cndmask_b32_e64 v16, v21, v20, s[0:1]
	v_add_co_u32_e64 v20, s[0:1], 2, v14
	v_subb_co_u32_e32 v13, vcc, v17, v13, vcc
	v_addc_co_u32_e64 v21, s[0:1], 0, v15, s[0:1]
	v_cmp_le_u32_e32 vcc, s55, v13
	v_add_co_u32_e64 v22, s[0:1], 1, v14
	v_cndmask_b32_e64 v17, 0, -1, vcc
	v_cmp_le_u32_e32 vcc, s54, v12
	v_addc_co_u32_e64 v23, s[0:1], 0, v15, s[0:1]
	v_cndmask_b32_e64 v12, 0, -1, vcc
	v_cmp_eq_u32_e32 vcc, s55, v13
	v_cmp_ne_u32_e64 s[0:1], 0, v16
	v_cndmask_b32_e32 v12, v17, v12, vcc
	v_cndmask_b32_e64 v16, v23, v21, s[0:1]
	v_cmp_ne_u32_e32 vcc, 0, v12
	v_cndmask_b32_e64 v13, v22, v20, s[0:1]
	v_cndmask_b32_e32 v12, v15, v16, vcc
	v_cndmask_b32_e32 v13, v14, v13, vcc
	v_xor_b32_e32 v14, v12, v3
	v_xor_b32_e32 v12, v13, v3
	v_sub_co_u32_e32 v12, vcc, v12, v3
	v_subb_co_u32_e32 v13, vcc, v14, v3, vcc
.LBB102_28:                             ;   in Loop: Header=BB102_22 Depth=2
	s_andn2_saveexec_b64 s[0:1], s[50:51]
	s_cbranch_execz .LBB102_30
; %bb.29:                               ;   in Loop: Header=BB102_22 Depth=2
	v_cvt_f32_u32_e32 v3, s46
	s_sub_i32 s50, 0, s46
	v_rcp_iflag_f32_e32 v3, v3
	v_mul_f32_e32 v3, 0x4f7ffffe, v3
	v_cvt_u32_f32_e32 v3, v3
	v_mul_lo_u32 v12, s50, v3
	v_mul_hi_u32 v12, v3, v12
	v_add_u32_e32 v3, v3, v12
	v_mul_hi_u32 v3, v10, v3
	v_mul_lo_u32 v12, v3, s46
	v_add_u32_e32 v13, 1, v3
	v_sub_u32_e32 v12, v10, v12
	v_subrev_u32_e32 v14, s46, v12
	v_cmp_le_u32_e32 vcc, s46, v12
	v_cndmask_b32_e32 v12, v12, v14, vcc
	v_cndmask_b32_e32 v3, v3, v13, vcc
	v_add_u32_e32 v13, 1, v3
	v_cmp_le_u32_e32 vcc, s46, v12
	v_cndmask_b32_e32 v12, v3, v13, vcc
	v_mov_b32_e32 v13, v2
.LBB102_30:                             ;   in Loop: Header=BB102_22 Depth=2
	s_or_b64 exec, exec, s[0:1]
	s_load_dwordx2 s[50:51], s[40:41], 0x8
	s_load_dwordx2 s[52:53], s[38:39], 0x10
                                        ; implicit-def: $vgpr14_vgpr15
	s_waitcnt lgkmcnt(0)
	v_or_b32_e32 v3, s51, v13
	v_cmp_ne_u64_e32 vcc, 0, v[2:3]
	s_and_saveexec_b64 s[0:1], vcc
	s_xor_b64 s[54:55], exec, s[0:1]
	s_cbranch_execz .LBB102_32
; %bb.31:                               ;   in Loop: Header=BB102_22 Depth=2
	s_ashr_i32 s56, s51, 31
	s_add_u32 s0, s50, s56
	s_mov_b32 s57, s56
	s_addc_u32 s1, s51, s56
	s_xor_b64 s[58:59], s[0:1], s[56:57]
	v_cvt_f32_u32_e32 v3, s58
	v_cvt_f32_u32_e32 v14, s59
	s_sub_u32 s57, 0, s58
	s_subb_u32 s60, 0, s59
	v_mac_f32_e32 v3, 0x4f800000, v14
	v_rcp_f32_e32 v3, v3
	v_mul_f32_e32 v3, 0x5f7ffffc, v3
	v_mul_f32_e32 v14, 0x2f800000, v3
	v_trunc_f32_e32 v14, v14
	v_mac_f32_e32 v3, 0xcf800000, v14
	v_cvt_u32_f32_e32 v14, v14
	v_cvt_u32_f32_e32 v3, v3
	v_readfirstlane_b32 s61, v14
	v_readfirstlane_b32 s0, v3
	s_mul_i32 s1, s57, s61
	s_mul_hi_u32 s63, s57, s0
	s_mul_i32 s62, s60, s0
	s_add_i32 s1, s63, s1
	s_add_i32 s1, s1, s62
	s_mul_i32 s68, s57, s0
	s_mul_i32 s63, s0, s1
	s_mul_hi_u32 s69, s0, s68
	s_mul_hi_u32 s62, s0, s1
	s_add_u32 s63, s69, s63
	s_addc_u32 s62, 0, s62
	s_mul_hi_u32 s70, s61, s68
	s_mul_i32 s68, s61, s68
	s_add_u32 s63, s63, s68
	s_mul_hi_u32 s69, s61, s1
	s_addc_u32 s62, s62, s70
	s_addc_u32 s63, s69, 0
	s_mul_i32 s1, s61, s1
	s_add_u32 s1, s62, s1
	s_addc_u32 s62, 0, s63
	s_add_u32 s63, s0, s1
	s_cselect_b64 s[0:1], -1, 0
	s_cmp_lg_u64 s[0:1], 0
	s_addc_u32 s61, s61, s62
	s_mul_i32 s0, s57, s61
	s_mul_hi_u32 s1, s57, s63
	s_add_i32 s0, s1, s0
	s_mul_i32 s60, s60, s63
	s_add_i32 s0, s0, s60
	s_mul_i32 s57, s57, s63
	s_mul_hi_u32 s60, s61, s57
	s_mul_i32 s62, s61, s57
	s_mul_i32 s69, s63, s0
	s_mul_hi_u32 s57, s63, s57
	s_mul_hi_u32 s68, s63, s0
	s_add_u32 s57, s57, s69
	s_addc_u32 s68, 0, s68
	s_add_u32 s57, s57, s62
	s_mul_hi_u32 s1, s61, s0
	s_addc_u32 s57, s68, s60
	s_addc_u32 s1, s1, 0
	s_mul_i32 s0, s61, s0
	s_add_u32 s0, s57, s0
	s_addc_u32 s57, 0, s1
	s_add_u32 s60, s63, s0
	s_cselect_b64 s[0:1], -1, 0
	v_ashrrev_i32_e32 v3, 31, v13
	s_cmp_lg_u64 s[0:1], 0
	v_add_co_u32_e32 v14, vcc, v12, v3
	s_addc_u32 s57, s61, s57
	v_xor_b32_e32 v20, v14, v3
	v_mad_u64_u32 v[14:15], s[0:1], v20, s57, 0
	v_mul_hi_u32 v17, v20, s60
	v_addc_co_u32_e32 v16, vcc, v13, v3, vcc
	v_xor_b32_e32 v21, v16, v3
	v_add_co_u32_e32 v22, vcc, v17, v14
	v_addc_co_u32_e32 v23, vcc, 0, v15, vcc
	v_mad_u64_u32 v[14:15], s[0:1], v21, s60, 0
	v_mad_u64_u32 v[16:17], s[0:1], v21, s57, 0
	v_add_co_u32_e32 v14, vcc, v22, v14
	v_addc_co_u32_e32 v14, vcc, v23, v15, vcc
	v_addc_co_u32_e32 v15, vcc, 0, v17, vcc
	v_add_co_u32_e32 v16, vcc, v14, v16
	v_addc_co_u32_e32 v17, vcc, 0, v15, vcc
	v_mul_lo_u32 v22, s59, v16
	v_mul_lo_u32 v23, s58, v17
	v_mad_u64_u32 v[14:15], s[0:1], s58, v16, 0
	v_xor_b32_e32 v3, s56, v3
	v_add3_u32 v15, v15, v23, v22
	v_sub_u32_e32 v22, v21, v15
	v_mov_b32_e32 v23, s59
	v_sub_co_u32_e32 v14, vcc, v20, v14
	v_subb_co_u32_e64 v20, s[0:1], v22, v23, vcc
	v_subrev_co_u32_e64 v22, s[0:1], s58, v14
	v_subbrev_co_u32_e64 v20, s[0:1], 0, v20, s[0:1]
	v_cmp_le_u32_e64 s[0:1], s59, v20
	v_cndmask_b32_e64 v23, 0, -1, s[0:1]
	v_cmp_le_u32_e64 s[0:1], s58, v22
	v_cndmask_b32_e64 v22, 0, -1, s[0:1]
	v_cmp_eq_u32_e64 s[0:1], s59, v20
	v_cndmask_b32_e64 v20, v23, v22, s[0:1]
	v_add_co_u32_e64 v22, s[0:1], 2, v16
	v_subb_co_u32_e32 v15, vcc, v21, v15, vcc
	v_addc_co_u32_e64 v23, s[0:1], 0, v17, s[0:1]
	v_cmp_le_u32_e32 vcc, s59, v15
	v_add_co_u32_e64 v24, s[0:1], 1, v16
	v_cndmask_b32_e64 v21, 0, -1, vcc
	v_cmp_le_u32_e32 vcc, s58, v14
	v_addc_co_u32_e64 v25, s[0:1], 0, v17, s[0:1]
	v_cndmask_b32_e64 v14, 0, -1, vcc
	v_cmp_eq_u32_e32 vcc, s59, v15
	v_cmp_ne_u32_e64 s[0:1], 0, v20
	v_cndmask_b32_e32 v14, v21, v14, vcc
	v_cndmask_b32_e64 v20, v25, v23, s[0:1]
	v_cmp_ne_u32_e32 vcc, 0, v14
	v_cndmask_b32_e64 v15, v24, v22, s[0:1]
	v_cndmask_b32_e32 v14, v17, v20, vcc
	v_cndmask_b32_e32 v15, v16, v15, vcc
	v_xor_b32_e32 v16, v14, v3
	v_xor_b32_e32 v14, v15, v3
	v_sub_co_u32_e32 v14, vcc, v14, v3
	v_subb_co_u32_e32 v15, vcc, v16, v3, vcc
.LBB102_32:                             ;   in Loop: Header=BB102_22 Depth=2
	s_andn2_saveexec_b64 s[0:1], s[54:55]
	s_cbranch_execz .LBB102_34
; %bb.33:                               ;   in Loop: Header=BB102_22 Depth=2
	v_cvt_f32_u32_e32 v3, s50
	s_sub_i32 s54, 0, s50
	v_rcp_iflag_f32_e32 v3, v3
	v_mul_f32_e32 v3, 0x4f7ffffe, v3
	v_cvt_u32_f32_e32 v3, v3
	v_mul_lo_u32 v14, s54, v3
	v_mul_hi_u32 v14, v3, v14
	v_add_u32_e32 v3, v3, v14
	v_mul_hi_u32 v3, v12, v3
	v_mul_lo_u32 v14, v3, s50
	v_add_u32_e32 v15, 1, v3
	v_sub_u32_e32 v14, v12, v14
	v_subrev_u32_e32 v16, s50, v14
	v_cmp_le_u32_e32 vcc, s50, v14
	v_cndmask_b32_e32 v14, v14, v16, vcc
	v_cndmask_b32_e32 v3, v3, v15, vcc
	v_add_u32_e32 v15, 1, v3
	v_cmp_le_u32_e32 vcc, s50, v14
	v_cndmask_b32_e32 v14, v3, v15, vcc
	v_mov_b32_e32 v15, v2
.LBB102_34:                             ;   in Loop: Header=BB102_22 Depth=2
	s_or_b64 exec, exec, s[0:1]
	s_load_dwordx2 s[54:55], s[40:41], 0x0
	s_load_dwordx2 s[56:57], s[38:39], 0x8
                                        ; implicit-def: $vgpr16_vgpr17
	s_waitcnt lgkmcnt(0)
	v_or_b32_e32 v3, s55, v15
	v_cmp_ne_u64_e32 vcc, 0, v[2:3]
	s_and_saveexec_b64 s[0:1], vcc
	s_xor_b64 s[58:59], exec, s[0:1]
	s_cbranch_execz .LBB102_36
; %bb.35:                               ;   in Loop: Header=BB102_22 Depth=2
	s_ashr_i32 s60, s55, 31
	s_add_u32 s0, s54, s60
	s_mov_b32 s61, s60
	s_addc_u32 s1, s55, s60
	s_xor_b64 s[62:63], s[0:1], s[60:61]
	v_cvt_f32_u32_e32 v3, s62
	v_cvt_f32_u32_e32 v16, s63
	s_sub_u32 s61, 0, s62
	s_subb_u32 s68, 0, s63
	v_mac_f32_e32 v3, 0x4f800000, v16
	v_rcp_f32_e32 v3, v3
	v_mul_f32_e32 v3, 0x5f7ffffc, v3
	v_mul_f32_e32 v16, 0x2f800000, v3
	v_trunc_f32_e32 v16, v16
	v_mac_f32_e32 v3, 0xcf800000, v16
	v_cvt_u32_f32_e32 v16, v16
	v_cvt_u32_f32_e32 v3, v3
	v_readfirstlane_b32 s69, v16
	v_readfirstlane_b32 s0, v3
	s_mul_i32 s1, s61, s69
	s_mul_hi_u32 s71, s61, s0
	s_mul_i32 s70, s68, s0
	s_add_i32 s1, s71, s1
	s_add_i32 s1, s1, s70
	s_mul_i32 s72, s61, s0
	s_mul_i32 s71, s0, s1
	s_mul_hi_u32 s73, s0, s72
	s_mul_hi_u32 s70, s0, s1
	s_add_u32 s71, s73, s71
	s_addc_u32 s70, 0, s70
	s_mul_hi_u32 s74, s69, s72
	s_mul_i32 s72, s69, s72
	s_add_u32 s71, s71, s72
	s_mul_hi_u32 s73, s69, s1
	s_addc_u32 s70, s70, s74
	s_addc_u32 s71, s73, 0
	s_mul_i32 s1, s69, s1
	s_add_u32 s1, s70, s1
	s_addc_u32 s70, 0, s71
	s_add_u32 s71, s0, s1
	s_cselect_b64 s[0:1], -1, 0
	s_cmp_lg_u64 s[0:1], 0
	s_addc_u32 s69, s69, s70
	s_mul_i32 s0, s61, s69
	s_mul_hi_u32 s1, s61, s71
	s_add_i32 s0, s1, s0
	s_mul_i32 s68, s68, s71
	s_add_i32 s0, s0, s68
	s_mul_i32 s61, s61, s71
	s_mul_hi_u32 s68, s69, s61
	s_mul_i32 s70, s69, s61
	s_mul_i32 s73, s71, s0
	s_mul_hi_u32 s61, s71, s61
	s_mul_hi_u32 s72, s71, s0
	s_add_u32 s61, s61, s73
	s_addc_u32 s72, 0, s72
	s_add_u32 s61, s61, s70
	s_mul_hi_u32 s1, s69, s0
	s_addc_u32 s61, s72, s68
	s_addc_u32 s1, s1, 0
	s_mul_i32 s0, s69, s0
	s_add_u32 s0, s61, s0
	s_addc_u32 s61, 0, s1
	s_add_u32 s68, s71, s0
	s_cselect_b64 s[0:1], -1, 0
	v_ashrrev_i32_e32 v3, 31, v15
	s_cmp_lg_u64 s[0:1], 0
	v_add_co_u32_e32 v16, vcc, v14, v3
	s_addc_u32 s61, s69, s61
	v_xor_b32_e32 v22, v16, v3
	v_mad_u64_u32 v[16:17], s[0:1], v22, s61, 0
	v_mul_hi_u32 v21, v22, s68
	v_addc_co_u32_e32 v20, vcc, v15, v3, vcc
	v_xor_b32_e32 v23, v20, v3
	v_add_co_u32_e32 v24, vcc, v21, v16
	v_addc_co_u32_e32 v25, vcc, 0, v17, vcc
	v_mad_u64_u32 v[16:17], s[0:1], v23, s68, 0
	v_mad_u64_u32 v[20:21], s[0:1], v23, s61, 0
	v_add_co_u32_e32 v16, vcc, v24, v16
	v_addc_co_u32_e32 v16, vcc, v25, v17, vcc
	v_addc_co_u32_e32 v17, vcc, 0, v21, vcc
	v_add_co_u32_e32 v20, vcc, v16, v20
	v_addc_co_u32_e32 v21, vcc, 0, v17, vcc
	v_mul_lo_u32 v24, s63, v20
	v_mul_lo_u32 v25, s62, v21
	v_mad_u64_u32 v[16:17], s[0:1], s62, v20, 0
	v_xor_b32_e32 v3, s60, v3
	v_add3_u32 v17, v17, v25, v24
	v_sub_u32_e32 v24, v23, v17
	v_mov_b32_e32 v25, s63
	v_sub_co_u32_e32 v16, vcc, v22, v16
	v_subb_co_u32_e64 v22, s[0:1], v24, v25, vcc
	v_subrev_co_u32_e64 v24, s[0:1], s62, v16
	v_subbrev_co_u32_e64 v22, s[0:1], 0, v22, s[0:1]
	v_cmp_le_u32_e64 s[0:1], s63, v22
	v_cndmask_b32_e64 v25, 0, -1, s[0:1]
	v_cmp_le_u32_e64 s[0:1], s62, v24
	v_cndmask_b32_e64 v24, 0, -1, s[0:1]
	v_cmp_eq_u32_e64 s[0:1], s63, v22
	v_cndmask_b32_e64 v22, v25, v24, s[0:1]
	v_add_co_u32_e64 v24, s[0:1], 2, v20
	v_subb_co_u32_e32 v17, vcc, v23, v17, vcc
	v_addc_co_u32_e64 v25, s[0:1], 0, v21, s[0:1]
	v_cmp_le_u32_e32 vcc, s63, v17
	v_add_co_u32_e64 v26, s[0:1], 1, v20
	v_cndmask_b32_e64 v23, 0, -1, vcc
	v_cmp_le_u32_e32 vcc, s62, v16
	v_addc_co_u32_e64 v27, s[0:1], 0, v21, s[0:1]
	v_cndmask_b32_e64 v16, 0, -1, vcc
	v_cmp_eq_u32_e32 vcc, s63, v17
	v_cmp_ne_u32_e64 s[0:1], 0, v22
	v_cndmask_b32_e32 v16, v23, v16, vcc
	v_cndmask_b32_e64 v22, v27, v25, s[0:1]
	v_cmp_ne_u32_e32 vcc, 0, v16
	v_cndmask_b32_e64 v17, v26, v24, s[0:1]
	v_cndmask_b32_e32 v16, v21, v22, vcc
	v_cndmask_b32_e32 v17, v20, v17, vcc
	v_xor_b32_e32 v20, v16, v3
	v_xor_b32_e32 v16, v17, v3
	v_sub_co_u32_e32 v16, vcc, v16, v3
	v_subb_co_u32_e32 v17, vcc, v20, v3, vcc
.LBB102_36:                             ;   in Loop: Header=BB102_22 Depth=2
	s_andn2_saveexec_b64 s[0:1], s[58:59]
	s_cbranch_execz .LBB102_21
; %bb.37:                               ;   in Loop: Header=BB102_22 Depth=2
	v_cvt_f32_u32_e32 v3, s54
	s_sub_i32 s58, 0, s54
	v_rcp_iflag_f32_e32 v3, v3
	v_mul_f32_e32 v3, 0x4f7ffffe, v3
	v_cvt_u32_f32_e32 v3, v3
	v_mul_lo_u32 v16, s58, v3
	v_mul_hi_u32 v16, v3, v16
	v_add_u32_e32 v3, v3, v16
	v_mul_hi_u32 v3, v14, v3
	v_mul_lo_u32 v16, v3, s54
	v_add_u32_e32 v17, 1, v3
	v_sub_u32_e32 v16, v14, v16
	v_subrev_u32_e32 v20, s54, v16
	v_cmp_le_u32_e32 vcc, s54, v16
	v_cndmask_b32_e32 v16, v16, v20, vcc
	v_cndmask_b32_e32 v3, v3, v17, vcc
	v_add_u32_e32 v17, 1, v3
	v_cmp_le_u32_e32 vcc, s54, v16
	v_cndmask_b32_e32 v16, v3, v17, vcc
	v_mov_b32_e32 v17, v2
	s_branch .LBB102_21
.LBB102_38:                             ;   in Loop: Header=BB102_3 Depth=1
	s_load_dwordx2 s[0:1], s[22:23], 0x0
	s_waitcnt lgkmcnt(0)
	v_cmp_gt_i64_e32 vcc, s[0:1], v[4:5]
	s_and_b64 exec, exec, vcc
	s_cbranch_execz .LBB102_2
; %bb.39:                               ;   in Loop: Header=BB102_3 Depth=1
	v_mov_b32_e32 v3, s13
	v_add_co_u32_e32 v6, vcc, s12, v6
	v_addc_co_u32_e32 v7, vcc, v3, v7, vcc
	v_add_co_u32_e32 v8, vcc, 1, v4
	v_addc_co_u32_e32 v9, vcc, 0, v5, vcc
	v_cmp_gt_i64_e32 vcc, s[0:1], v[8:9]
	global_store_byte v[6:7], v2, off
	s_and_b64 exec, exec, vcc
	s_cbranch_execz .LBB102_2
; %bb.40:                               ;   in Loop: Header=BB102_3 Depth=1
	v_sub_co_u32_e32 v8, vcc, v8, v18
	v_subb_co_u32_e32 v9, vcc, v9, v19, vcc
	v_cmp_gt_i64_e32 vcc, s[8:9], v[8:9]
	s_and_saveexec_b64 s[38:39], vcc
	s_cbranch_execz .LBB102_42
; %bb.41:                               ;   in Loop: Header=BB102_3 Depth=1
	v_mov_b32_e32 v3, s3
	v_add_co_u32_e32 v8, vcc, s2, v6
	v_addc_co_u32_e32 v9, vcc, v7, v3, vcc
	global_store_byte v[8:9], v2, off
.LBB102_42:                             ;   in Loop: Header=BB102_3 Depth=1
	s_or_b64 exec, exec, s[38:39]
	v_add_co_u32_e32 v8, vcc, 2, v4
	v_addc_co_u32_e32 v9, vcc, 0, v5, vcc
	v_cmp_gt_i64_e32 vcc, s[0:1], v[8:9]
	s_and_b64 exec, exec, vcc
	s_cbranch_execz .LBB102_2
; %bb.43:                               ;   in Loop: Header=BB102_3 Depth=1
	v_sub_co_u32_e32 v8, vcc, v8, v18
	v_subb_co_u32_e32 v9, vcc, v9, v19, vcc
	v_cmp_gt_i64_e32 vcc, s[8:9], v[8:9]
	s_and_saveexec_b64 s[38:39], vcc
	s_cbranch_execz .LBB102_45
; %bb.44:                               ;   in Loop: Header=BB102_3 Depth=1
	s_lshl_b64 s[40:41], s[2:3], 1
	v_mov_b32_e32 v3, s41
	v_add_co_u32_e32 v8, vcc, s40, v6
	v_addc_co_u32_e32 v9, vcc, v7, v3, vcc
	global_store_byte v[8:9], v2, off
.LBB102_45:                             ;   in Loop: Header=BB102_3 Depth=1
	s_or_b64 exec, exec, s[38:39]
	v_add_co_u32_e32 v3, vcc, 3, v4
	v_addc_co_u32_e32 v4, vcc, 0, v5, vcc
	v_cmp_gt_i64_e32 vcc, s[0:1], v[3:4]
	v_sub_co_u32_e64 v3, s[0:1], v3, v18
	v_subb_co_u32_e64 v4, s[0:1], v4, v19, s[0:1]
	v_cmp_gt_i64_e64 s[0:1], s[8:9], v[3:4]
	s_and_b64 s[0:1], vcc, s[0:1]
	s_and_b64 exec, exec, s[0:1]
	s_cbranch_execz .LBB102_2
; %bb.46:                               ;   in Loop: Header=BB102_3 Depth=1
	v_mad_u64_u32 v[3:4], s[0:1], s2, 3, v[6:7]
	v_mad_u64_u32 v[4:5], s[0:1], s3, 3, v[4:5]
	global_store_byte v[3:4], v2, off
	s_branch .LBB102_2
.LBB102_47:
	s_endpgm
	.section	.rodata,"a",@progbits
	.p2align	6, 0x0
	.amdhsa_kernel _ZN2at6native16triu_tril_kernelIblLb1ELi4ELb1EEEvNS_4cuda6detail10TensorInfoIT_T0_EENS4_IKS5_S6_EEllS6_
		.amdhsa_group_segment_fixed_size 0
		.amdhsa_private_segment_fixed_size 0
		.amdhsa_kernarg_size 1112
		.amdhsa_user_sgpr_count 6
		.amdhsa_user_sgpr_private_segment_buffer 1
		.amdhsa_user_sgpr_dispatch_ptr 0
		.amdhsa_user_sgpr_queue_ptr 0
		.amdhsa_user_sgpr_kernarg_segment_ptr 1
		.amdhsa_user_sgpr_dispatch_id 0
		.amdhsa_user_sgpr_flat_scratch_init 0
		.amdhsa_user_sgpr_private_segment_size 0
		.amdhsa_uses_dynamic_stack 0
		.amdhsa_system_sgpr_private_segment_wavefront_offset 0
		.amdhsa_system_sgpr_workgroup_id_x 1
		.amdhsa_system_sgpr_workgroup_id_y 0
		.amdhsa_system_sgpr_workgroup_id_z 0
		.amdhsa_system_sgpr_workgroup_info 0
		.amdhsa_system_vgpr_workitem_id 0
		.amdhsa_next_free_vgpr 28
		.amdhsa_next_free_sgpr 75
		.amdhsa_reserve_vcc 1
		.amdhsa_reserve_flat_scratch 0
		.amdhsa_float_round_mode_32 0
		.amdhsa_float_round_mode_16_64 0
		.amdhsa_float_denorm_mode_32 3
		.amdhsa_float_denorm_mode_16_64 3
		.amdhsa_dx10_clamp 1
		.amdhsa_ieee_mode 1
		.amdhsa_fp16_overflow 0
		.amdhsa_exception_fp_ieee_invalid_op 0
		.amdhsa_exception_fp_denorm_src 0
		.amdhsa_exception_fp_ieee_div_zero 0
		.amdhsa_exception_fp_ieee_overflow 0
		.amdhsa_exception_fp_ieee_underflow 0
		.amdhsa_exception_fp_ieee_inexact 0
		.amdhsa_exception_int_div_zero 0
	.end_amdhsa_kernel
	.section	.text._ZN2at6native16triu_tril_kernelIblLb1ELi4ELb1EEEvNS_4cuda6detail10TensorInfoIT_T0_EENS4_IKS5_S6_EEllS6_,"axG",@progbits,_ZN2at6native16triu_tril_kernelIblLb1ELi4ELb1EEEvNS_4cuda6detail10TensorInfoIT_T0_EENS4_IKS5_S6_EEllS6_,comdat
.Lfunc_end102:
	.size	_ZN2at6native16triu_tril_kernelIblLb1ELi4ELb1EEEvNS_4cuda6detail10TensorInfoIT_T0_EENS4_IKS5_S6_EEllS6_, .Lfunc_end102-_ZN2at6native16triu_tril_kernelIblLb1ELi4ELb1EEEvNS_4cuda6detail10TensorInfoIT_T0_EENS4_IKS5_S6_EEllS6_
                                        ; -- End function
	.set _ZN2at6native16triu_tril_kernelIblLb1ELi4ELb1EEEvNS_4cuda6detail10TensorInfoIT_T0_EENS4_IKS5_S6_EEllS6_.num_vgpr, 28
	.set _ZN2at6native16triu_tril_kernelIblLb1ELi4ELb1EEEvNS_4cuda6detail10TensorInfoIT_T0_EENS4_IKS5_S6_EEllS6_.num_agpr, 0
	.set _ZN2at6native16triu_tril_kernelIblLb1ELi4ELb1EEEvNS_4cuda6detail10TensorInfoIT_T0_EENS4_IKS5_S6_EEllS6_.numbered_sgpr, 75
	.set _ZN2at6native16triu_tril_kernelIblLb1ELi4ELb1EEEvNS_4cuda6detail10TensorInfoIT_T0_EENS4_IKS5_S6_EEllS6_.num_named_barrier, 0
	.set _ZN2at6native16triu_tril_kernelIblLb1ELi4ELb1EEEvNS_4cuda6detail10TensorInfoIT_T0_EENS4_IKS5_S6_EEllS6_.private_seg_size, 0
	.set _ZN2at6native16triu_tril_kernelIblLb1ELi4ELb1EEEvNS_4cuda6detail10TensorInfoIT_T0_EENS4_IKS5_S6_EEllS6_.uses_vcc, 1
	.set _ZN2at6native16triu_tril_kernelIblLb1ELi4ELb1EEEvNS_4cuda6detail10TensorInfoIT_T0_EENS4_IKS5_S6_EEllS6_.uses_flat_scratch, 0
	.set _ZN2at6native16triu_tril_kernelIblLb1ELi4ELb1EEEvNS_4cuda6detail10TensorInfoIT_T0_EENS4_IKS5_S6_EEllS6_.has_dyn_sized_stack, 0
	.set _ZN2at6native16triu_tril_kernelIblLb1ELi4ELb1EEEvNS_4cuda6detail10TensorInfoIT_T0_EENS4_IKS5_S6_EEllS6_.has_recursion, 0
	.set _ZN2at6native16triu_tril_kernelIblLb1ELi4ELb1EEEvNS_4cuda6detail10TensorInfoIT_T0_EENS4_IKS5_S6_EEllS6_.has_indirect_call, 0
	.section	.AMDGPU.csdata,"",@progbits
; Kernel info:
; codeLenInByte = 6564
; TotalNumSgprs: 79
; NumVgprs: 28
; ScratchSize: 0
; MemoryBound: 0
; FloatMode: 240
; IeeeMode: 1
; LDSByteSize: 0 bytes/workgroup (compile time only)
; SGPRBlocks: 9
; VGPRBlocks: 6
; NumSGPRsForWavesPerEU: 79
; NumVGPRsForWavesPerEU: 28
; Occupancy: 9
; WaveLimiterHint : 0
; COMPUTE_PGM_RSRC2:SCRATCH_EN: 0
; COMPUTE_PGM_RSRC2:USER_SGPR: 6
; COMPUTE_PGM_RSRC2:TRAP_HANDLER: 0
; COMPUTE_PGM_RSRC2:TGID_X_EN: 1
; COMPUTE_PGM_RSRC2:TGID_Y_EN: 0
; COMPUTE_PGM_RSRC2:TGID_Z_EN: 0
; COMPUTE_PGM_RSRC2:TIDIG_COMP_CNT: 0
	.section	.text._ZN2at6native16triu_tril_kernelIblLb1ELi4ELb0EEEvNS_4cuda6detail10TensorInfoIT_T0_EENS4_IKS5_S6_EEllS6_,"axG",@progbits,_ZN2at6native16triu_tril_kernelIblLb1ELi4ELb0EEEvNS_4cuda6detail10TensorInfoIT_T0_EENS4_IKS5_S6_EEllS6_,comdat
	.protected	_ZN2at6native16triu_tril_kernelIblLb1ELi4ELb0EEEvNS_4cuda6detail10TensorInfoIT_T0_EENS4_IKS5_S6_EEllS6_ ; -- Begin function _ZN2at6native16triu_tril_kernelIblLb1ELi4ELb0EEEvNS_4cuda6detail10TensorInfoIT_T0_EENS4_IKS5_S6_EEllS6_
	.globl	_ZN2at6native16triu_tril_kernelIblLb1ELi4ELb0EEEvNS_4cuda6detail10TensorInfoIT_T0_EENS4_IKS5_S6_EEllS6_
	.p2align	8
	.type	_ZN2at6native16triu_tril_kernelIblLb1ELi4ELb0EEEvNS_4cuda6detail10TensorInfoIT_T0_EENS4_IKS5_S6_EEllS6_,@function
_ZN2at6native16triu_tril_kernelIblLb1ELi4ELb0EEEvNS_4cuda6detail10TensorInfoIT_T0_EENS4_IKS5_S6_EEllS6_: ; @_ZN2at6native16triu_tril_kernelIblLb1ELi4ELb0EEEvNS_4cuda6detail10TensorInfoIT_T0_EENS4_IKS5_S6_EEllS6_
; %bb.0:
	s_load_dword s2, s[4:5], 0x364
	s_load_dwordx4 s[12:15], s[4:5], 0x340
	s_add_u32 s0, s4, 0x358
	v_mov_b32_e32 v2, 0
	s_addc_u32 s1, s5, 0
	s_waitcnt lgkmcnt(0)
	s_and_b32 s2, s2, 0xffff
	v_mov_b32_e32 v1, v2
	v_mov_b32_e32 v3, s6
	v_mad_u64_u32 v[0:1], s[6:7], s2, v3, v[0:1]
	v_lshlrev_b64 v[0:1], 2, v[0:1]
	v_cmp_gt_i64_e32 vcc, s[14:15], v[0:1]
	s_and_saveexec_b64 s[6:7], vcc
	s_cbranch_execz .LBB103_44
; %bb.1:
	s_load_dword s3, s[0:1], 0x0
	s_load_dword s6, s[4:5], 0x338
	s_add_u32 s33, s4, 0x1a0
	s_addc_u32 s62, s5, 0
	s_load_dwordx2 s[10:11], s[4:5], 0x1a0
	s_waitcnt lgkmcnt(0)
	s_mul_i32 s38, s3, s2
	s_ashr_i32 s7, s6, 31
	s_lshl_b64 s[0:1], s[6:7], 3
	s_add_u32 s2, s33, s0
	s_addc_u32 s3, s62, s1
	s_add_u32 s8, s2, -8
	s_addc_u32 s9, s3, -1
	s_add_u32 s0, s4, s0
	s_addc_u32 s1, s5, s1
	s_add_i32 s30, s6, -3
	s_ashr_i32 s31, s30, 31
	s_lshl_b32 s63, s38, 2
	s_bitcmp0_b32 s30, 0
	s_load_dwordx4 s[16:19], s[8:9], 0x0
	s_load_dwordx4 s[20:23], s[2:3], 0xc0
	;; [unrolled: 1-line block ×3, first 2 shown]
	s_cselect_b64 s[38:39], -1, 0
	s_lshl_b64 s[0:1], s[30:31], 3
	s_add_u32 s40, s33, s0
	s_addc_u32 s41, s62, s1
	s_add_u32 s42, s4, s0
	s_addc_u32 s43, s5, s1
	s_load_dwordx2 s[34:35], s[4:5], 0x350
	s_load_dwordx2 s[36:37], s[4:5], 0x0
	s_add_u32 s44, s30, -1
	s_addc_u32 s45, s31, -1
	s_cmp_lg_u32 s30, 0
	v_cmp_gt_i64_e64 s[28:29], s[6:7], 2
	s_cselect_b64 s[46:47], -1, 0
	s_add_u32 s64, s4, 0xc8
	s_addc_u32 s65, s5, 0
	s_mov_b64 s[48:49], 0
	s_branch .LBB103_3
.LBB103_2:                              ;   in Loop: Header=BB103_3 Depth=1
	s_or_b64 exec, exec, s[0:1]
	v_add_co_u32_e32 v0, vcc, s63, v0
	v_addc_co_u32_e32 v1, vcc, 0, v1, vcc
	v_cmp_le_i64_e32 vcc, s[14:15], v[0:1]
	s_or_b64 s[48:49], vcc, s[48:49]
	s_andn2_b64 exec, exec, s[48:49]
	s_cbranch_execz .LBB103_44
.LBB103_3:                              ; =>This Loop Header: Depth=1
                                        ;     Child Loop BB103_21 Depth 2
	s_waitcnt lgkmcnt(0)
	v_or_b32_e32 v3, s35, v1
	v_cmp_ne_u64_e32 vcc, 0, v[2:3]
                                        ; implicit-def: $vgpr6_vgpr7
	s_and_saveexec_b64 s[0:1], vcc
	s_xor_b64 s[2:3], exec, s[0:1]
	s_cbranch_execz .LBB103_5
; %bb.4:                                ;   in Loop: Header=BB103_3 Depth=1
	s_ashr_i32 s4, s35, 31
	s_add_u32 s0, s34, s4
	s_mov_b32 s5, s4
	s_addc_u32 s1, s35, s4
	s_xor_b64 s[6:7], s[0:1], s[4:5]
	v_cvt_f32_u32_e32 v3, s6
	v_cvt_f32_u32_e32 v4, s7
	s_sub_u32 s5, 0, s6
	s_subb_u32 s8, 0, s7
	v_ashrrev_i32_e32 v7, 31, v1
	v_mac_f32_e32 v3, 0x4f800000, v4
	v_rcp_f32_e32 v3, v3
	v_mul_f32_e32 v3, 0x5f7ffffc, v3
	v_mul_f32_e32 v4, 0x2f800000, v3
	v_trunc_f32_e32 v4, v4
	v_mac_f32_e32 v3, 0xcf800000, v4
	v_cvt_u32_f32_e32 v4, v4
	v_cvt_u32_f32_e32 v3, v3
	v_readfirstlane_b32 s9, v4
	v_readfirstlane_b32 s0, v3
	s_mul_i32 s1, s5, s9
	s_mul_hi_u32 s51, s5, s0
	s_mul_i32 s50, s8, s0
	s_add_i32 s1, s51, s1
	s_add_i32 s1, s1, s50
	s_mul_i32 s52, s5, s0
	s_mul_i32 s51, s0, s1
	s_mul_hi_u32 s53, s0, s52
	s_mul_hi_u32 s50, s0, s1
	s_add_u32 s51, s53, s51
	s_addc_u32 s50, 0, s50
	s_mul_hi_u32 s54, s9, s52
	s_mul_i32 s52, s9, s52
	s_add_u32 s51, s51, s52
	s_mul_hi_u32 s53, s9, s1
	s_addc_u32 s50, s50, s54
	s_addc_u32 s51, s53, 0
	s_mul_i32 s1, s9, s1
	s_add_u32 s1, s50, s1
	s_addc_u32 s50, 0, s51
	s_add_u32 s51, s0, s1
	s_cselect_b64 s[0:1], -1, 0
	s_cmp_lg_u64 s[0:1], 0
	s_addc_u32 s9, s9, s50
	s_mul_i32 s0, s5, s9
	s_mul_hi_u32 s1, s5, s51
	s_add_i32 s0, s1, s0
	s_mul_i32 s8, s8, s51
	s_add_i32 s0, s0, s8
	s_mul_i32 s5, s5, s51
	s_mul_hi_u32 s8, s9, s5
	s_mul_i32 s50, s9, s5
	s_mul_i32 s53, s51, s0
	s_mul_hi_u32 s5, s51, s5
	s_mul_hi_u32 s52, s51, s0
	s_add_u32 s5, s5, s53
	s_addc_u32 s52, 0, s52
	s_add_u32 s5, s5, s50
	s_mul_hi_u32 s1, s9, s0
	s_addc_u32 s5, s52, s8
	s_addc_u32 s1, s1, 0
	s_mul_i32 s0, s9, s0
	s_add_u32 s0, s5, s0
	s_addc_u32 s5, 0, s1
	s_add_u32 s8, s51, s0
	s_cselect_b64 s[0:1], -1, 0
	s_cmp_lg_u64 s[0:1], 0
	v_add_co_u32_e32 v3, vcc, v0, v7
	s_addc_u32 s5, s9, s5
	v_xor_b32_e32 v8, v3, v7
	v_mad_u64_u32 v[3:4], s[0:1], v8, s5, 0
	v_mul_hi_u32 v6, v8, s8
	v_addc_co_u32_e32 v5, vcc, v1, v7, vcc
	v_xor_b32_e32 v9, v5, v7
	v_add_co_u32_e32 v10, vcc, v6, v3
	v_addc_co_u32_e32 v11, vcc, 0, v4, vcc
	v_mad_u64_u32 v[3:4], s[0:1], v9, s8, 0
	v_mad_u64_u32 v[5:6], s[0:1], v9, s5, 0
	v_add_co_u32_e32 v3, vcc, v10, v3
	v_addc_co_u32_e32 v3, vcc, v11, v4, vcc
	v_addc_co_u32_e32 v4, vcc, 0, v6, vcc
	v_add_co_u32_e32 v5, vcc, v3, v5
	v_addc_co_u32_e32 v6, vcc, 0, v4, vcc
	v_mul_lo_u32 v10, s7, v5
	v_mul_lo_u32 v11, s6, v6
	v_mad_u64_u32 v[3:4], s[0:1], s6, v5, 0
	v_add3_u32 v4, v4, v11, v10
	v_sub_u32_e32 v10, v9, v4
	v_mov_b32_e32 v11, s7
	v_sub_co_u32_e32 v3, vcc, v8, v3
	v_subb_co_u32_e64 v8, s[0:1], v10, v11, vcc
	v_subrev_co_u32_e64 v10, s[0:1], s6, v3
	v_subbrev_co_u32_e64 v8, s[0:1], 0, v8, s[0:1]
	v_cmp_le_u32_e64 s[0:1], s7, v8
	v_cndmask_b32_e64 v11, 0, -1, s[0:1]
	v_cmp_le_u32_e64 s[0:1], s6, v10
	v_cndmask_b32_e64 v10, 0, -1, s[0:1]
	v_cmp_eq_u32_e64 s[0:1], s7, v8
	v_cndmask_b32_e64 v8, v11, v10, s[0:1]
	v_add_co_u32_e64 v10, s[0:1], 2, v5
	v_subb_co_u32_e32 v4, vcc, v9, v4, vcc
	v_addc_co_u32_e64 v11, s[0:1], 0, v6, s[0:1]
	v_cmp_le_u32_e32 vcc, s7, v4
	v_add_co_u32_e64 v12, s[0:1], 1, v5
	v_cndmask_b32_e64 v9, 0, -1, vcc
	v_cmp_le_u32_e32 vcc, s6, v3
	v_addc_co_u32_e64 v13, s[0:1], 0, v6, s[0:1]
	v_cndmask_b32_e64 v3, 0, -1, vcc
	v_cmp_eq_u32_e32 vcc, s7, v4
	v_cmp_ne_u32_e64 s[0:1], 0, v8
	v_cndmask_b32_e32 v3, v9, v3, vcc
	v_cmp_ne_u32_e32 vcc, 0, v3
	v_cndmask_b32_e64 v4, v12, v10, s[0:1]
	v_cndmask_b32_e64 v8, v13, v11, s[0:1]
	v_cndmask_b32_e32 v4, v5, v4, vcc
	v_xor_b32_e32 v5, s4, v7
	v_cndmask_b32_e32 v3, v6, v8, vcc
	v_xor_b32_e32 v4, v4, v5
	v_xor_b32_e32 v3, v3, v5
	v_sub_co_u32_e32 v6, vcc, v4, v5
	v_subb_co_u32_e32 v7, vcc, v3, v5, vcc
.LBB103_5:                              ;   in Loop: Header=BB103_3 Depth=1
	s_andn2_saveexec_b64 s[0:1], s[2:3]
	s_cbranch_execz .LBB103_7
; %bb.6:                                ;   in Loop: Header=BB103_3 Depth=1
	v_cvt_f32_u32_e32 v3, s34
	s_sub_i32 s2, 0, s34
	v_mov_b32_e32 v7, v2
	v_rcp_iflag_f32_e32 v3, v3
	v_mul_f32_e32 v3, 0x4f7ffffe, v3
	v_cvt_u32_f32_e32 v3, v3
	v_mul_lo_u32 v4, s2, v3
	v_mul_hi_u32 v4, v3, v4
	v_add_u32_e32 v3, v3, v4
	v_mul_hi_u32 v3, v0, v3
	v_mul_lo_u32 v4, v3, s34
	v_add_u32_e32 v5, 1, v3
	v_sub_u32_e32 v4, v0, v4
	v_subrev_u32_e32 v6, s34, v4
	v_cmp_le_u32_e32 vcc, s34, v4
	v_cndmask_b32_e32 v4, v4, v6, vcc
	v_cndmask_b32_e32 v3, v3, v5, vcc
	v_add_u32_e32 v5, 1, v3
	v_cmp_le_u32_e32 vcc, s34, v4
	v_cndmask_b32_e32 v6, v3, v5, vcc
.LBB103_7:                              ;   in Loop: Header=BB103_3 Depth=1
	s_or_b64 exec, exec, s[0:1]
	v_or_b32_e32 v3, s17, v7
	v_cmp_ne_u64_e32 vcc, 0, v[2:3]
                                        ; implicit-def: $vgpr10_vgpr11
	s_and_saveexec_b64 s[0:1], vcc
	s_xor_b64 s[2:3], exec, s[0:1]
	s_cbranch_execz .LBB103_9
; %bb.8:                                ;   in Loop: Header=BB103_3 Depth=1
	s_ashr_i32 s4, s17, 31
	s_add_u32 s0, s16, s4
	s_mov_b32 s5, s4
	s_addc_u32 s1, s17, s4
	s_xor_b64 s[6:7], s[0:1], s[4:5]
	v_cvt_f32_u32_e32 v3, s6
	v_cvt_f32_u32_e32 v4, s7
	s_sub_u32 s5, 0, s6
	s_subb_u32 s8, 0, s7
	v_ashrrev_i32_e32 v5, 31, v7
	v_mac_f32_e32 v3, 0x4f800000, v4
	v_rcp_f32_e32 v3, v3
	v_mul_f32_e32 v3, 0x5f7ffffc, v3
	v_mul_f32_e32 v4, 0x2f800000, v3
	v_trunc_f32_e32 v4, v4
	v_mac_f32_e32 v3, 0xcf800000, v4
	v_cvt_u32_f32_e32 v4, v4
	v_cvt_u32_f32_e32 v3, v3
	v_readfirstlane_b32 s9, v4
	v_readfirstlane_b32 s0, v3
	s_mul_i32 s1, s5, s9
	s_mul_hi_u32 s51, s5, s0
	s_mul_i32 s50, s8, s0
	s_add_i32 s1, s51, s1
	s_add_i32 s1, s1, s50
	s_mul_i32 s52, s5, s0
	s_mul_i32 s51, s0, s1
	s_mul_hi_u32 s53, s0, s52
	s_mul_hi_u32 s50, s0, s1
	s_add_u32 s51, s53, s51
	s_addc_u32 s50, 0, s50
	s_mul_hi_u32 s54, s9, s52
	s_mul_i32 s52, s9, s52
	s_add_u32 s51, s51, s52
	s_mul_hi_u32 s53, s9, s1
	s_addc_u32 s50, s50, s54
	s_addc_u32 s51, s53, 0
	s_mul_i32 s1, s9, s1
	s_add_u32 s1, s50, s1
	s_addc_u32 s50, 0, s51
	s_add_u32 s51, s0, s1
	s_cselect_b64 s[0:1], -1, 0
	s_cmp_lg_u64 s[0:1], 0
	s_addc_u32 s9, s9, s50
	s_mul_i32 s0, s5, s9
	s_mul_hi_u32 s1, s5, s51
	s_add_i32 s0, s1, s0
	s_mul_i32 s8, s8, s51
	s_add_i32 s0, s0, s8
	s_mul_i32 s5, s5, s51
	s_mul_hi_u32 s8, s9, s5
	s_mul_i32 s50, s9, s5
	s_mul_i32 s53, s51, s0
	s_mul_hi_u32 s5, s51, s5
	s_mul_hi_u32 s52, s51, s0
	s_add_u32 s5, s5, s53
	s_addc_u32 s52, 0, s52
	s_add_u32 s5, s5, s50
	s_mul_hi_u32 s1, s9, s0
	s_addc_u32 s5, s52, s8
	s_addc_u32 s1, s1, 0
	s_mul_i32 s0, s9, s0
	s_add_u32 s0, s5, s0
	s_addc_u32 s5, 0, s1
	s_add_u32 s8, s51, s0
	s_cselect_b64 s[0:1], -1, 0
	s_cmp_lg_u64 s[0:1], 0
	v_add_co_u32_e32 v3, vcc, v6, v5
	s_addc_u32 s5, s9, s5
	v_xor_b32_e32 v10, v3, v5
	v_mad_u64_u32 v[3:4], s[0:1], v10, s5, 0
	v_mul_hi_u32 v9, v10, s8
	v_addc_co_u32_e32 v8, vcc, v7, v5, vcc
	v_xor_b32_e32 v11, v8, v5
	v_add_co_u32_e32 v12, vcc, v9, v3
	v_addc_co_u32_e32 v13, vcc, 0, v4, vcc
	v_mad_u64_u32 v[3:4], s[0:1], v11, s8, 0
	v_mad_u64_u32 v[8:9], s[0:1], v11, s5, 0
	v_add_co_u32_e32 v3, vcc, v12, v3
	v_addc_co_u32_e32 v3, vcc, v13, v4, vcc
	v_addc_co_u32_e32 v4, vcc, 0, v9, vcc
	v_add_co_u32_e32 v8, vcc, v3, v8
	v_addc_co_u32_e32 v9, vcc, 0, v4, vcc
	v_mul_lo_u32 v12, s7, v8
	v_mul_lo_u32 v13, s6, v9
	v_mad_u64_u32 v[3:4], s[0:1], s6, v8, 0
	v_xor_b32_e32 v5, s4, v5
	v_add3_u32 v4, v4, v13, v12
	v_sub_u32_e32 v12, v11, v4
	v_mov_b32_e32 v13, s7
	v_sub_co_u32_e32 v3, vcc, v10, v3
	v_subb_co_u32_e64 v10, s[0:1], v12, v13, vcc
	v_subrev_co_u32_e64 v12, s[0:1], s6, v3
	v_subbrev_co_u32_e64 v10, s[0:1], 0, v10, s[0:1]
	v_cmp_le_u32_e64 s[0:1], s7, v10
	v_cndmask_b32_e64 v13, 0, -1, s[0:1]
	v_cmp_le_u32_e64 s[0:1], s6, v12
	v_cndmask_b32_e64 v12, 0, -1, s[0:1]
	v_cmp_eq_u32_e64 s[0:1], s7, v10
	v_cndmask_b32_e64 v10, v13, v12, s[0:1]
	v_add_co_u32_e64 v12, s[0:1], 2, v8
	v_subb_co_u32_e32 v4, vcc, v11, v4, vcc
	v_addc_co_u32_e64 v13, s[0:1], 0, v9, s[0:1]
	v_cmp_le_u32_e32 vcc, s7, v4
	v_add_co_u32_e64 v14, s[0:1], 1, v8
	v_cndmask_b32_e64 v11, 0, -1, vcc
	v_cmp_le_u32_e32 vcc, s6, v3
	v_addc_co_u32_e64 v15, s[0:1], 0, v9, s[0:1]
	v_cndmask_b32_e64 v3, 0, -1, vcc
	v_cmp_eq_u32_e32 vcc, s7, v4
	v_cmp_ne_u32_e64 s[0:1], 0, v10
	v_cndmask_b32_e32 v3, v11, v3, vcc
	v_cmp_ne_u32_e32 vcc, 0, v3
	v_cndmask_b32_e64 v4, v14, v12, s[0:1]
	v_cndmask_b32_e64 v10, v15, v13, s[0:1]
	v_cndmask_b32_e32 v4, v8, v4, vcc
	v_cndmask_b32_e32 v3, v9, v10, vcc
	v_xor_b32_e32 v4, v4, v5
	v_xor_b32_e32 v3, v3, v5
	v_sub_co_u32_e32 v10, vcc, v4, v5
	v_subb_co_u32_e32 v11, vcc, v3, v5, vcc
.LBB103_9:                              ;   in Loop: Header=BB103_3 Depth=1
	s_andn2_saveexec_b64 s[0:1], s[2:3]
	s_cbranch_execz .LBB103_11
; %bb.10:                               ;   in Loop: Header=BB103_3 Depth=1
	v_cvt_f32_u32_e32 v3, s16
	s_sub_i32 s2, 0, s16
	v_mov_b32_e32 v11, v2
	v_rcp_iflag_f32_e32 v3, v3
	v_mul_f32_e32 v3, 0x4f7ffffe, v3
	v_cvt_u32_f32_e32 v3, v3
	v_mul_lo_u32 v4, s2, v3
	v_mul_hi_u32 v4, v3, v4
	v_add_u32_e32 v3, v3, v4
	v_mul_hi_u32 v3, v6, v3
	v_mul_lo_u32 v4, v3, s16
	v_add_u32_e32 v5, 1, v3
	v_sub_u32_e32 v4, v6, v4
	v_subrev_u32_e32 v8, s16, v4
	v_cmp_le_u32_e32 vcc, s16, v4
	v_cndmask_b32_e32 v4, v4, v8, vcc
	v_cndmask_b32_e32 v3, v3, v5, vcc
	v_add_u32_e32 v5, 1, v3
	v_cmp_le_u32_e32 vcc, s16, v4
	v_cndmask_b32_e32 v10, v3, v5, vcc
.LBB103_11:                             ;   in Loop: Header=BB103_3 Depth=1
	s_or_b64 exec, exec, s[0:1]
	v_mul_lo_u32 v5, v7, s34
	v_mul_lo_u32 v8, v6, s35
	v_mad_u64_u32 v[3:4], s[0:1], v6, s34, 0
	v_mul_lo_u32 v12, v11, s16
	v_mul_lo_u32 v13, v10, s17
	v_add3_u32 v5, v4, v8, v5
	v_mad_u64_u32 v[8:9], s[0:1], v10, s16, 0
	v_sub_co_u32_e32 v4, vcc, v0, v3
	v_subb_co_u32_e32 v5, vcc, v1, v5, vcc
	v_add3_u32 v3, v9, v13, v12
	v_mul_lo_u32 v9, s23, v4
	v_mul_lo_u32 v14, s22, v5
	v_mad_u64_u32 v[12:13], s[0:1], s22, v4, 0
	v_sub_co_u32_e32 v16, vcc, v6, v8
	v_subb_co_u32_e32 v17, vcc, v7, v3, vcc
	v_add3_u32 v13, v13, v14, v9
	v_mul_lo_u32 v3, s27, v4
	v_mul_lo_u32 v14, s26, v5
	v_mad_u64_u32 v[6:7], s[0:1], s26, v4, 0
	v_mad_u64_u32 v[8:9], s[0:1], s20, v16, v[12:13]
	v_mul_lo_u32 v12, s20, v17
	v_mul_lo_u32 v13, s21, v16
	v_add3_u32 v7, v7, v14, v3
	v_mad_u64_u32 v[6:7], s[0:1], s24, v16, v[6:7]
	v_add3_u32 v9, v13, v9, v12
	v_mul_lo_u32 v3, s24, v17
	v_mul_lo_u32 v12, s25, v16
	s_andn2_b64 vcc, exec, s[28:29]
	v_add3_u32 v7, v12, v7, v3
	s_cbranch_vccnz .LBB103_29
; %bb.12:                               ;   in Loop: Header=BB103_3 Depth=1
	s_andn2_b64 vcc, exec, s[38:39]
	s_cbranch_vccnz .LBB103_18
; %bb.13:                               ;   in Loop: Header=BB103_3 Depth=1
	s_load_dwordx2 s[2:3], s[40:41], 0x8
                                        ; implicit-def: $vgpr12_vgpr13
	s_waitcnt lgkmcnt(0)
	v_or_b32_e32 v3, s3, v11
	v_cmp_ne_u64_e32 vcc, 0, v[2:3]
	s_and_saveexec_b64 s[0:1], vcc
	s_xor_b64 s[4:5], exec, s[0:1]
	s_cbranch_execz .LBB103_15
; %bb.14:                               ;   in Loop: Header=BB103_3 Depth=1
	s_ashr_i32 s6, s3, 31
	s_add_u32 s0, s2, s6
	s_mov_b32 s7, s6
	s_addc_u32 s1, s3, s6
	s_xor_b64 s[8:9], s[0:1], s[6:7]
	v_cvt_f32_u32_e32 v3, s8
	v_cvt_f32_u32_e32 v12, s9
	s_sub_u32 s7, 0, s8
	s_subb_u32 s50, 0, s9
	v_mac_f32_e32 v3, 0x4f800000, v12
	v_rcp_f32_e32 v3, v3
	v_mul_f32_e32 v3, 0x5f7ffffc, v3
	v_mul_f32_e32 v12, 0x2f800000, v3
	v_trunc_f32_e32 v12, v12
	v_mac_f32_e32 v3, 0xcf800000, v12
	v_cvt_u32_f32_e32 v12, v12
	v_cvt_u32_f32_e32 v3, v3
	v_readfirstlane_b32 s51, v12
	v_readfirstlane_b32 s0, v3
	s_mul_i32 s1, s7, s51
	s_mul_hi_u32 s53, s7, s0
	s_mul_i32 s52, s50, s0
	s_add_i32 s1, s53, s1
	s_add_i32 s1, s1, s52
	s_mul_i32 s54, s7, s0
	s_mul_i32 s53, s0, s1
	s_mul_hi_u32 s55, s0, s54
	s_mul_hi_u32 s52, s0, s1
	s_add_u32 s53, s55, s53
	s_addc_u32 s52, 0, s52
	s_mul_hi_u32 s56, s51, s54
	s_mul_i32 s54, s51, s54
	s_add_u32 s53, s53, s54
	s_mul_hi_u32 s55, s51, s1
	s_addc_u32 s52, s52, s56
	s_addc_u32 s53, s55, 0
	s_mul_i32 s1, s51, s1
	s_add_u32 s1, s52, s1
	s_addc_u32 s52, 0, s53
	s_add_u32 s53, s0, s1
	s_cselect_b64 s[0:1], -1, 0
	s_cmp_lg_u64 s[0:1], 0
	s_addc_u32 s51, s51, s52
	s_mul_i32 s0, s7, s51
	s_mul_hi_u32 s1, s7, s53
	s_add_i32 s0, s1, s0
	s_mul_i32 s50, s50, s53
	s_add_i32 s0, s0, s50
	s_mul_i32 s7, s7, s53
	s_mul_hi_u32 s50, s51, s7
	s_mul_i32 s52, s51, s7
	s_mul_i32 s55, s53, s0
	s_mul_hi_u32 s7, s53, s7
	s_mul_hi_u32 s54, s53, s0
	s_add_u32 s7, s7, s55
	s_addc_u32 s54, 0, s54
	s_add_u32 s7, s7, s52
	s_mul_hi_u32 s1, s51, s0
	s_addc_u32 s7, s54, s50
	s_addc_u32 s1, s1, 0
	s_mul_i32 s0, s51, s0
	s_add_u32 s0, s7, s0
	s_addc_u32 s7, 0, s1
	s_add_u32 s50, s53, s0
	s_cselect_b64 s[0:1], -1, 0
	v_ashrrev_i32_e32 v3, 31, v11
	s_cmp_lg_u64 s[0:1], 0
	v_add_co_u32_e32 v12, vcc, v10, v3
	s_addc_u32 s7, s51, s7
	v_xor_b32_e32 v18, v12, v3
	v_mad_u64_u32 v[12:13], s[0:1], v18, s7, 0
	v_mul_hi_u32 v15, v18, s50
	v_addc_co_u32_e32 v14, vcc, v11, v3, vcc
	v_xor_b32_e32 v19, v14, v3
	v_add_co_u32_e32 v20, vcc, v15, v12
	v_addc_co_u32_e32 v21, vcc, 0, v13, vcc
	v_mad_u64_u32 v[12:13], s[0:1], v19, s50, 0
	v_mad_u64_u32 v[14:15], s[0:1], v19, s7, 0
	v_add_co_u32_e32 v12, vcc, v20, v12
	v_addc_co_u32_e32 v12, vcc, v21, v13, vcc
	v_addc_co_u32_e32 v13, vcc, 0, v15, vcc
	v_add_co_u32_e32 v14, vcc, v12, v14
	v_addc_co_u32_e32 v15, vcc, 0, v13, vcc
	v_mul_lo_u32 v20, s9, v14
	v_mul_lo_u32 v21, s8, v15
	v_mad_u64_u32 v[12:13], s[0:1], s8, v14, 0
	v_xor_b32_e32 v3, s6, v3
	v_add3_u32 v13, v13, v21, v20
	v_sub_u32_e32 v20, v19, v13
	v_mov_b32_e32 v21, s9
	v_sub_co_u32_e32 v12, vcc, v18, v12
	v_subb_co_u32_e64 v18, s[0:1], v20, v21, vcc
	v_subrev_co_u32_e64 v20, s[0:1], s8, v12
	v_subbrev_co_u32_e64 v18, s[0:1], 0, v18, s[0:1]
	v_cmp_le_u32_e64 s[0:1], s9, v18
	v_cndmask_b32_e64 v21, 0, -1, s[0:1]
	v_cmp_le_u32_e64 s[0:1], s8, v20
	v_cndmask_b32_e64 v20, 0, -1, s[0:1]
	v_cmp_eq_u32_e64 s[0:1], s9, v18
	v_cndmask_b32_e64 v18, v21, v20, s[0:1]
	v_add_co_u32_e64 v20, s[0:1], 2, v14
	v_subb_co_u32_e32 v13, vcc, v19, v13, vcc
	v_addc_co_u32_e64 v21, s[0:1], 0, v15, s[0:1]
	v_cmp_le_u32_e32 vcc, s9, v13
	v_add_co_u32_e64 v22, s[0:1], 1, v14
	v_cndmask_b32_e64 v19, 0, -1, vcc
	v_cmp_le_u32_e32 vcc, s8, v12
	v_addc_co_u32_e64 v23, s[0:1], 0, v15, s[0:1]
	v_cndmask_b32_e64 v12, 0, -1, vcc
	v_cmp_eq_u32_e32 vcc, s9, v13
	v_cmp_ne_u32_e64 s[0:1], 0, v18
	v_cndmask_b32_e32 v12, v19, v12, vcc
	v_cndmask_b32_e64 v18, v23, v21, s[0:1]
	v_cmp_ne_u32_e32 vcc, 0, v12
	v_cndmask_b32_e64 v13, v22, v20, s[0:1]
	v_cndmask_b32_e32 v12, v15, v18, vcc
	v_cndmask_b32_e32 v13, v14, v13, vcc
	v_xor_b32_e32 v14, v12, v3
	v_xor_b32_e32 v12, v13, v3
	v_sub_co_u32_e32 v12, vcc, v12, v3
	v_subb_co_u32_e32 v13, vcc, v14, v3, vcc
.LBB103_15:                             ;   in Loop: Header=BB103_3 Depth=1
	s_andn2_saveexec_b64 s[0:1], s[4:5]
	s_cbranch_execz .LBB103_17
; %bb.16:                               ;   in Loop: Header=BB103_3 Depth=1
	v_cvt_f32_u32_e32 v3, s2
	s_sub_i32 s4, 0, s2
	v_rcp_iflag_f32_e32 v3, v3
	v_mul_f32_e32 v3, 0x4f7ffffe, v3
	v_cvt_u32_f32_e32 v3, v3
	v_mul_lo_u32 v12, s4, v3
	v_mul_hi_u32 v12, v3, v12
	v_add_u32_e32 v3, v3, v12
	v_mul_hi_u32 v3, v10, v3
	v_mul_lo_u32 v12, v3, s2
	v_add_u32_e32 v13, 1, v3
	v_sub_u32_e32 v12, v10, v12
	v_subrev_u32_e32 v14, s2, v12
	v_cmp_le_u32_e32 vcc, s2, v12
	v_cndmask_b32_e32 v12, v12, v14, vcc
	v_cndmask_b32_e32 v3, v3, v13, vcc
	v_add_u32_e32 v13, 1, v3
	v_cmp_le_u32_e32 vcc, s2, v12
	v_cndmask_b32_e32 v12, v3, v13, vcc
	v_mov_b32_e32 v13, v2
.LBB103_17:                             ;   in Loop: Header=BB103_3 Depth=1
	s_or_b64 exec, exec, s[0:1]
	v_mul_lo_u32 v3, v13, s2
	v_mul_lo_u32 v18, v12, s3
	v_mad_u64_u32 v[14:15], s[0:1], v12, s2, 0
	s_load_dwordx2 s[0:1], s[40:41], 0xd0
	s_load_dwordx2 s[2:3], s[42:43], 0xd0
	v_add3_u32 v3, v15, v18, v3
	v_sub_co_u32_e32 v10, vcc, v10, v14
	v_subb_co_u32_e32 v3, vcc, v11, v3, vcc
	s_waitcnt lgkmcnt(0)
	v_mul_lo_u32 v11, s0, v3
	v_mul_lo_u32 v14, s1, v10
	v_mad_u64_u32 v[8:9], s[0:1], s0, v10, v[8:9]
	v_mul_lo_u32 v3, s2, v3
	v_mul_lo_u32 v15, s3, v10
	v_mad_u64_u32 v[6:7], s[0:1], s2, v10, v[6:7]
	v_add3_u32 v9, v14, v9, v11
	v_mov_b32_e32 v10, v12
	v_add3_u32 v7, v15, v7, v3
	v_mov_b32_e32 v11, v13
	s_mov_b64 s[0:1], s[44:45]
	s_andn2_b64 vcc, exec, s[46:47]
	s_cbranch_vccz .LBB103_19
	s_branch .LBB103_29
.LBB103_18:                             ;   in Loop: Header=BB103_3 Depth=1
	s_mov_b64 s[0:1], s[30:31]
	s_andn2_b64 vcc, exec, s[46:47]
	s_cbranch_vccnz .LBB103_29
.LBB103_19:                             ;   in Loop: Header=BB103_3 Depth=1
	s_lshl_b64 s[4:5], s[0:1], 3
	s_add_u32 s2, s64, s4
	s_addc_u32 s3, s65, s5
	s_add_u32 s4, s33, s4
	s_addc_u32 s5, s62, s5
	;; [unrolled: 2-line block ×3, first 2 shown]
	s_branch .LBB103_21
.LBB103_20:                             ;   in Loop: Header=BB103_21 Depth=2
	s_or_b64 exec, exec, s[0:1]
	v_mul_lo_u32 v3, v13, s8
	v_mul_lo_u32 v20, v12, s9
	v_mad_u64_u32 v[18:19], s[0:1], v12, s8, 0
	v_mul_lo_u32 v21, v15, s50
	v_mul_lo_u32 v22, v14, s51
	v_add3_u32 v3, v19, v20, v3
	v_sub_co_u32_e32 v10, vcc, v10, v18
	v_subb_co_u32_e32 v3, vcc, v11, v3, vcc
	v_mul_lo_u32 v18, s54, v3
	v_mul_lo_u32 v19, s55, v10
	v_mad_u64_u32 v[8:9], s[0:1], s54, v10, v[8:9]
	v_mul_lo_u32 v3, s52, v3
	v_mul_lo_u32 v20, s53, v10
	v_mad_u64_u32 v[6:7], s[0:1], s52, v10, v[6:7]
	v_mad_u64_u32 v[10:11], s[0:1], v14, s50, 0
	s_load_dwordx2 s[0:1], s[4:5], 0xc8
	s_load_dwordx2 s[8:9], s[2:3], 0x0
	v_add3_u32 v7, v20, v7, v3
	v_add3_u32 v3, v11, v22, v21
	v_sub_co_u32_e32 v10, vcc, v12, v10
	v_add3_u32 v9, v19, v9, v18
	v_subb_co_u32_e32 v3, vcc, v13, v3, vcc
	s_add_u32 s2, s2, -16
	s_waitcnt lgkmcnt(0)
	v_mad_u64_u32 v[8:9], s[50:51], s0, v10, v[8:9]
	v_mul_lo_u32 v11, s0, v3
	v_mul_lo_u32 v12, s1, v10
	v_mad_u64_u32 v[6:7], s[0:1], s8, v10, v[6:7]
	v_mul_lo_u32 v3, s8, v3
	v_mul_lo_u32 v10, s9, v10
	s_addc_u32 s3, s3, -1
	s_add_u32 s4, s4, -16
	s_addc_u32 s5, s5, -1
	s_add_u32 s6, s6, -2
	v_add3_u32 v9, v12, v9, v11
	v_add3_u32 v7, v10, v7, v3
	s_addc_u32 s7, s7, -1
	v_mov_b32_e32 v10, v14
	s_cmp_eq_u64 s[6:7], 0
	v_mov_b32_e32 v11, v15
	s_cbranch_scc1 .LBB103_29
.LBB103_21:                             ;   Parent Loop BB103_3 Depth=1
                                        ; =>  This Inner Loop Header: Depth=2
	s_load_dwordx2 s[8:9], s[4:5], 0x8
                                        ; implicit-def: $vgpr12_vgpr13
	s_waitcnt lgkmcnt(0)
	v_or_b32_e32 v3, s9, v11
	v_cmp_ne_u64_e32 vcc, 0, v[2:3]
	s_and_saveexec_b64 s[0:1], vcc
	s_xor_b64 s[50:51], exec, s[0:1]
	s_cbranch_execz .LBB103_23
; %bb.22:                               ;   in Loop: Header=BB103_21 Depth=2
	s_ashr_i32 s52, s9, 31
	s_add_u32 s0, s8, s52
	s_mov_b32 s53, s52
	s_addc_u32 s1, s9, s52
	s_xor_b64 s[54:55], s[0:1], s[52:53]
	v_cvt_f32_u32_e32 v3, s54
	v_cvt_f32_u32_e32 v12, s55
	s_sub_u32 s53, 0, s54
	s_subb_u32 s56, 0, s55
	v_mac_f32_e32 v3, 0x4f800000, v12
	v_rcp_f32_e32 v3, v3
	v_mul_f32_e32 v3, 0x5f7ffffc, v3
	v_mul_f32_e32 v12, 0x2f800000, v3
	v_trunc_f32_e32 v12, v12
	v_mac_f32_e32 v3, 0xcf800000, v12
	v_cvt_u32_f32_e32 v12, v12
	v_cvt_u32_f32_e32 v3, v3
	v_readfirstlane_b32 s57, v12
	v_readfirstlane_b32 s0, v3
	s_mul_i32 s1, s53, s57
	s_mul_hi_u32 s59, s53, s0
	s_mul_i32 s58, s56, s0
	s_add_i32 s1, s59, s1
	s_add_i32 s1, s1, s58
	s_mul_i32 s60, s53, s0
	s_mul_i32 s59, s0, s1
	s_mul_hi_u32 s61, s0, s60
	s_mul_hi_u32 s58, s0, s1
	s_add_u32 s59, s61, s59
	s_addc_u32 s58, 0, s58
	s_mul_hi_u32 s66, s57, s60
	s_mul_i32 s60, s57, s60
	s_add_u32 s59, s59, s60
	s_mul_hi_u32 s61, s57, s1
	s_addc_u32 s58, s58, s66
	s_addc_u32 s59, s61, 0
	s_mul_i32 s1, s57, s1
	s_add_u32 s1, s58, s1
	s_addc_u32 s58, 0, s59
	s_add_u32 s59, s0, s1
	s_cselect_b64 s[0:1], -1, 0
	s_cmp_lg_u64 s[0:1], 0
	s_addc_u32 s57, s57, s58
	s_mul_i32 s0, s53, s57
	s_mul_hi_u32 s1, s53, s59
	s_add_i32 s0, s1, s0
	s_mul_i32 s56, s56, s59
	s_add_i32 s0, s0, s56
	s_mul_i32 s53, s53, s59
	s_mul_hi_u32 s56, s57, s53
	s_mul_i32 s58, s57, s53
	s_mul_i32 s61, s59, s0
	s_mul_hi_u32 s53, s59, s53
	s_mul_hi_u32 s60, s59, s0
	s_add_u32 s53, s53, s61
	s_addc_u32 s60, 0, s60
	s_add_u32 s53, s53, s58
	s_mul_hi_u32 s1, s57, s0
	s_addc_u32 s53, s60, s56
	s_addc_u32 s1, s1, 0
	s_mul_i32 s0, s57, s0
	s_add_u32 s0, s53, s0
	s_addc_u32 s53, 0, s1
	s_add_u32 s56, s59, s0
	s_cselect_b64 s[0:1], -1, 0
	v_ashrrev_i32_e32 v3, 31, v11
	s_cmp_lg_u64 s[0:1], 0
	v_add_co_u32_e32 v12, vcc, v10, v3
	s_addc_u32 s53, s57, s53
	v_xor_b32_e32 v18, v12, v3
	v_mad_u64_u32 v[12:13], s[0:1], v18, s53, 0
	v_mul_hi_u32 v15, v18, s56
	v_addc_co_u32_e32 v14, vcc, v11, v3, vcc
	v_xor_b32_e32 v19, v14, v3
	v_add_co_u32_e32 v20, vcc, v15, v12
	v_addc_co_u32_e32 v21, vcc, 0, v13, vcc
	v_mad_u64_u32 v[12:13], s[0:1], v19, s56, 0
	v_mad_u64_u32 v[14:15], s[0:1], v19, s53, 0
	v_add_co_u32_e32 v12, vcc, v20, v12
	v_addc_co_u32_e32 v12, vcc, v21, v13, vcc
	v_addc_co_u32_e32 v13, vcc, 0, v15, vcc
	v_add_co_u32_e32 v14, vcc, v12, v14
	v_addc_co_u32_e32 v15, vcc, 0, v13, vcc
	v_mul_lo_u32 v20, s55, v14
	v_mul_lo_u32 v21, s54, v15
	v_mad_u64_u32 v[12:13], s[0:1], s54, v14, 0
	v_xor_b32_e32 v3, s52, v3
	v_add3_u32 v13, v13, v21, v20
	v_sub_u32_e32 v20, v19, v13
	v_mov_b32_e32 v21, s55
	v_sub_co_u32_e32 v12, vcc, v18, v12
	v_subb_co_u32_e64 v18, s[0:1], v20, v21, vcc
	v_subrev_co_u32_e64 v20, s[0:1], s54, v12
	v_subbrev_co_u32_e64 v18, s[0:1], 0, v18, s[0:1]
	v_cmp_le_u32_e64 s[0:1], s55, v18
	v_cndmask_b32_e64 v21, 0, -1, s[0:1]
	v_cmp_le_u32_e64 s[0:1], s54, v20
	v_cndmask_b32_e64 v20, 0, -1, s[0:1]
	v_cmp_eq_u32_e64 s[0:1], s55, v18
	v_cndmask_b32_e64 v18, v21, v20, s[0:1]
	v_add_co_u32_e64 v20, s[0:1], 2, v14
	v_subb_co_u32_e32 v13, vcc, v19, v13, vcc
	v_addc_co_u32_e64 v21, s[0:1], 0, v15, s[0:1]
	v_cmp_le_u32_e32 vcc, s55, v13
	v_add_co_u32_e64 v22, s[0:1], 1, v14
	v_cndmask_b32_e64 v19, 0, -1, vcc
	v_cmp_le_u32_e32 vcc, s54, v12
	v_addc_co_u32_e64 v23, s[0:1], 0, v15, s[0:1]
	v_cndmask_b32_e64 v12, 0, -1, vcc
	v_cmp_eq_u32_e32 vcc, s55, v13
	v_cmp_ne_u32_e64 s[0:1], 0, v18
	v_cndmask_b32_e32 v12, v19, v12, vcc
	v_cndmask_b32_e64 v18, v23, v21, s[0:1]
	v_cmp_ne_u32_e32 vcc, 0, v12
	v_cndmask_b32_e64 v13, v22, v20, s[0:1]
	v_cndmask_b32_e32 v12, v15, v18, vcc
	v_cndmask_b32_e32 v13, v14, v13, vcc
	v_xor_b32_e32 v14, v12, v3
	v_xor_b32_e32 v12, v13, v3
	v_sub_co_u32_e32 v12, vcc, v12, v3
	v_subb_co_u32_e32 v13, vcc, v14, v3, vcc
.LBB103_23:                             ;   in Loop: Header=BB103_21 Depth=2
	s_andn2_saveexec_b64 s[0:1], s[50:51]
	s_cbranch_execz .LBB103_25
; %bb.24:                               ;   in Loop: Header=BB103_21 Depth=2
	v_cvt_f32_u32_e32 v3, s8
	s_sub_i32 s50, 0, s8
	v_rcp_iflag_f32_e32 v3, v3
	v_mul_f32_e32 v3, 0x4f7ffffe, v3
	v_cvt_u32_f32_e32 v3, v3
	v_mul_lo_u32 v12, s50, v3
	v_mul_hi_u32 v12, v3, v12
	v_add_u32_e32 v3, v3, v12
	v_mul_hi_u32 v3, v10, v3
	v_mul_lo_u32 v12, v3, s8
	v_add_u32_e32 v13, 1, v3
	v_sub_u32_e32 v12, v10, v12
	v_subrev_u32_e32 v14, s8, v12
	v_cmp_le_u32_e32 vcc, s8, v12
	v_cndmask_b32_e32 v12, v12, v14, vcc
	v_cndmask_b32_e32 v3, v3, v13, vcc
	v_add_u32_e32 v13, 1, v3
	v_cmp_le_u32_e32 vcc, s8, v12
	v_cndmask_b32_e32 v12, v3, v13, vcc
	v_mov_b32_e32 v13, v2
.LBB103_25:                             ;   in Loop: Header=BB103_21 Depth=2
	s_or_b64 exec, exec, s[0:1]
	s_load_dwordx2 s[50:51], s[4:5], 0x0
	s_load_dwordx2 s[54:55], s[4:5], 0xd0
	;; [unrolled: 1-line block ×3, first 2 shown]
                                        ; implicit-def: $vgpr14_vgpr15
	s_waitcnt lgkmcnt(0)
	v_or_b32_e32 v3, s51, v13
	v_cmp_ne_u64_e32 vcc, 0, v[2:3]
	s_and_saveexec_b64 s[0:1], vcc
	s_xor_b64 s[56:57], exec, s[0:1]
	s_cbranch_execz .LBB103_27
; %bb.26:                               ;   in Loop: Header=BB103_21 Depth=2
	s_ashr_i32 s58, s51, 31
	s_add_u32 s0, s50, s58
	s_mov_b32 s59, s58
	s_addc_u32 s1, s51, s58
	s_xor_b64 s[60:61], s[0:1], s[58:59]
	v_cvt_f32_u32_e32 v3, s60
	v_cvt_f32_u32_e32 v14, s61
	s_sub_u32 s59, 0, s60
	s_subb_u32 s66, 0, s61
	v_mac_f32_e32 v3, 0x4f800000, v14
	v_rcp_f32_e32 v3, v3
	v_mul_f32_e32 v3, 0x5f7ffffc, v3
	v_mul_f32_e32 v14, 0x2f800000, v3
	v_trunc_f32_e32 v14, v14
	v_mac_f32_e32 v3, 0xcf800000, v14
	v_cvt_u32_f32_e32 v14, v14
	v_cvt_u32_f32_e32 v3, v3
	v_readfirstlane_b32 s67, v14
	v_readfirstlane_b32 s0, v3
	s_mul_i32 s1, s59, s67
	s_mul_hi_u32 s69, s59, s0
	s_mul_i32 s68, s66, s0
	s_add_i32 s1, s69, s1
	s_add_i32 s1, s1, s68
	s_mul_i32 s70, s59, s0
	s_mul_i32 s69, s0, s1
	s_mul_hi_u32 s71, s0, s70
	s_mul_hi_u32 s68, s0, s1
	s_add_u32 s69, s71, s69
	s_addc_u32 s68, 0, s68
	s_mul_hi_u32 s72, s67, s70
	s_mul_i32 s70, s67, s70
	s_add_u32 s69, s69, s70
	s_mul_hi_u32 s71, s67, s1
	s_addc_u32 s68, s68, s72
	s_addc_u32 s69, s71, 0
	s_mul_i32 s1, s67, s1
	s_add_u32 s1, s68, s1
	s_addc_u32 s68, 0, s69
	s_add_u32 s69, s0, s1
	s_cselect_b64 s[0:1], -1, 0
	s_cmp_lg_u64 s[0:1], 0
	s_addc_u32 s67, s67, s68
	s_mul_i32 s0, s59, s67
	s_mul_hi_u32 s1, s59, s69
	s_add_i32 s0, s1, s0
	s_mul_i32 s66, s66, s69
	s_add_i32 s0, s0, s66
	s_mul_i32 s59, s59, s69
	s_mul_hi_u32 s66, s67, s59
	s_mul_i32 s68, s67, s59
	s_mul_i32 s71, s69, s0
	s_mul_hi_u32 s59, s69, s59
	s_mul_hi_u32 s70, s69, s0
	s_add_u32 s59, s59, s71
	s_addc_u32 s70, 0, s70
	s_add_u32 s59, s59, s68
	s_mul_hi_u32 s1, s67, s0
	s_addc_u32 s59, s70, s66
	s_addc_u32 s1, s1, 0
	s_mul_i32 s0, s67, s0
	s_add_u32 s0, s59, s0
	s_addc_u32 s59, 0, s1
	s_add_u32 s66, s69, s0
	s_cselect_b64 s[0:1], -1, 0
	v_ashrrev_i32_e32 v3, 31, v13
	s_cmp_lg_u64 s[0:1], 0
	v_add_co_u32_e32 v14, vcc, v12, v3
	s_addc_u32 s59, s67, s59
	v_xor_b32_e32 v20, v14, v3
	v_mad_u64_u32 v[14:15], s[0:1], v20, s59, 0
	v_mul_hi_u32 v19, v20, s66
	v_addc_co_u32_e32 v18, vcc, v13, v3, vcc
	v_xor_b32_e32 v21, v18, v3
	v_add_co_u32_e32 v22, vcc, v19, v14
	v_addc_co_u32_e32 v23, vcc, 0, v15, vcc
	v_mad_u64_u32 v[14:15], s[0:1], v21, s66, 0
	v_mad_u64_u32 v[18:19], s[0:1], v21, s59, 0
	v_add_co_u32_e32 v14, vcc, v22, v14
	v_addc_co_u32_e32 v14, vcc, v23, v15, vcc
	v_addc_co_u32_e32 v15, vcc, 0, v19, vcc
	v_add_co_u32_e32 v18, vcc, v14, v18
	v_addc_co_u32_e32 v19, vcc, 0, v15, vcc
	v_mul_lo_u32 v22, s61, v18
	v_mul_lo_u32 v23, s60, v19
	v_mad_u64_u32 v[14:15], s[0:1], s60, v18, 0
	v_xor_b32_e32 v3, s58, v3
	v_add3_u32 v15, v15, v23, v22
	v_sub_u32_e32 v22, v21, v15
	v_mov_b32_e32 v23, s61
	v_sub_co_u32_e32 v14, vcc, v20, v14
	v_subb_co_u32_e64 v20, s[0:1], v22, v23, vcc
	v_subrev_co_u32_e64 v22, s[0:1], s60, v14
	v_subbrev_co_u32_e64 v20, s[0:1], 0, v20, s[0:1]
	v_cmp_le_u32_e64 s[0:1], s61, v20
	v_cndmask_b32_e64 v23, 0, -1, s[0:1]
	v_cmp_le_u32_e64 s[0:1], s60, v22
	v_cndmask_b32_e64 v22, 0, -1, s[0:1]
	v_cmp_eq_u32_e64 s[0:1], s61, v20
	v_cndmask_b32_e64 v20, v23, v22, s[0:1]
	v_add_co_u32_e64 v22, s[0:1], 2, v18
	v_subb_co_u32_e32 v15, vcc, v21, v15, vcc
	v_addc_co_u32_e64 v23, s[0:1], 0, v19, s[0:1]
	v_cmp_le_u32_e32 vcc, s61, v15
	v_add_co_u32_e64 v24, s[0:1], 1, v18
	v_cndmask_b32_e64 v21, 0, -1, vcc
	v_cmp_le_u32_e32 vcc, s60, v14
	v_addc_co_u32_e64 v25, s[0:1], 0, v19, s[0:1]
	v_cndmask_b32_e64 v14, 0, -1, vcc
	v_cmp_eq_u32_e32 vcc, s61, v15
	v_cmp_ne_u32_e64 s[0:1], 0, v20
	v_cndmask_b32_e32 v14, v21, v14, vcc
	v_cndmask_b32_e64 v20, v25, v23, s[0:1]
	v_cmp_ne_u32_e32 vcc, 0, v14
	v_cndmask_b32_e64 v15, v24, v22, s[0:1]
	v_cndmask_b32_e32 v14, v19, v20, vcc
	v_cndmask_b32_e32 v15, v18, v15, vcc
	v_xor_b32_e32 v18, v14, v3
	v_xor_b32_e32 v14, v15, v3
	v_sub_co_u32_e32 v14, vcc, v14, v3
	v_subb_co_u32_e32 v15, vcc, v18, v3, vcc
.LBB103_27:                             ;   in Loop: Header=BB103_21 Depth=2
	s_andn2_saveexec_b64 s[0:1], s[56:57]
	s_cbranch_execz .LBB103_20
; %bb.28:                               ;   in Loop: Header=BB103_21 Depth=2
	v_cvt_f32_u32_e32 v3, s50
	s_sub_i32 s56, 0, s50
	v_rcp_iflag_f32_e32 v3, v3
	v_mul_f32_e32 v3, 0x4f7ffffe, v3
	v_cvt_u32_f32_e32 v3, v3
	v_mul_lo_u32 v14, s56, v3
	v_mul_hi_u32 v14, v3, v14
	v_add_u32_e32 v3, v3, v14
	v_mul_hi_u32 v3, v12, v3
	v_mul_lo_u32 v14, v3, s50
	v_add_u32_e32 v15, 1, v3
	v_sub_u32_e32 v14, v12, v14
	v_subrev_u32_e32 v18, s50, v14
	v_cmp_le_u32_e32 vcc, s50, v14
	v_cndmask_b32_e32 v14, v14, v18, vcc
	v_cndmask_b32_e32 v3, v3, v15, vcc
	v_add_u32_e32 v15, 1, v3
	v_cmp_le_u32_e32 vcc, s50, v14
	v_cndmask_b32_e32 v14, v3, v15, vcc
	v_mov_b32_e32 v15, v2
	s_branch .LBB103_20
.LBB103_29:                             ;   in Loop: Header=BB103_3 Depth=1
	v_sub_co_u32_e32 v10, vcc, v4, v16
	v_subb_co_u32_e32 v11, vcc, v5, v17, vcc
	v_add_co_u32_e32 v12, vcc, 4, v10
	v_addc_co_u32_e32 v13, vcc, 0, v11, vcc
	v_cmp_le_i64_e32 vcc, s[12:13], v[12:13]
	v_mov_b32_e32 v3, 0
	s_and_saveexec_b64 s[50:51], vcc
	s_cbranch_execz .LBB103_39
; %bb.30:                               ;   in Loop: Header=BB103_3 Depth=1
	v_cmp_gt_i64_e32 vcc, s[18:19], v[4:5]
	v_mov_b32_e32 v3, 0
	v_mov_b32_e32 v12, 0
	;; [unrolled: 1-line block ×4, first 2 shown]
	s_and_saveexec_b64 s[0:1], vcc
	s_cbranch_execz .LBB103_38
; %bb.31:                               ;   in Loop: Header=BB103_3 Depth=1
	v_mov_b32_e32 v3, s11
	v_add_co_u32_e32 v8, vcc, s10, v8
	v_addc_co_u32_e32 v9, vcc, v3, v9, vcc
	global_load_ubyte v3, v[8:9], off
	v_add_co_u32_e32 v13, vcc, 1, v4
	v_addc_co_u32_e32 v14, vcc, 0, v5, vcc
	v_cmp_gt_i64_e32 vcc, s[18:19], v[13:14]
	v_mov_b32_e32 v12, 0
	v_mov_b32_e32 v13, 0
	;; [unrolled: 1-line block ×3, first 2 shown]
	s_and_saveexec_b64 s[2:3], vcc
	s_xor_b64 s[2:3], exec, s[2:3]
	s_cbranch_execz .LBB103_37
; %bb.32:                               ;   in Loop: Header=BB103_3 Depth=1
	v_mov_b32_e32 v12, s23
	v_add_co_u32_e32 v8, vcc, s22, v8
	v_addc_co_u32_e32 v9, vcc, v9, v12, vcc
	global_load_ubyte v12, v[8:9], off
	v_add_co_u32_e32 v14, vcc, 2, v4
	v_addc_co_u32_e32 v15, vcc, 0, v5, vcc
	v_cmp_gt_i64_e32 vcc, s[18:19], v[14:15]
	v_mov_b32_e32 v13, 0
	v_mov_b32_e32 v14, 0
	s_and_saveexec_b64 s[4:5], vcc
	s_xor_b64 s[4:5], exec, s[4:5]
	s_cbranch_execz .LBB103_36
; %bb.33:                               ;   in Loop: Header=BB103_3 Depth=1
	v_mov_b32_e32 v13, s23
	v_add_co_u32_e32 v8, vcc, s22, v8
	v_addc_co_u32_e32 v9, vcc, v9, v13, vcc
	global_load_ubyte v13, v[8:9], off
	v_add_co_u32_e32 v14, vcc, 3, v4
	v_addc_co_u32_e32 v15, vcc, 0, v5, vcc
	v_cmp_gt_i64_e32 vcc, s[18:19], v[14:15]
	v_mov_b32_e32 v14, 0
	s_and_saveexec_b64 s[6:7], vcc
	s_xor_b64 s[6:7], exec, s[6:7]
	s_cbranch_execz .LBB103_35
; %bb.34:                               ;   in Loop: Header=BB103_3 Depth=1
	v_mov_b32_e32 v14, s23
	v_add_co_u32_e32 v8, vcc, s22, v8
	v_addc_co_u32_e32 v9, vcc, v9, v14, vcc
	global_load_ubyte v14, v[8:9], off
.LBB103_35:                             ;   in Loop: Header=BB103_3 Depth=1
	s_or_b64 exec, exec, s[6:7]
.LBB103_36:                             ;   in Loop: Header=BB103_3 Depth=1
	s_or_b64 exec, exec, s[4:5]
.LBB103_37:                             ;   in Loop: Header=BB103_3 Depth=1
	s_or_b64 exec, exec, s[2:3]
.LBB103_38:                             ;   in Loop: Header=BB103_3 Depth=1
	s_or_b64 exec, exec, s[0:1]
	s_waitcnt vmcnt(0)
	v_and_b32_e32 v8, 1, v14
	v_cmp_eq_u32_e64 s[0:1], 1, v8
	v_and_b32_e32 v8, 1, v13
	v_cmp_eq_u32_e64 s[2:3], 1, v8
	;; [unrolled: 2-line block ×3, first 2 shown]
	v_add_co_u32_e64 v8, s[8:9], 1, v10
	v_cmp_le_i64_e32 vcc, s[12:13], v[10:11]
	v_and_b32_e32 v3, 1, v3
	v_addc_co_u32_e64 v9, s[8:9], 0, v11, s[8:9]
	v_cmp_eq_u32_e64 s[6:7], 1, v3
	v_cmp_le_i64_e64 s[8:9], s[12:13], v[8:9]
	s_and_b64 s[6:7], vcc, s[6:7]
	v_add_co_u32_e32 v8, vcc, 2, v10
	s_and_b64 s[4:5], s[8:9], s[4:5]
	v_addc_co_u32_e32 v9, vcc, 0, v11, vcc
	v_cndmask_b32_e64 v12, 0, 1, s[4:5]
	v_cmp_le_i64_e32 vcc, s[12:13], v[8:9]
	v_add_co_u32_e64 v8, s[4:5], 3, v10
	v_addc_co_u32_e64 v9, s[4:5], 0, v11, s[4:5]
	v_cmp_le_i64_e64 s[4:5], s[12:13], v[8:9]
	s_and_b64 s[2:3], vcc, s[2:3]
	s_and_b64 s[0:1], s[4:5], s[0:1]
	v_cndmask_b32_e64 v9, 0, 1, s[0:1]
	v_cndmask_b32_e64 v3, 0, 1, s[6:7]
	;; [unrolled: 1-line block ×3, first 2 shown]
	v_lshlrev_b16_e32 v10, 8, v12
	v_lshlrev_b16_e32 v9, 8, v9
	v_or_b32_e32 v3, v3, v10
	v_or_b32_sdwa v8, v8, v9 dst_sel:WORD_1 dst_unused:UNUSED_PAD src0_sel:DWORD src1_sel:DWORD
	v_or_b32_sdwa v3, v3, v8 dst_sel:DWORD dst_unused:UNUSED_PAD src0_sel:WORD_0 src1_sel:DWORD
.LBB103_39:                             ;   in Loop: Header=BB103_3 Depth=1
	s_or_b64 exec, exec, s[50:51]
	v_cmp_gt_i64_e32 vcc, s[18:19], v[4:5]
	s_and_saveexec_b64 s[0:1], vcc
	s_cbranch_execz .LBB103_2
; %bb.40:                               ;   in Loop: Header=BB103_3 Depth=1
	v_mov_b32_e32 v8, s37
	v_add_co_u32_e32 v6, vcc, s36, v6
	v_addc_co_u32_e32 v7, vcc, v8, v7, vcc
	v_add_co_u32_e32 v8, vcc, 1, v4
	v_addc_co_u32_e32 v9, vcc, 0, v5, vcc
	v_cmp_gt_i64_e32 vcc, s[18:19], v[8:9]
	global_store_byte v[6:7], v3, off
	s_and_saveexec_b64 s[2:3], vcc
	s_xor_b64 s[2:3], exec, s[2:3]
	s_cbranch_execz .LBB103_2
; %bb.41:                               ;   in Loop: Header=BB103_3 Depth=1
	v_mov_b32_e32 v8, s27
	v_add_co_u32_e32 v6, vcc, s26, v6
	v_addc_co_u32_e32 v7, vcc, v7, v8, vcc
	v_add_co_u32_e32 v8, vcc, 2, v4
	v_addc_co_u32_e32 v9, vcc, 0, v5, vcc
	v_cmp_gt_i64_e32 vcc, s[18:19], v[8:9]
	v_lshrrev_b32_e32 v10, 8, v3
	global_store_byte v[6:7], v10, off
	s_and_saveexec_b64 s[2:3], vcc
	s_xor_b64 s[2:3], exec, s[2:3]
	s_cbranch_execz .LBB103_2
; %bb.42:                               ;   in Loop: Header=BB103_3 Depth=1
	v_mov_b32_e32 v8, s27
	v_add_co_u32_e32 v6, vcc, s26, v6
	v_addc_co_u32_e32 v7, vcc, v7, v8, vcc
	v_add_co_u32_e32 v4, vcc, 3, v4
	v_addc_co_u32_e32 v5, vcc, 0, v5, vcc
	v_cmp_gt_i64_e32 vcc, s[18:19], v[4:5]
	global_store_byte_d16_hi v[6:7], v3, off
	s_and_saveexec_b64 s[2:3], vcc
	s_xor_b64 s[2:3], exec, s[2:3]
	s_cbranch_execz .LBB103_2
; %bb.43:                               ;   in Loop: Header=BB103_3 Depth=1
	v_lshrrev_b32_e32 v5, 24, v3
	v_mov_b32_e32 v4, s27
	v_add_co_u32_e32 v3, vcc, s26, v6
	v_addc_co_u32_e32 v4, vcc, v7, v4, vcc
	global_store_byte v[3:4], v5, off
	s_branch .LBB103_2
.LBB103_44:
	s_endpgm
	.section	.rodata,"a",@progbits
	.p2align	6, 0x0
	.amdhsa_kernel _ZN2at6native16triu_tril_kernelIblLb1ELi4ELb0EEEvNS_4cuda6detail10TensorInfoIT_T0_EENS4_IKS5_S6_EEllS6_
		.amdhsa_group_segment_fixed_size 0
		.amdhsa_private_segment_fixed_size 0
		.amdhsa_kernarg_size 1112
		.amdhsa_user_sgpr_count 6
		.amdhsa_user_sgpr_private_segment_buffer 1
		.amdhsa_user_sgpr_dispatch_ptr 0
		.amdhsa_user_sgpr_queue_ptr 0
		.amdhsa_user_sgpr_kernarg_segment_ptr 1
		.amdhsa_user_sgpr_dispatch_id 0
		.amdhsa_user_sgpr_flat_scratch_init 0
		.amdhsa_user_sgpr_private_segment_size 0
		.amdhsa_uses_dynamic_stack 0
		.amdhsa_system_sgpr_private_segment_wavefront_offset 0
		.amdhsa_system_sgpr_workgroup_id_x 1
		.amdhsa_system_sgpr_workgroup_id_y 0
		.amdhsa_system_sgpr_workgroup_id_z 0
		.amdhsa_system_sgpr_workgroup_info 0
		.amdhsa_system_vgpr_workitem_id 0
		.amdhsa_next_free_vgpr 26
		.amdhsa_next_free_sgpr 73
		.amdhsa_reserve_vcc 1
		.amdhsa_reserve_flat_scratch 0
		.amdhsa_float_round_mode_32 0
		.amdhsa_float_round_mode_16_64 0
		.amdhsa_float_denorm_mode_32 3
		.amdhsa_float_denorm_mode_16_64 3
		.amdhsa_dx10_clamp 1
		.amdhsa_ieee_mode 1
		.amdhsa_fp16_overflow 0
		.amdhsa_exception_fp_ieee_invalid_op 0
		.amdhsa_exception_fp_denorm_src 0
		.amdhsa_exception_fp_ieee_div_zero 0
		.amdhsa_exception_fp_ieee_overflow 0
		.amdhsa_exception_fp_ieee_underflow 0
		.amdhsa_exception_fp_ieee_inexact 0
		.amdhsa_exception_int_div_zero 0
	.end_amdhsa_kernel
	.section	.text._ZN2at6native16triu_tril_kernelIblLb1ELi4ELb0EEEvNS_4cuda6detail10TensorInfoIT_T0_EENS4_IKS5_S6_EEllS6_,"axG",@progbits,_ZN2at6native16triu_tril_kernelIblLb1ELi4ELb0EEEvNS_4cuda6detail10TensorInfoIT_T0_EENS4_IKS5_S6_EEllS6_,comdat
.Lfunc_end103:
	.size	_ZN2at6native16triu_tril_kernelIblLb1ELi4ELb0EEEvNS_4cuda6detail10TensorInfoIT_T0_EENS4_IKS5_S6_EEllS6_, .Lfunc_end103-_ZN2at6native16triu_tril_kernelIblLb1ELi4ELb0EEEvNS_4cuda6detail10TensorInfoIT_T0_EENS4_IKS5_S6_EEllS6_
                                        ; -- End function
	.set _ZN2at6native16triu_tril_kernelIblLb1ELi4ELb0EEEvNS_4cuda6detail10TensorInfoIT_T0_EENS4_IKS5_S6_EEllS6_.num_vgpr, 26
	.set _ZN2at6native16triu_tril_kernelIblLb1ELi4ELb0EEEvNS_4cuda6detail10TensorInfoIT_T0_EENS4_IKS5_S6_EEllS6_.num_agpr, 0
	.set _ZN2at6native16triu_tril_kernelIblLb1ELi4ELb0EEEvNS_4cuda6detail10TensorInfoIT_T0_EENS4_IKS5_S6_EEllS6_.numbered_sgpr, 73
	.set _ZN2at6native16triu_tril_kernelIblLb1ELi4ELb0EEEvNS_4cuda6detail10TensorInfoIT_T0_EENS4_IKS5_S6_EEllS6_.num_named_barrier, 0
	.set _ZN2at6native16triu_tril_kernelIblLb1ELi4ELb0EEEvNS_4cuda6detail10TensorInfoIT_T0_EENS4_IKS5_S6_EEllS6_.private_seg_size, 0
	.set _ZN2at6native16triu_tril_kernelIblLb1ELi4ELb0EEEvNS_4cuda6detail10TensorInfoIT_T0_EENS4_IKS5_S6_EEllS6_.uses_vcc, 1
	.set _ZN2at6native16triu_tril_kernelIblLb1ELi4ELb0EEEvNS_4cuda6detail10TensorInfoIT_T0_EENS4_IKS5_S6_EEllS6_.uses_flat_scratch, 0
	.set _ZN2at6native16triu_tril_kernelIblLb1ELi4ELb0EEEvNS_4cuda6detail10TensorInfoIT_T0_EENS4_IKS5_S6_EEllS6_.has_dyn_sized_stack, 0
	.set _ZN2at6native16triu_tril_kernelIblLb1ELi4ELb0EEEvNS_4cuda6detail10TensorInfoIT_T0_EENS4_IKS5_S6_EEllS6_.has_recursion, 0
	.set _ZN2at6native16triu_tril_kernelIblLb1ELi4ELb0EEEvNS_4cuda6detail10TensorInfoIT_T0_EENS4_IKS5_S6_EEllS6_.has_indirect_call, 0
	.section	.AMDGPU.csdata,"",@progbits
; Kernel info:
; codeLenInByte = 5360
; TotalNumSgprs: 77
; NumVgprs: 26
; ScratchSize: 0
; MemoryBound: 0
; FloatMode: 240
; IeeeMode: 1
; LDSByteSize: 0 bytes/workgroup (compile time only)
; SGPRBlocks: 9
; VGPRBlocks: 6
; NumSGPRsForWavesPerEU: 77
; NumVGPRsForWavesPerEU: 26
; Occupancy: 9
; WaveLimiterHint : 0
; COMPUTE_PGM_RSRC2:SCRATCH_EN: 0
; COMPUTE_PGM_RSRC2:USER_SGPR: 6
; COMPUTE_PGM_RSRC2:TRAP_HANDLER: 0
; COMPUTE_PGM_RSRC2:TGID_X_EN: 1
; COMPUTE_PGM_RSRC2:TGID_Y_EN: 0
; COMPUTE_PGM_RSRC2:TGID_Z_EN: 0
; COMPUTE_PGM_RSRC2:TIDIG_COMP_CNT: 0
	.section	.AMDGPU.gpr_maximums,"",@progbits
	.set amdgpu.max_num_vgpr, 0
	.set amdgpu.max_num_agpr, 0
	.set amdgpu.max_num_sgpr, 0
	.section	.AMDGPU.csdata,"",@progbits
	.type	__hip_cuid_4382338b94eee03f,@object ; @__hip_cuid_4382338b94eee03f
	.section	.bss,"aw",@nobits
	.globl	__hip_cuid_4382338b94eee03f
__hip_cuid_4382338b94eee03f:
	.byte	0                               ; 0x0
	.size	__hip_cuid_4382338b94eee03f, 1

	.ident	"AMD clang version 22.0.0git (https://github.com/RadeonOpenCompute/llvm-project roc-7.2.4 26084 f58b06dce1f9c15707c5f808fd002e18c2accf7e)"
	.section	".note.GNU-stack","",@progbits
	.addrsig
	.addrsig_sym __hip_cuid_4382338b94eee03f
	.amdgpu_metadata
---
amdhsa.kernels:
  - .args:
      - .offset:         0
        .size:           216
        .value_kind:     by_value
      - .offset:         216
        .size:           216
        .value_kind:     by_value
      - .offset:         432
        .size:           8
        .value_kind:     by_value
      - .offset:         440
        .size:           8
        .value_kind:     by_value
      - .offset:         448
        .size:           4
        .value_kind:     by_value
      - .offset:         456
        .size:           4
        .value_kind:     hidden_block_count_x
      - .offset:         460
        .size:           4
        .value_kind:     hidden_block_count_y
      - .offset:         464
        .size:           4
        .value_kind:     hidden_block_count_z
      - .offset:         468
        .size:           2
        .value_kind:     hidden_group_size_x
      - .offset:         470
        .size:           2
        .value_kind:     hidden_group_size_y
      - .offset:         472
        .size:           2
        .value_kind:     hidden_group_size_z
      - .offset:         474
        .size:           2
        .value_kind:     hidden_remainder_x
      - .offset:         476
        .size:           2
        .value_kind:     hidden_remainder_y
      - .offset:         478
        .size:           2
        .value_kind:     hidden_remainder_z
      - .offset:         496
        .size:           8
        .value_kind:     hidden_global_offset_x
      - .offset:         504
        .size:           8
        .value_kind:     hidden_global_offset_y
      - .offset:         512
        .size:           8
        .value_kind:     hidden_global_offset_z
      - .offset:         520
        .size:           2
        .value_kind:     hidden_grid_dims
    .group_segment_fixed_size: 0
    .kernarg_segment_align: 8
    .kernarg_segment_size: 712
    .language:       OpenCL C
    .language_version:
      - 2
      - 0
    .max_flat_workgroup_size: 128
    .name:           _ZN2at6native16triu_tril_kernelIhiLb0ELi4ELb1EEEvNS_4cuda6detail10TensorInfoIT_T0_EENS4_IKS5_S6_EEllS6_
    .private_segment_fixed_size: 0
    .sgpr_count:     72
    .sgpr_spill_count: 0
    .symbol:         _ZN2at6native16triu_tril_kernelIhiLb0ELi4ELb1EEEvNS_4cuda6detail10TensorInfoIT_T0_EENS4_IKS5_S6_EEllS6_.kd
    .uniform_work_group_size: 1
    .uses_dynamic_stack: false
    .vgpr_count:     29
    .vgpr_spill_count: 0
    .wavefront_size: 64
  - .args:
      - .offset:         0
        .size:           216
        .value_kind:     by_value
      - .offset:         216
        .size:           216
        .value_kind:     by_value
      - .offset:         432
        .size:           8
        .value_kind:     by_value
      - .offset:         440
        .size:           8
        .value_kind:     by_value
      - .offset:         448
        .size:           4
        .value_kind:     by_value
      - .offset:         456
        .size:           4
        .value_kind:     hidden_block_count_x
      - .offset:         460
        .size:           4
        .value_kind:     hidden_block_count_y
      - .offset:         464
        .size:           4
        .value_kind:     hidden_block_count_z
      - .offset:         468
        .size:           2
        .value_kind:     hidden_group_size_x
      - .offset:         470
        .size:           2
        .value_kind:     hidden_group_size_y
      - .offset:         472
        .size:           2
        .value_kind:     hidden_group_size_z
      - .offset:         474
        .size:           2
        .value_kind:     hidden_remainder_x
      - .offset:         476
        .size:           2
        .value_kind:     hidden_remainder_y
      - .offset:         478
        .size:           2
        .value_kind:     hidden_remainder_z
      - .offset:         496
        .size:           8
        .value_kind:     hidden_global_offset_x
      - .offset:         504
        .size:           8
        .value_kind:     hidden_global_offset_y
      - .offset:         512
        .size:           8
        .value_kind:     hidden_global_offset_z
      - .offset:         520
        .size:           2
        .value_kind:     hidden_grid_dims
    .group_segment_fixed_size: 0
    .kernarg_segment_align: 8
    .kernarg_segment_size: 712
    .language:       OpenCL C
    .language_version:
      - 2
      - 0
    .max_flat_workgroup_size: 128
    .name:           _ZN2at6native16triu_tril_kernelIhiLb0ELi4ELb0EEEvNS_4cuda6detail10TensorInfoIT_T0_EENS4_IKS5_S6_EEllS6_
    .private_segment_fixed_size: 0
    .sgpr_count:     80
    .sgpr_spill_count: 0
    .symbol:         _ZN2at6native16triu_tril_kernelIhiLb0ELi4ELb0EEEvNS_4cuda6detail10TensorInfoIT_T0_EENS4_IKS5_S6_EEllS6_.kd
    .uniform_work_group_size: 1
    .uses_dynamic_stack: false
    .vgpr_count:     22
    .vgpr_spill_count: 0
    .wavefront_size: 64
  - .args:
      - .offset:         0
        .size:           416
        .value_kind:     by_value
      - .offset:         416
        .size:           416
        .value_kind:     by_value
      - .offset:         832
        .size:           8
        .value_kind:     by_value
      - .offset:         840
        .size:           8
        .value_kind:     by_value
      - .offset:         848
        .size:           8
        .value_kind:     by_value
      - .offset:         856
        .size:           4
        .value_kind:     hidden_block_count_x
      - .offset:         860
        .size:           4
        .value_kind:     hidden_block_count_y
      - .offset:         864
        .size:           4
        .value_kind:     hidden_block_count_z
      - .offset:         868
        .size:           2
        .value_kind:     hidden_group_size_x
      - .offset:         870
        .size:           2
        .value_kind:     hidden_group_size_y
      - .offset:         872
        .size:           2
        .value_kind:     hidden_group_size_z
      - .offset:         874
        .size:           2
        .value_kind:     hidden_remainder_x
      - .offset:         876
        .size:           2
        .value_kind:     hidden_remainder_y
      - .offset:         878
        .size:           2
        .value_kind:     hidden_remainder_z
      - .offset:         896
        .size:           8
        .value_kind:     hidden_global_offset_x
      - .offset:         904
        .size:           8
        .value_kind:     hidden_global_offset_y
      - .offset:         912
        .size:           8
        .value_kind:     hidden_global_offset_z
      - .offset:         920
        .size:           2
        .value_kind:     hidden_grid_dims
    .group_segment_fixed_size: 0
    .kernarg_segment_align: 8
    .kernarg_segment_size: 1112
    .language:       OpenCL C
    .language_version:
      - 2
      - 0
    .max_flat_workgroup_size: 128
    .name:           _ZN2at6native16triu_tril_kernelIhlLb0ELi4ELb1EEEvNS_4cuda6detail10TensorInfoIT_T0_EENS4_IKS5_S6_EEllS6_
    .private_segment_fixed_size: 0
    .sgpr_count:     79
    .sgpr_spill_count: 0
    .symbol:         _ZN2at6native16triu_tril_kernelIhlLb0ELi4ELb1EEEvNS_4cuda6detail10TensorInfoIT_T0_EENS4_IKS5_S6_EEllS6_.kd
    .uniform_work_group_size: 1
    .uses_dynamic_stack: false
    .vgpr_count:     30
    .vgpr_spill_count: 0
    .wavefront_size: 64
  - .args:
      - .offset:         0
        .size:           416
        .value_kind:     by_value
      - .offset:         416
        .size:           416
        .value_kind:     by_value
      - .offset:         832
        .size:           8
        .value_kind:     by_value
      - .offset:         840
        .size:           8
        .value_kind:     by_value
      - .offset:         848
        .size:           8
        .value_kind:     by_value
      - .offset:         856
        .size:           4
        .value_kind:     hidden_block_count_x
      - .offset:         860
        .size:           4
        .value_kind:     hidden_block_count_y
      - .offset:         864
        .size:           4
        .value_kind:     hidden_block_count_z
      - .offset:         868
        .size:           2
        .value_kind:     hidden_group_size_x
      - .offset:         870
        .size:           2
        .value_kind:     hidden_group_size_y
      - .offset:         872
        .size:           2
        .value_kind:     hidden_group_size_z
      - .offset:         874
        .size:           2
        .value_kind:     hidden_remainder_x
      - .offset:         876
        .size:           2
        .value_kind:     hidden_remainder_y
      - .offset:         878
        .size:           2
        .value_kind:     hidden_remainder_z
      - .offset:         896
        .size:           8
        .value_kind:     hidden_global_offset_x
      - .offset:         904
        .size:           8
        .value_kind:     hidden_global_offset_y
      - .offset:         912
        .size:           8
        .value_kind:     hidden_global_offset_z
      - .offset:         920
        .size:           2
        .value_kind:     hidden_grid_dims
    .group_segment_fixed_size: 0
    .kernarg_segment_align: 8
    .kernarg_segment_size: 1112
    .language:       OpenCL C
    .language_version:
      - 2
      - 0
    .max_flat_workgroup_size: 128
    .name:           _ZN2at6native16triu_tril_kernelIhlLb0ELi4ELb0EEEvNS_4cuda6detail10TensorInfoIT_T0_EENS4_IKS5_S6_EEllS6_
    .private_segment_fixed_size: 0
    .sgpr_count:     82
    .sgpr_spill_count: 0
    .symbol:         _ZN2at6native16triu_tril_kernelIhlLb0ELi4ELb0EEEvNS_4cuda6detail10TensorInfoIT_T0_EENS4_IKS5_S6_EEllS6_.kd
    .uniform_work_group_size: 1
    .uses_dynamic_stack: false
    .vgpr_count:     26
    .vgpr_spill_count: 0
    .wavefront_size: 64
  - .args:
      - .offset:         0
        .size:           216
        .value_kind:     by_value
      - .offset:         216
        .size:           216
        .value_kind:     by_value
      - .offset:         432
        .size:           8
        .value_kind:     by_value
      - .offset:         440
        .size:           8
        .value_kind:     by_value
      - .offset:         448
        .size:           4
        .value_kind:     by_value
      - .offset:         456
        .size:           4
        .value_kind:     hidden_block_count_x
      - .offset:         460
        .size:           4
        .value_kind:     hidden_block_count_y
      - .offset:         464
        .size:           4
        .value_kind:     hidden_block_count_z
      - .offset:         468
        .size:           2
        .value_kind:     hidden_group_size_x
      - .offset:         470
        .size:           2
        .value_kind:     hidden_group_size_y
      - .offset:         472
        .size:           2
        .value_kind:     hidden_group_size_z
      - .offset:         474
        .size:           2
        .value_kind:     hidden_remainder_x
      - .offset:         476
        .size:           2
        .value_kind:     hidden_remainder_y
      - .offset:         478
        .size:           2
        .value_kind:     hidden_remainder_z
      - .offset:         496
        .size:           8
        .value_kind:     hidden_global_offset_x
      - .offset:         504
        .size:           8
        .value_kind:     hidden_global_offset_y
      - .offset:         512
        .size:           8
        .value_kind:     hidden_global_offset_z
      - .offset:         520
        .size:           2
        .value_kind:     hidden_grid_dims
    .group_segment_fixed_size: 0
    .kernarg_segment_align: 8
    .kernarg_segment_size: 712
    .language:       OpenCL C
    .language_version:
      - 2
      - 0
    .max_flat_workgroup_size: 128
    .name:           _ZN2at6native16triu_tril_kernelIaiLb0ELi4ELb1EEEvNS_4cuda6detail10TensorInfoIT_T0_EENS4_IKS5_S6_EEllS6_
    .private_segment_fixed_size: 0
    .sgpr_count:     72
    .sgpr_spill_count: 0
    .symbol:         _ZN2at6native16triu_tril_kernelIaiLb0ELi4ELb1EEEvNS_4cuda6detail10TensorInfoIT_T0_EENS4_IKS5_S6_EEllS6_.kd
    .uniform_work_group_size: 1
    .uses_dynamic_stack: false
    .vgpr_count:     29
    .vgpr_spill_count: 0
    .wavefront_size: 64
  - .args:
      - .offset:         0
        .size:           216
        .value_kind:     by_value
      - .offset:         216
        .size:           216
        .value_kind:     by_value
      - .offset:         432
        .size:           8
        .value_kind:     by_value
      - .offset:         440
        .size:           8
        .value_kind:     by_value
      - .offset:         448
        .size:           4
        .value_kind:     by_value
      - .offset:         456
        .size:           4
        .value_kind:     hidden_block_count_x
      - .offset:         460
        .size:           4
        .value_kind:     hidden_block_count_y
      - .offset:         464
        .size:           4
        .value_kind:     hidden_block_count_z
      - .offset:         468
        .size:           2
        .value_kind:     hidden_group_size_x
      - .offset:         470
        .size:           2
        .value_kind:     hidden_group_size_y
      - .offset:         472
        .size:           2
        .value_kind:     hidden_group_size_z
      - .offset:         474
        .size:           2
        .value_kind:     hidden_remainder_x
      - .offset:         476
        .size:           2
        .value_kind:     hidden_remainder_y
      - .offset:         478
        .size:           2
        .value_kind:     hidden_remainder_z
      - .offset:         496
        .size:           8
        .value_kind:     hidden_global_offset_x
      - .offset:         504
        .size:           8
        .value_kind:     hidden_global_offset_y
      - .offset:         512
        .size:           8
        .value_kind:     hidden_global_offset_z
      - .offset:         520
        .size:           2
        .value_kind:     hidden_grid_dims
    .group_segment_fixed_size: 0
    .kernarg_segment_align: 8
    .kernarg_segment_size: 712
    .language:       OpenCL C
    .language_version:
      - 2
      - 0
    .max_flat_workgroup_size: 128
    .name:           _ZN2at6native16triu_tril_kernelIaiLb0ELi4ELb0EEEvNS_4cuda6detail10TensorInfoIT_T0_EENS4_IKS5_S6_EEllS6_
    .private_segment_fixed_size: 0
    .sgpr_count:     80
    .sgpr_spill_count: 0
    .symbol:         _ZN2at6native16triu_tril_kernelIaiLb0ELi4ELb0EEEvNS_4cuda6detail10TensorInfoIT_T0_EENS4_IKS5_S6_EEllS6_.kd
    .uniform_work_group_size: 1
    .uses_dynamic_stack: false
    .vgpr_count:     22
    .vgpr_spill_count: 0
    .wavefront_size: 64
  - .args:
      - .offset:         0
        .size:           416
        .value_kind:     by_value
      - .offset:         416
        .size:           416
        .value_kind:     by_value
      - .offset:         832
        .size:           8
        .value_kind:     by_value
      - .offset:         840
        .size:           8
        .value_kind:     by_value
      - .offset:         848
        .size:           8
        .value_kind:     by_value
      - .offset:         856
        .size:           4
        .value_kind:     hidden_block_count_x
      - .offset:         860
        .size:           4
        .value_kind:     hidden_block_count_y
      - .offset:         864
        .size:           4
        .value_kind:     hidden_block_count_z
      - .offset:         868
        .size:           2
        .value_kind:     hidden_group_size_x
      - .offset:         870
        .size:           2
        .value_kind:     hidden_group_size_y
      - .offset:         872
        .size:           2
        .value_kind:     hidden_group_size_z
      - .offset:         874
        .size:           2
        .value_kind:     hidden_remainder_x
      - .offset:         876
        .size:           2
        .value_kind:     hidden_remainder_y
      - .offset:         878
        .size:           2
        .value_kind:     hidden_remainder_z
      - .offset:         896
        .size:           8
        .value_kind:     hidden_global_offset_x
      - .offset:         904
        .size:           8
        .value_kind:     hidden_global_offset_y
      - .offset:         912
        .size:           8
        .value_kind:     hidden_global_offset_z
      - .offset:         920
        .size:           2
        .value_kind:     hidden_grid_dims
    .group_segment_fixed_size: 0
    .kernarg_segment_align: 8
    .kernarg_segment_size: 1112
    .language:       OpenCL C
    .language_version:
      - 2
      - 0
    .max_flat_workgroup_size: 128
    .name:           _ZN2at6native16triu_tril_kernelIalLb0ELi4ELb1EEEvNS_4cuda6detail10TensorInfoIT_T0_EENS4_IKS5_S6_EEllS6_
    .private_segment_fixed_size: 0
    .sgpr_count:     79
    .sgpr_spill_count: 0
    .symbol:         _ZN2at6native16triu_tril_kernelIalLb0ELi4ELb1EEEvNS_4cuda6detail10TensorInfoIT_T0_EENS4_IKS5_S6_EEllS6_.kd
    .uniform_work_group_size: 1
    .uses_dynamic_stack: false
    .vgpr_count:     30
    .vgpr_spill_count: 0
    .wavefront_size: 64
  - .args:
      - .offset:         0
        .size:           416
        .value_kind:     by_value
      - .offset:         416
        .size:           416
        .value_kind:     by_value
      - .offset:         832
        .size:           8
        .value_kind:     by_value
      - .offset:         840
        .size:           8
        .value_kind:     by_value
      - .offset:         848
        .size:           8
        .value_kind:     by_value
      - .offset:         856
        .size:           4
        .value_kind:     hidden_block_count_x
      - .offset:         860
        .size:           4
        .value_kind:     hidden_block_count_y
      - .offset:         864
        .size:           4
        .value_kind:     hidden_block_count_z
      - .offset:         868
        .size:           2
        .value_kind:     hidden_group_size_x
      - .offset:         870
        .size:           2
        .value_kind:     hidden_group_size_y
      - .offset:         872
        .size:           2
        .value_kind:     hidden_group_size_z
      - .offset:         874
        .size:           2
        .value_kind:     hidden_remainder_x
      - .offset:         876
        .size:           2
        .value_kind:     hidden_remainder_y
      - .offset:         878
        .size:           2
        .value_kind:     hidden_remainder_z
      - .offset:         896
        .size:           8
        .value_kind:     hidden_global_offset_x
      - .offset:         904
        .size:           8
        .value_kind:     hidden_global_offset_y
      - .offset:         912
        .size:           8
        .value_kind:     hidden_global_offset_z
      - .offset:         920
        .size:           2
        .value_kind:     hidden_grid_dims
    .group_segment_fixed_size: 0
    .kernarg_segment_align: 8
    .kernarg_segment_size: 1112
    .language:       OpenCL C
    .language_version:
      - 2
      - 0
    .max_flat_workgroup_size: 128
    .name:           _ZN2at6native16triu_tril_kernelIalLb0ELi4ELb0EEEvNS_4cuda6detail10TensorInfoIT_T0_EENS4_IKS5_S6_EEllS6_
    .private_segment_fixed_size: 0
    .sgpr_count:     82
    .sgpr_spill_count: 0
    .symbol:         _ZN2at6native16triu_tril_kernelIalLb0ELi4ELb0EEEvNS_4cuda6detail10TensorInfoIT_T0_EENS4_IKS5_S6_EEllS6_.kd
    .uniform_work_group_size: 1
    .uses_dynamic_stack: false
    .vgpr_count:     26
    .vgpr_spill_count: 0
    .wavefront_size: 64
  - .args:
      - .offset:         0
        .size:           216
        .value_kind:     by_value
      - .offset:         216
        .size:           216
        .value_kind:     by_value
      - .offset:         432
        .size:           8
        .value_kind:     by_value
      - .offset:         440
        .size:           8
        .value_kind:     by_value
      - .offset:         448
        .size:           4
        .value_kind:     by_value
      - .offset:         456
        .size:           4
        .value_kind:     hidden_block_count_x
      - .offset:         460
        .size:           4
        .value_kind:     hidden_block_count_y
      - .offset:         464
        .size:           4
        .value_kind:     hidden_block_count_z
      - .offset:         468
        .size:           2
        .value_kind:     hidden_group_size_x
      - .offset:         470
        .size:           2
        .value_kind:     hidden_group_size_y
      - .offset:         472
        .size:           2
        .value_kind:     hidden_group_size_z
      - .offset:         474
        .size:           2
        .value_kind:     hidden_remainder_x
      - .offset:         476
        .size:           2
        .value_kind:     hidden_remainder_y
      - .offset:         478
        .size:           2
        .value_kind:     hidden_remainder_z
      - .offset:         496
        .size:           8
        .value_kind:     hidden_global_offset_x
      - .offset:         504
        .size:           8
        .value_kind:     hidden_global_offset_y
      - .offset:         512
        .size:           8
        .value_kind:     hidden_global_offset_z
      - .offset:         520
        .size:           2
        .value_kind:     hidden_grid_dims
    .group_segment_fixed_size: 0
    .kernarg_segment_align: 8
    .kernarg_segment_size: 712
    .language:       OpenCL C
    .language_version:
      - 2
      - 0
    .max_flat_workgroup_size: 128
    .name:           _ZN2at6native16triu_tril_kernelIiiLb0ELi2ELb1EEEvNS_4cuda6detail10TensorInfoIT_T0_EENS4_IKS5_S6_EEllS6_
    .private_segment_fixed_size: 0
    .sgpr_count:     72
    .sgpr_spill_count: 0
    .symbol:         _ZN2at6native16triu_tril_kernelIiiLb0ELi2ELb1EEEvNS_4cuda6detail10TensorInfoIT_T0_EENS4_IKS5_S6_EEllS6_.kd
    .uniform_work_group_size: 1
    .uses_dynamic_stack: false
    .vgpr_count:     30
    .vgpr_spill_count: 0
    .wavefront_size: 64
  - .args:
      - .offset:         0
        .size:           216
        .value_kind:     by_value
      - .offset:         216
        .size:           216
        .value_kind:     by_value
      - .offset:         432
        .size:           8
        .value_kind:     by_value
      - .offset:         440
        .size:           8
        .value_kind:     by_value
      - .offset:         448
        .size:           4
        .value_kind:     by_value
      - .offset:         456
        .size:           4
        .value_kind:     hidden_block_count_x
      - .offset:         460
        .size:           4
        .value_kind:     hidden_block_count_y
      - .offset:         464
        .size:           4
        .value_kind:     hidden_block_count_z
      - .offset:         468
        .size:           2
        .value_kind:     hidden_group_size_x
      - .offset:         470
        .size:           2
        .value_kind:     hidden_group_size_y
      - .offset:         472
        .size:           2
        .value_kind:     hidden_group_size_z
      - .offset:         474
        .size:           2
        .value_kind:     hidden_remainder_x
      - .offset:         476
        .size:           2
        .value_kind:     hidden_remainder_y
      - .offset:         478
        .size:           2
        .value_kind:     hidden_remainder_z
      - .offset:         496
        .size:           8
        .value_kind:     hidden_global_offset_x
      - .offset:         504
        .size:           8
        .value_kind:     hidden_global_offset_y
      - .offset:         512
        .size:           8
        .value_kind:     hidden_global_offset_z
      - .offset:         520
        .size:           2
        .value_kind:     hidden_grid_dims
    .group_segment_fixed_size: 0
    .kernarg_segment_align: 8
    .kernarg_segment_size: 712
    .language:       OpenCL C
    .language_version:
      - 2
      - 0
    .max_flat_workgroup_size: 128
    .name:           _ZN2at6native16triu_tril_kernelIiiLb0ELi2ELb0EEEvNS_4cuda6detail10TensorInfoIT_T0_EENS4_IKS5_S6_EEllS6_
    .private_segment_fixed_size: 0
    .sgpr_count:     71
    .sgpr_spill_count: 0
    .symbol:         _ZN2at6native16triu_tril_kernelIiiLb0ELi2ELb0EEEvNS_4cuda6detail10TensorInfoIT_T0_EENS4_IKS5_S6_EEllS6_.kd
    .uniform_work_group_size: 1
    .uses_dynamic_stack: false
    .vgpr_count:     22
    .vgpr_spill_count: 0
    .wavefront_size: 64
  - .args:
      - .offset:         0
        .size:           416
        .value_kind:     by_value
      - .offset:         416
        .size:           416
        .value_kind:     by_value
      - .offset:         832
        .size:           8
        .value_kind:     by_value
      - .offset:         840
        .size:           8
        .value_kind:     by_value
      - .offset:         848
        .size:           8
        .value_kind:     by_value
      - .offset:         856
        .size:           4
        .value_kind:     hidden_block_count_x
      - .offset:         860
        .size:           4
        .value_kind:     hidden_block_count_y
      - .offset:         864
        .size:           4
        .value_kind:     hidden_block_count_z
      - .offset:         868
        .size:           2
        .value_kind:     hidden_group_size_x
      - .offset:         870
        .size:           2
        .value_kind:     hidden_group_size_y
      - .offset:         872
        .size:           2
        .value_kind:     hidden_group_size_z
      - .offset:         874
        .size:           2
        .value_kind:     hidden_remainder_x
      - .offset:         876
        .size:           2
        .value_kind:     hidden_remainder_y
      - .offset:         878
        .size:           2
        .value_kind:     hidden_remainder_z
      - .offset:         896
        .size:           8
        .value_kind:     hidden_global_offset_x
      - .offset:         904
        .size:           8
        .value_kind:     hidden_global_offset_y
      - .offset:         912
        .size:           8
        .value_kind:     hidden_global_offset_z
      - .offset:         920
        .size:           2
        .value_kind:     hidden_grid_dims
    .group_segment_fixed_size: 0
    .kernarg_segment_align: 8
    .kernarg_segment_size: 1112
    .language:       OpenCL C
    .language_version:
      - 2
      - 0
    .max_flat_workgroup_size: 128
    .name:           _ZN2at6native16triu_tril_kernelIilLb0ELi2ELb1EEEvNS_4cuda6detail10TensorInfoIT_T0_EENS4_IKS5_S6_EEllS6_
    .private_segment_fixed_size: 0
    .sgpr_count:     79
    .sgpr_spill_count: 0
    .symbol:         _ZN2at6native16triu_tril_kernelIilLb0ELi2ELb1EEEvNS_4cuda6detail10TensorInfoIT_T0_EENS4_IKS5_S6_EEllS6_.kd
    .uniform_work_group_size: 1
    .uses_dynamic_stack: false
    .vgpr_count:     30
    .vgpr_spill_count: 0
    .wavefront_size: 64
  - .args:
      - .offset:         0
        .size:           416
        .value_kind:     by_value
      - .offset:         416
        .size:           416
        .value_kind:     by_value
      - .offset:         832
        .size:           8
        .value_kind:     by_value
      - .offset:         840
        .size:           8
        .value_kind:     by_value
      - .offset:         848
        .size:           8
        .value_kind:     by_value
      - .offset:         856
        .size:           4
        .value_kind:     hidden_block_count_x
      - .offset:         860
        .size:           4
        .value_kind:     hidden_block_count_y
      - .offset:         864
        .size:           4
        .value_kind:     hidden_block_count_z
      - .offset:         868
        .size:           2
        .value_kind:     hidden_group_size_x
      - .offset:         870
        .size:           2
        .value_kind:     hidden_group_size_y
      - .offset:         872
        .size:           2
        .value_kind:     hidden_group_size_z
      - .offset:         874
        .size:           2
        .value_kind:     hidden_remainder_x
      - .offset:         876
        .size:           2
        .value_kind:     hidden_remainder_y
      - .offset:         878
        .size:           2
        .value_kind:     hidden_remainder_z
      - .offset:         896
        .size:           8
        .value_kind:     hidden_global_offset_x
      - .offset:         904
        .size:           8
        .value_kind:     hidden_global_offset_y
      - .offset:         912
        .size:           8
        .value_kind:     hidden_global_offset_z
      - .offset:         920
        .size:           2
        .value_kind:     hidden_grid_dims
    .group_segment_fixed_size: 0
    .kernarg_segment_align: 8
    .kernarg_segment_size: 1112
    .language:       OpenCL C
    .language_version:
      - 2
      - 0
    .max_flat_workgroup_size: 128
    .name:           _ZN2at6native16triu_tril_kernelIilLb0ELi2ELb0EEEvNS_4cuda6detail10TensorInfoIT_T0_EENS4_IKS5_S6_EEllS6_
    .private_segment_fixed_size: 0
    .sgpr_count:     77
    .sgpr_spill_count: 0
    .symbol:         _ZN2at6native16triu_tril_kernelIilLb0ELi2ELb0EEEvNS_4cuda6detail10TensorInfoIT_T0_EENS4_IKS5_S6_EEllS6_.kd
    .uniform_work_group_size: 1
    .uses_dynamic_stack: false
    .vgpr_count:     26
    .vgpr_spill_count: 0
    .wavefront_size: 64
  - .args:
      - .offset:         0
        .size:           216
        .value_kind:     by_value
      - .offset:         216
        .size:           216
        .value_kind:     by_value
      - .offset:         432
        .size:           8
        .value_kind:     by_value
      - .offset:         440
        .size:           8
        .value_kind:     by_value
      - .offset:         448
        .size:           4
        .value_kind:     by_value
      - .offset:         456
        .size:           4
        .value_kind:     hidden_block_count_x
      - .offset:         460
        .size:           4
        .value_kind:     hidden_block_count_y
      - .offset:         464
        .size:           4
        .value_kind:     hidden_block_count_z
      - .offset:         468
        .size:           2
        .value_kind:     hidden_group_size_x
      - .offset:         470
        .size:           2
        .value_kind:     hidden_group_size_y
      - .offset:         472
        .size:           2
        .value_kind:     hidden_group_size_z
      - .offset:         474
        .size:           2
        .value_kind:     hidden_remainder_x
      - .offset:         476
        .size:           2
        .value_kind:     hidden_remainder_y
      - .offset:         478
        .size:           2
        .value_kind:     hidden_remainder_z
      - .offset:         496
        .size:           8
        .value_kind:     hidden_global_offset_x
      - .offset:         504
        .size:           8
        .value_kind:     hidden_global_offset_y
      - .offset:         512
        .size:           8
        .value_kind:     hidden_global_offset_z
      - .offset:         520
        .size:           2
        .value_kind:     hidden_grid_dims
    .group_segment_fixed_size: 0
    .kernarg_segment_align: 8
    .kernarg_segment_size: 712
    .language:       OpenCL C
    .language_version:
      - 2
      - 0
    .max_flat_workgroup_size: 128
    .name:           _ZN2at6native16triu_tril_kernelIliLb0ELi2ELb1EEEvNS_4cuda6detail10TensorInfoIT_T0_EENS4_IKS5_S6_EEllS6_
    .private_segment_fixed_size: 0
    .sgpr_count:     72
    .sgpr_spill_count: 0
    .symbol:         _ZN2at6native16triu_tril_kernelIliLb0ELi2ELb1EEEvNS_4cuda6detail10TensorInfoIT_T0_EENS4_IKS5_S6_EEllS6_.kd
    .uniform_work_group_size: 1
    .uses_dynamic_stack: false
    .vgpr_count:     30
    .vgpr_spill_count: 0
    .wavefront_size: 64
  - .args:
      - .offset:         0
        .size:           216
        .value_kind:     by_value
      - .offset:         216
        .size:           216
        .value_kind:     by_value
      - .offset:         432
        .size:           8
        .value_kind:     by_value
      - .offset:         440
        .size:           8
        .value_kind:     by_value
      - .offset:         448
        .size:           4
        .value_kind:     by_value
      - .offset:         456
        .size:           4
        .value_kind:     hidden_block_count_x
      - .offset:         460
        .size:           4
        .value_kind:     hidden_block_count_y
      - .offset:         464
        .size:           4
        .value_kind:     hidden_block_count_z
      - .offset:         468
        .size:           2
        .value_kind:     hidden_group_size_x
      - .offset:         470
        .size:           2
        .value_kind:     hidden_group_size_y
      - .offset:         472
        .size:           2
        .value_kind:     hidden_group_size_z
      - .offset:         474
        .size:           2
        .value_kind:     hidden_remainder_x
      - .offset:         476
        .size:           2
        .value_kind:     hidden_remainder_y
      - .offset:         478
        .size:           2
        .value_kind:     hidden_remainder_z
      - .offset:         496
        .size:           8
        .value_kind:     hidden_global_offset_x
      - .offset:         504
        .size:           8
        .value_kind:     hidden_global_offset_y
      - .offset:         512
        .size:           8
        .value_kind:     hidden_global_offset_z
      - .offset:         520
        .size:           2
        .value_kind:     hidden_grid_dims
    .group_segment_fixed_size: 0
    .kernarg_segment_align: 8
    .kernarg_segment_size: 712
    .language:       OpenCL C
    .language_version:
      - 2
      - 0
    .max_flat_workgroup_size: 128
    .name:           _ZN2at6native16triu_tril_kernelIliLb0ELi2ELb0EEEvNS_4cuda6detail10TensorInfoIT_T0_EENS4_IKS5_S6_EEllS6_
    .private_segment_fixed_size: 0
    .sgpr_count:     71
    .sgpr_spill_count: 0
    .symbol:         _ZN2at6native16triu_tril_kernelIliLb0ELi2ELb0EEEvNS_4cuda6detail10TensorInfoIT_T0_EENS4_IKS5_S6_EEllS6_.kd
    .uniform_work_group_size: 1
    .uses_dynamic_stack: false
    .vgpr_count:     22
    .vgpr_spill_count: 0
    .wavefront_size: 64
  - .args:
      - .offset:         0
        .size:           416
        .value_kind:     by_value
      - .offset:         416
        .size:           416
        .value_kind:     by_value
      - .offset:         832
        .size:           8
        .value_kind:     by_value
      - .offset:         840
        .size:           8
        .value_kind:     by_value
      - .offset:         848
        .size:           8
        .value_kind:     by_value
      - .offset:         856
        .size:           4
        .value_kind:     hidden_block_count_x
      - .offset:         860
        .size:           4
        .value_kind:     hidden_block_count_y
      - .offset:         864
        .size:           4
        .value_kind:     hidden_block_count_z
      - .offset:         868
        .size:           2
        .value_kind:     hidden_group_size_x
      - .offset:         870
        .size:           2
        .value_kind:     hidden_group_size_y
      - .offset:         872
        .size:           2
        .value_kind:     hidden_group_size_z
      - .offset:         874
        .size:           2
        .value_kind:     hidden_remainder_x
      - .offset:         876
        .size:           2
        .value_kind:     hidden_remainder_y
      - .offset:         878
        .size:           2
        .value_kind:     hidden_remainder_z
      - .offset:         896
        .size:           8
        .value_kind:     hidden_global_offset_x
      - .offset:         904
        .size:           8
        .value_kind:     hidden_global_offset_y
      - .offset:         912
        .size:           8
        .value_kind:     hidden_global_offset_z
      - .offset:         920
        .size:           2
        .value_kind:     hidden_grid_dims
    .group_segment_fixed_size: 0
    .kernarg_segment_align: 8
    .kernarg_segment_size: 1112
    .language:       OpenCL C
    .language_version:
      - 2
      - 0
    .max_flat_workgroup_size: 128
    .name:           _ZN2at6native16triu_tril_kernelIllLb0ELi2ELb1EEEvNS_4cuda6detail10TensorInfoIT_T0_EENS4_IKS5_S6_EEllS6_
    .private_segment_fixed_size: 0
    .sgpr_count:     79
    .sgpr_spill_count: 0
    .symbol:         _ZN2at6native16triu_tril_kernelIllLb0ELi2ELb1EEEvNS_4cuda6detail10TensorInfoIT_T0_EENS4_IKS5_S6_EEllS6_.kd
    .uniform_work_group_size: 1
    .uses_dynamic_stack: false
    .vgpr_count:     30
    .vgpr_spill_count: 0
    .wavefront_size: 64
  - .args:
      - .offset:         0
        .size:           416
        .value_kind:     by_value
      - .offset:         416
        .size:           416
        .value_kind:     by_value
      - .offset:         832
        .size:           8
        .value_kind:     by_value
      - .offset:         840
        .size:           8
        .value_kind:     by_value
      - .offset:         848
        .size:           8
        .value_kind:     by_value
      - .offset:         856
        .size:           4
        .value_kind:     hidden_block_count_x
      - .offset:         860
        .size:           4
        .value_kind:     hidden_block_count_y
      - .offset:         864
        .size:           4
        .value_kind:     hidden_block_count_z
      - .offset:         868
        .size:           2
        .value_kind:     hidden_group_size_x
      - .offset:         870
        .size:           2
        .value_kind:     hidden_group_size_y
      - .offset:         872
        .size:           2
        .value_kind:     hidden_group_size_z
      - .offset:         874
        .size:           2
        .value_kind:     hidden_remainder_x
      - .offset:         876
        .size:           2
        .value_kind:     hidden_remainder_y
      - .offset:         878
        .size:           2
        .value_kind:     hidden_remainder_z
      - .offset:         896
        .size:           8
        .value_kind:     hidden_global_offset_x
      - .offset:         904
        .size:           8
        .value_kind:     hidden_global_offset_y
      - .offset:         912
        .size:           8
        .value_kind:     hidden_global_offset_z
      - .offset:         920
        .size:           2
        .value_kind:     hidden_grid_dims
    .group_segment_fixed_size: 0
    .kernarg_segment_align: 8
    .kernarg_segment_size: 1112
    .language:       OpenCL C
    .language_version:
      - 2
      - 0
    .max_flat_workgroup_size: 128
    .name:           _ZN2at6native16triu_tril_kernelIllLb0ELi2ELb0EEEvNS_4cuda6detail10TensorInfoIT_T0_EENS4_IKS5_S6_EEllS6_
    .private_segment_fixed_size: 0
    .sgpr_count:     77
    .sgpr_spill_count: 0
    .symbol:         _ZN2at6native16triu_tril_kernelIllLb0ELi2ELb0EEEvNS_4cuda6detail10TensorInfoIT_T0_EENS4_IKS5_S6_EEllS6_.kd
    .uniform_work_group_size: 1
    .uses_dynamic_stack: false
    .vgpr_count:     26
    .vgpr_spill_count: 0
    .wavefront_size: 64
  - .args:
      - .offset:         0
        .size:           216
        .value_kind:     by_value
      - .offset:         216
        .size:           216
        .value_kind:     by_value
      - .offset:         432
        .size:           8
        .value_kind:     by_value
      - .offset:         440
        .size:           8
        .value_kind:     by_value
      - .offset:         448
        .size:           4
        .value_kind:     by_value
      - .offset:         456
        .size:           4
        .value_kind:     hidden_block_count_x
      - .offset:         460
        .size:           4
        .value_kind:     hidden_block_count_y
      - .offset:         464
        .size:           4
        .value_kind:     hidden_block_count_z
      - .offset:         468
        .size:           2
        .value_kind:     hidden_group_size_x
      - .offset:         470
        .size:           2
        .value_kind:     hidden_group_size_y
      - .offset:         472
        .size:           2
        .value_kind:     hidden_group_size_z
      - .offset:         474
        .size:           2
        .value_kind:     hidden_remainder_x
      - .offset:         476
        .size:           2
        .value_kind:     hidden_remainder_y
      - .offset:         478
        .size:           2
        .value_kind:     hidden_remainder_z
      - .offset:         496
        .size:           8
        .value_kind:     hidden_global_offset_x
      - .offset:         504
        .size:           8
        .value_kind:     hidden_global_offset_y
      - .offset:         512
        .size:           8
        .value_kind:     hidden_global_offset_z
      - .offset:         520
        .size:           2
        .value_kind:     hidden_grid_dims
    .group_segment_fixed_size: 0
    .kernarg_segment_align: 8
    .kernarg_segment_size: 712
    .language:       OpenCL C
    .language_version:
      - 2
      - 0
    .max_flat_workgroup_size: 128
    .name:           _ZN2at6native16triu_tril_kernelIsiLb0ELi4ELb1EEEvNS_4cuda6detail10TensorInfoIT_T0_EENS4_IKS5_S6_EEllS6_
    .private_segment_fixed_size: 0
    .sgpr_count:     72
    .sgpr_spill_count: 0
    .symbol:         _ZN2at6native16triu_tril_kernelIsiLb0ELi4ELb1EEEvNS_4cuda6detail10TensorInfoIT_T0_EENS4_IKS5_S6_EEllS6_.kd
    .uniform_work_group_size: 1
    .uses_dynamic_stack: false
    .vgpr_count:     29
    .vgpr_spill_count: 0
    .wavefront_size: 64
  - .args:
      - .offset:         0
        .size:           216
        .value_kind:     by_value
      - .offset:         216
        .size:           216
        .value_kind:     by_value
      - .offset:         432
        .size:           8
        .value_kind:     by_value
      - .offset:         440
        .size:           8
        .value_kind:     by_value
      - .offset:         448
        .size:           4
        .value_kind:     by_value
      - .offset:         456
        .size:           4
        .value_kind:     hidden_block_count_x
      - .offset:         460
        .size:           4
        .value_kind:     hidden_block_count_y
      - .offset:         464
        .size:           4
        .value_kind:     hidden_block_count_z
      - .offset:         468
        .size:           2
        .value_kind:     hidden_group_size_x
      - .offset:         470
        .size:           2
        .value_kind:     hidden_group_size_y
      - .offset:         472
        .size:           2
        .value_kind:     hidden_group_size_z
      - .offset:         474
        .size:           2
        .value_kind:     hidden_remainder_x
      - .offset:         476
        .size:           2
        .value_kind:     hidden_remainder_y
      - .offset:         478
        .size:           2
        .value_kind:     hidden_remainder_z
      - .offset:         496
        .size:           8
        .value_kind:     hidden_global_offset_x
      - .offset:         504
        .size:           8
        .value_kind:     hidden_global_offset_y
      - .offset:         512
        .size:           8
        .value_kind:     hidden_global_offset_z
      - .offset:         520
        .size:           2
        .value_kind:     hidden_grid_dims
    .group_segment_fixed_size: 0
    .kernarg_segment_align: 8
    .kernarg_segment_size: 712
    .language:       OpenCL C
    .language_version:
      - 2
      - 0
    .max_flat_workgroup_size: 128
    .name:           _ZN2at6native16triu_tril_kernelIsiLb0ELi4ELb0EEEvNS_4cuda6detail10TensorInfoIT_T0_EENS4_IKS5_S6_EEllS6_
    .private_segment_fixed_size: 0
    .sgpr_count:     82
    .sgpr_spill_count: 0
    .symbol:         _ZN2at6native16triu_tril_kernelIsiLb0ELi4ELb0EEEvNS_4cuda6detail10TensorInfoIT_T0_EENS4_IKS5_S6_EEllS6_.kd
    .uniform_work_group_size: 1
    .uses_dynamic_stack: false
    .vgpr_count:     22
    .vgpr_spill_count: 0
    .wavefront_size: 64
  - .args:
      - .offset:         0
        .size:           416
        .value_kind:     by_value
      - .offset:         416
        .size:           416
        .value_kind:     by_value
      - .offset:         832
        .size:           8
        .value_kind:     by_value
      - .offset:         840
        .size:           8
        .value_kind:     by_value
      - .offset:         848
        .size:           8
        .value_kind:     by_value
      - .offset:         856
        .size:           4
        .value_kind:     hidden_block_count_x
      - .offset:         860
        .size:           4
        .value_kind:     hidden_block_count_y
      - .offset:         864
        .size:           4
        .value_kind:     hidden_block_count_z
      - .offset:         868
        .size:           2
        .value_kind:     hidden_group_size_x
      - .offset:         870
        .size:           2
        .value_kind:     hidden_group_size_y
      - .offset:         872
        .size:           2
        .value_kind:     hidden_group_size_z
      - .offset:         874
        .size:           2
        .value_kind:     hidden_remainder_x
      - .offset:         876
        .size:           2
        .value_kind:     hidden_remainder_y
      - .offset:         878
        .size:           2
        .value_kind:     hidden_remainder_z
      - .offset:         896
        .size:           8
        .value_kind:     hidden_global_offset_x
      - .offset:         904
        .size:           8
        .value_kind:     hidden_global_offset_y
      - .offset:         912
        .size:           8
        .value_kind:     hidden_global_offset_z
      - .offset:         920
        .size:           2
        .value_kind:     hidden_grid_dims
    .group_segment_fixed_size: 0
    .kernarg_segment_align: 8
    .kernarg_segment_size: 1112
    .language:       OpenCL C
    .language_version:
      - 2
      - 0
    .max_flat_workgroup_size: 128
    .name:           _ZN2at6native16triu_tril_kernelIslLb0ELi4ELb1EEEvNS_4cuda6detail10TensorInfoIT_T0_EENS4_IKS5_S6_EEllS6_
    .private_segment_fixed_size: 0
    .sgpr_count:     79
    .sgpr_spill_count: 0
    .symbol:         _ZN2at6native16triu_tril_kernelIslLb0ELi4ELb1EEEvNS_4cuda6detail10TensorInfoIT_T0_EENS4_IKS5_S6_EEllS6_.kd
    .uniform_work_group_size: 1
    .uses_dynamic_stack: false
    .vgpr_count:     30
    .vgpr_spill_count: 0
    .wavefront_size: 64
  - .args:
      - .offset:         0
        .size:           416
        .value_kind:     by_value
      - .offset:         416
        .size:           416
        .value_kind:     by_value
      - .offset:         832
        .size:           8
        .value_kind:     by_value
      - .offset:         840
        .size:           8
        .value_kind:     by_value
      - .offset:         848
        .size:           8
        .value_kind:     by_value
      - .offset:         856
        .size:           4
        .value_kind:     hidden_block_count_x
      - .offset:         860
        .size:           4
        .value_kind:     hidden_block_count_y
      - .offset:         864
        .size:           4
        .value_kind:     hidden_block_count_z
      - .offset:         868
        .size:           2
        .value_kind:     hidden_group_size_x
      - .offset:         870
        .size:           2
        .value_kind:     hidden_group_size_y
      - .offset:         872
        .size:           2
        .value_kind:     hidden_group_size_z
      - .offset:         874
        .size:           2
        .value_kind:     hidden_remainder_x
      - .offset:         876
        .size:           2
        .value_kind:     hidden_remainder_y
      - .offset:         878
        .size:           2
        .value_kind:     hidden_remainder_z
      - .offset:         896
        .size:           8
        .value_kind:     hidden_global_offset_x
      - .offset:         904
        .size:           8
        .value_kind:     hidden_global_offset_y
      - .offset:         912
        .size:           8
        .value_kind:     hidden_global_offset_z
      - .offset:         920
        .size:           2
        .value_kind:     hidden_grid_dims
    .group_segment_fixed_size: 0
    .kernarg_segment_align: 8
    .kernarg_segment_size: 1112
    .language:       OpenCL C
    .language_version:
      - 2
      - 0
    .max_flat_workgroup_size: 128
    .name:           _ZN2at6native16triu_tril_kernelIslLb0ELi4ELb0EEEvNS_4cuda6detail10TensorInfoIT_T0_EENS4_IKS5_S6_EEllS6_
    .private_segment_fixed_size: 0
    .sgpr_count:     91
    .sgpr_spill_count: 0
    .symbol:         _ZN2at6native16triu_tril_kernelIslLb0ELi4ELb0EEEvNS_4cuda6detail10TensorInfoIT_T0_EENS4_IKS5_S6_EEllS6_.kd
    .uniform_work_group_size: 1
    .uses_dynamic_stack: false
    .vgpr_count:     26
    .vgpr_spill_count: 0
    .wavefront_size: 64
  - .args:
      - .offset:         0
        .size:           216
        .value_kind:     by_value
      - .offset:         216
        .size:           216
        .value_kind:     by_value
      - .offset:         432
        .size:           8
        .value_kind:     by_value
      - .offset:         440
        .size:           8
        .value_kind:     by_value
      - .offset:         448
        .size:           4
        .value_kind:     by_value
      - .offset:         456
        .size:           4
        .value_kind:     hidden_block_count_x
      - .offset:         460
        .size:           4
        .value_kind:     hidden_block_count_y
      - .offset:         464
        .size:           4
        .value_kind:     hidden_block_count_z
      - .offset:         468
        .size:           2
        .value_kind:     hidden_group_size_x
      - .offset:         470
        .size:           2
        .value_kind:     hidden_group_size_y
      - .offset:         472
        .size:           2
        .value_kind:     hidden_group_size_z
      - .offset:         474
        .size:           2
        .value_kind:     hidden_remainder_x
      - .offset:         476
        .size:           2
        .value_kind:     hidden_remainder_y
      - .offset:         478
        .size:           2
        .value_kind:     hidden_remainder_z
      - .offset:         496
        .size:           8
        .value_kind:     hidden_global_offset_x
      - .offset:         504
        .size:           8
        .value_kind:     hidden_global_offset_y
      - .offset:         512
        .size:           8
        .value_kind:     hidden_global_offset_z
      - .offset:         520
        .size:           2
        .value_kind:     hidden_grid_dims
    .group_segment_fixed_size: 0
    .kernarg_segment_align: 8
    .kernarg_segment_size: 712
    .language:       OpenCL C
    .language_version:
      - 2
      - 0
    .max_flat_workgroup_size: 128
    .name:           _ZN2at6native16triu_tril_kernelIdiLb0ELi2ELb1EEEvNS_4cuda6detail10TensorInfoIT_T0_EENS4_IKS5_S6_EEllS6_
    .private_segment_fixed_size: 0
    .sgpr_count:     72
    .sgpr_spill_count: 0
    .symbol:         _ZN2at6native16triu_tril_kernelIdiLb0ELi2ELb1EEEvNS_4cuda6detail10TensorInfoIT_T0_EENS4_IKS5_S6_EEllS6_.kd
    .uniform_work_group_size: 1
    .uses_dynamic_stack: false
    .vgpr_count:     30
    .vgpr_spill_count: 0
    .wavefront_size: 64
  - .args:
      - .offset:         0
        .size:           216
        .value_kind:     by_value
      - .offset:         216
        .size:           216
        .value_kind:     by_value
      - .offset:         432
        .size:           8
        .value_kind:     by_value
      - .offset:         440
        .size:           8
        .value_kind:     by_value
      - .offset:         448
        .size:           4
        .value_kind:     by_value
      - .offset:         456
        .size:           4
        .value_kind:     hidden_block_count_x
      - .offset:         460
        .size:           4
        .value_kind:     hidden_block_count_y
      - .offset:         464
        .size:           4
        .value_kind:     hidden_block_count_z
      - .offset:         468
        .size:           2
        .value_kind:     hidden_group_size_x
      - .offset:         470
        .size:           2
        .value_kind:     hidden_group_size_y
      - .offset:         472
        .size:           2
        .value_kind:     hidden_group_size_z
      - .offset:         474
        .size:           2
        .value_kind:     hidden_remainder_x
      - .offset:         476
        .size:           2
        .value_kind:     hidden_remainder_y
      - .offset:         478
        .size:           2
        .value_kind:     hidden_remainder_z
      - .offset:         496
        .size:           8
        .value_kind:     hidden_global_offset_x
      - .offset:         504
        .size:           8
        .value_kind:     hidden_global_offset_y
      - .offset:         512
        .size:           8
        .value_kind:     hidden_global_offset_z
      - .offset:         520
        .size:           2
        .value_kind:     hidden_grid_dims
    .group_segment_fixed_size: 0
    .kernarg_segment_align: 8
    .kernarg_segment_size: 712
    .language:       OpenCL C
    .language_version:
      - 2
      - 0
    .max_flat_workgroup_size: 128
    .name:           _ZN2at6native16triu_tril_kernelIdiLb0ELi2ELb0EEEvNS_4cuda6detail10TensorInfoIT_T0_EENS4_IKS5_S6_EEllS6_
    .private_segment_fixed_size: 0
    .sgpr_count:     71
    .sgpr_spill_count: 0
    .symbol:         _ZN2at6native16triu_tril_kernelIdiLb0ELi2ELb0EEEvNS_4cuda6detail10TensorInfoIT_T0_EENS4_IKS5_S6_EEllS6_.kd
    .uniform_work_group_size: 1
    .uses_dynamic_stack: false
    .vgpr_count:     22
    .vgpr_spill_count: 0
    .wavefront_size: 64
  - .args:
      - .offset:         0
        .size:           416
        .value_kind:     by_value
      - .offset:         416
        .size:           416
        .value_kind:     by_value
      - .offset:         832
        .size:           8
        .value_kind:     by_value
      - .offset:         840
        .size:           8
        .value_kind:     by_value
      - .offset:         848
        .size:           8
        .value_kind:     by_value
      - .offset:         856
        .size:           4
        .value_kind:     hidden_block_count_x
      - .offset:         860
        .size:           4
        .value_kind:     hidden_block_count_y
      - .offset:         864
        .size:           4
        .value_kind:     hidden_block_count_z
      - .offset:         868
        .size:           2
        .value_kind:     hidden_group_size_x
      - .offset:         870
        .size:           2
        .value_kind:     hidden_group_size_y
      - .offset:         872
        .size:           2
        .value_kind:     hidden_group_size_z
      - .offset:         874
        .size:           2
        .value_kind:     hidden_remainder_x
      - .offset:         876
        .size:           2
        .value_kind:     hidden_remainder_y
      - .offset:         878
        .size:           2
        .value_kind:     hidden_remainder_z
      - .offset:         896
        .size:           8
        .value_kind:     hidden_global_offset_x
      - .offset:         904
        .size:           8
        .value_kind:     hidden_global_offset_y
      - .offset:         912
        .size:           8
        .value_kind:     hidden_global_offset_z
      - .offset:         920
        .size:           2
        .value_kind:     hidden_grid_dims
    .group_segment_fixed_size: 0
    .kernarg_segment_align: 8
    .kernarg_segment_size: 1112
    .language:       OpenCL C
    .language_version:
      - 2
      - 0
    .max_flat_workgroup_size: 128
    .name:           _ZN2at6native16triu_tril_kernelIdlLb0ELi2ELb1EEEvNS_4cuda6detail10TensorInfoIT_T0_EENS4_IKS5_S6_EEllS6_
    .private_segment_fixed_size: 0
    .sgpr_count:     79
    .sgpr_spill_count: 0
    .symbol:         _ZN2at6native16triu_tril_kernelIdlLb0ELi2ELb1EEEvNS_4cuda6detail10TensorInfoIT_T0_EENS4_IKS5_S6_EEllS6_.kd
    .uniform_work_group_size: 1
    .uses_dynamic_stack: false
    .vgpr_count:     30
    .vgpr_spill_count: 0
    .wavefront_size: 64
  - .args:
      - .offset:         0
        .size:           416
        .value_kind:     by_value
      - .offset:         416
        .size:           416
        .value_kind:     by_value
      - .offset:         832
        .size:           8
        .value_kind:     by_value
      - .offset:         840
        .size:           8
        .value_kind:     by_value
      - .offset:         848
        .size:           8
        .value_kind:     by_value
      - .offset:         856
        .size:           4
        .value_kind:     hidden_block_count_x
      - .offset:         860
        .size:           4
        .value_kind:     hidden_block_count_y
      - .offset:         864
        .size:           4
        .value_kind:     hidden_block_count_z
      - .offset:         868
        .size:           2
        .value_kind:     hidden_group_size_x
      - .offset:         870
        .size:           2
        .value_kind:     hidden_group_size_y
      - .offset:         872
        .size:           2
        .value_kind:     hidden_group_size_z
      - .offset:         874
        .size:           2
        .value_kind:     hidden_remainder_x
      - .offset:         876
        .size:           2
        .value_kind:     hidden_remainder_y
      - .offset:         878
        .size:           2
        .value_kind:     hidden_remainder_z
      - .offset:         896
        .size:           8
        .value_kind:     hidden_global_offset_x
      - .offset:         904
        .size:           8
        .value_kind:     hidden_global_offset_y
      - .offset:         912
        .size:           8
        .value_kind:     hidden_global_offset_z
      - .offset:         920
        .size:           2
        .value_kind:     hidden_grid_dims
    .group_segment_fixed_size: 0
    .kernarg_segment_align: 8
    .kernarg_segment_size: 1112
    .language:       OpenCL C
    .language_version:
      - 2
      - 0
    .max_flat_workgroup_size: 128
    .name:           _ZN2at6native16triu_tril_kernelIdlLb0ELi2ELb0EEEvNS_4cuda6detail10TensorInfoIT_T0_EENS4_IKS5_S6_EEllS6_
    .private_segment_fixed_size: 0
    .sgpr_count:     77
    .sgpr_spill_count: 0
    .symbol:         _ZN2at6native16triu_tril_kernelIdlLb0ELi2ELb0EEEvNS_4cuda6detail10TensorInfoIT_T0_EENS4_IKS5_S6_EEllS6_.kd
    .uniform_work_group_size: 1
    .uses_dynamic_stack: false
    .vgpr_count:     26
    .vgpr_spill_count: 0
    .wavefront_size: 64
  - .args:
      - .offset:         0
        .size:           216
        .value_kind:     by_value
      - .offset:         216
        .size:           216
        .value_kind:     by_value
      - .offset:         432
        .size:           8
        .value_kind:     by_value
      - .offset:         440
        .size:           8
        .value_kind:     by_value
      - .offset:         448
        .size:           4
        .value_kind:     by_value
      - .offset:         456
        .size:           4
        .value_kind:     hidden_block_count_x
      - .offset:         460
        .size:           4
        .value_kind:     hidden_block_count_y
      - .offset:         464
        .size:           4
        .value_kind:     hidden_block_count_z
      - .offset:         468
        .size:           2
        .value_kind:     hidden_group_size_x
      - .offset:         470
        .size:           2
        .value_kind:     hidden_group_size_y
      - .offset:         472
        .size:           2
        .value_kind:     hidden_group_size_z
      - .offset:         474
        .size:           2
        .value_kind:     hidden_remainder_x
      - .offset:         476
        .size:           2
        .value_kind:     hidden_remainder_y
      - .offset:         478
        .size:           2
        .value_kind:     hidden_remainder_z
      - .offset:         496
        .size:           8
        .value_kind:     hidden_global_offset_x
      - .offset:         504
        .size:           8
        .value_kind:     hidden_global_offset_y
      - .offset:         512
        .size:           8
        .value_kind:     hidden_global_offset_z
      - .offset:         520
        .size:           2
        .value_kind:     hidden_grid_dims
    .group_segment_fixed_size: 0
    .kernarg_segment_align: 8
    .kernarg_segment_size: 712
    .language:       OpenCL C
    .language_version:
      - 2
      - 0
    .max_flat_workgroup_size: 128
    .name:           _ZN2at6native16triu_tril_kernelIfiLb0ELi2ELb1EEEvNS_4cuda6detail10TensorInfoIT_T0_EENS4_IKS5_S6_EEllS6_
    .private_segment_fixed_size: 0
    .sgpr_count:     72
    .sgpr_spill_count: 0
    .symbol:         _ZN2at6native16triu_tril_kernelIfiLb0ELi2ELb1EEEvNS_4cuda6detail10TensorInfoIT_T0_EENS4_IKS5_S6_EEllS6_.kd
    .uniform_work_group_size: 1
    .uses_dynamic_stack: false
    .vgpr_count:     30
    .vgpr_spill_count: 0
    .wavefront_size: 64
  - .args:
      - .offset:         0
        .size:           216
        .value_kind:     by_value
      - .offset:         216
        .size:           216
        .value_kind:     by_value
      - .offset:         432
        .size:           8
        .value_kind:     by_value
      - .offset:         440
        .size:           8
        .value_kind:     by_value
      - .offset:         448
        .size:           4
        .value_kind:     by_value
      - .offset:         456
        .size:           4
        .value_kind:     hidden_block_count_x
      - .offset:         460
        .size:           4
        .value_kind:     hidden_block_count_y
      - .offset:         464
        .size:           4
        .value_kind:     hidden_block_count_z
      - .offset:         468
        .size:           2
        .value_kind:     hidden_group_size_x
      - .offset:         470
        .size:           2
        .value_kind:     hidden_group_size_y
      - .offset:         472
        .size:           2
        .value_kind:     hidden_group_size_z
      - .offset:         474
        .size:           2
        .value_kind:     hidden_remainder_x
      - .offset:         476
        .size:           2
        .value_kind:     hidden_remainder_y
      - .offset:         478
        .size:           2
        .value_kind:     hidden_remainder_z
      - .offset:         496
        .size:           8
        .value_kind:     hidden_global_offset_x
      - .offset:         504
        .size:           8
        .value_kind:     hidden_global_offset_y
      - .offset:         512
        .size:           8
        .value_kind:     hidden_global_offset_z
      - .offset:         520
        .size:           2
        .value_kind:     hidden_grid_dims
    .group_segment_fixed_size: 0
    .kernarg_segment_align: 8
    .kernarg_segment_size: 712
    .language:       OpenCL C
    .language_version:
      - 2
      - 0
    .max_flat_workgroup_size: 128
    .name:           _ZN2at6native16triu_tril_kernelIfiLb0ELi2ELb0EEEvNS_4cuda6detail10TensorInfoIT_T0_EENS4_IKS5_S6_EEllS6_
    .private_segment_fixed_size: 0
    .sgpr_count:     71
    .sgpr_spill_count: 0
    .symbol:         _ZN2at6native16triu_tril_kernelIfiLb0ELi2ELb0EEEvNS_4cuda6detail10TensorInfoIT_T0_EENS4_IKS5_S6_EEllS6_.kd
    .uniform_work_group_size: 1
    .uses_dynamic_stack: false
    .vgpr_count:     22
    .vgpr_spill_count: 0
    .wavefront_size: 64
  - .args:
      - .offset:         0
        .size:           416
        .value_kind:     by_value
      - .offset:         416
        .size:           416
        .value_kind:     by_value
      - .offset:         832
        .size:           8
        .value_kind:     by_value
      - .offset:         840
        .size:           8
        .value_kind:     by_value
      - .offset:         848
        .size:           8
        .value_kind:     by_value
      - .offset:         856
        .size:           4
        .value_kind:     hidden_block_count_x
      - .offset:         860
        .size:           4
        .value_kind:     hidden_block_count_y
      - .offset:         864
        .size:           4
        .value_kind:     hidden_block_count_z
      - .offset:         868
        .size:           2
        .value_kind:     hidden_group_size_x
      - .offset:         870
        .size:           2
        .value_kind:     hidden_group_size_y
      - .offset:         872
        .size:           2
        .value_kind:     hidden_group_size_z
      - .offset:         874
        .size:           2
        .value_kind:     hidden_remainder_x
      - .offset:         876
        .size:           2
        .value_kind:     hidden_remainder_y
      - .offset:         878
        .size:           2
        .value_kind:     hidden_remainder_z
      - .offset:         896
        .size:           8
        .value_kind:     hidden_global_offset_x
      - .offset:         904
        .size:           8
        .value_kind:     hidden_global_offset_y
      - .offset:         912
        .size:           8
        .value_kind:     hidden_global_offset_z
      - .offset:         920
        .size:           2
        .value_kind:     hidden_grid_dims
    .group_segment_fixed_size: 0
    .kernarg_segment_align: 8
    .kernarg_segment_size: 1112
    .language:       OpenCL C
    .language_version:
      - 2
      - 0
    .max_flat_workgroup_size: 128
    .name:           _ZN2at6native16triu_tril_kernelIflLb0ELi2ELb1EEEvNS_4cuda6detail10TensorInfoIT_T0_EENS4_IKS5_S6_EEllS6_
    .private_segment_fixed_size: 0
    .sgpr_count:     79
    .sgpr_spill_count: 0
    .symbol:         _ZN2at6native16triu_tril_kernelIflLb0ELi2ELb1EEEvNS_4cuda6detail10TensorInfoIT_T0_EENS4_IKS5_S6_EEllS6_.kd
    .uniform_work_group_size: 1
    .uses_dynamic_stack: false
    .vgpr_count:     30
    .vgpr_spill_count: 0
    .wavefront_size: 64
  - .args:
      - .offset:         0
        .size:           416
        .value_kind:     by_value
      - .offset:         416
        .size:           416
        .value_kind:     by_value
      - .offset:         832
        .size:           8
        .value_kind:     by_value
      - .offset:         840
        .size:           8
        .value_kind:     by_value
      - .offset:         848
        .size:           8
        .value_kind:     by_value
      - .offset:         856
        .size:           4
        .value_kind:     hidden_block_count_x
      - .offset:         860
        .size:           4
        .value_kind:     hidden_block_count_y
      - .offset:         864
        .size:           4
        .value_kind:     hidden_block_count_z
      - .offset:         868
        .size:           2
        .value_kind:     hidden_group_size_x
      - .offset:         870
        .size:           2
        .value_kind:     hidden_group_size_y
      - .offset:         872
        .size:           2
        .value_kind:     hidden_group_size_z
      - .offset:         874
        .size:           2
        .value_kind:     hidden_remainder_x
      - .offset:         876
        .size:           2
        .value_kind:     hidden_remainder_y
      - .offset:         878
        .size:           2
        .value_kind:     hidden_remainder_z
      - .offset:         896
        .size:           8
        .value_kind:     hidden_global_offset_x
      - .offset:         904
        .size:           8
        .value_kind:     hidden_global_offset_y
      - .offset:         912
        .size:           8
        .value_kind:     hidden_global_offset_z
      - .offset:         920
        .size:           2
        .value_kind:     hidden_grid_dims
    .group_segment_fixed_size: 0
    .kernarg_segment_align: 8
    .kernarg_segment_size: 1112
    .language:       OpenCL C
    .language_version:
      - 2
      - 0
    .max_flat_workgroup_size: 128
    .name:           _ZN2at6native16triu_tril_kernelIflLb0ELi2ELb0EEEvNS_4cuda6detail10TensorInfoIT_T0_EENS4_IKS5_S6_EEllS6_
    .private_segment_fixed_size: 0
    .sgpr_count:     77
    .sgpr_spill_count: 0
    .symbol:         _ZN2at6native16triu_tril_kernelIflLb0ELi2ELb0EEEvNS_4cuda6detail10TensorInfoIT_T0_EENS4_IKS5_S6_EEllS6_.kd
    .uniform_work_group_size: 1
    .uses_dynamic_stack: false
    .vgpr_count:     26
    .vgpr_spill_count: 0
    .wavefront_size: 64
  - .args:
      - .offset:         0
        .size:           216
        .value_kind:     by_value
      - .offset:         216
        .size:           216
        .value_kind:     by_value
      - .offset:         432
        .size:           8
        .value_kind:     by_value
      - .offset:         440
        .size:           8
        .value_kind:     by_value
      - .offset:         448
        .size:           4
        .value_kind:     by_value
      - .offset:         456
        .size:           4
        .value_kind:     hidden_block_count_x
      - .offset:         460
        .size:           4
        .value_kind:     hidden_block_count_y
      - .offset:         464
        .size:           4
        .value_kind:     hidden_block_count_z
      - .offset:         468
        .size:           2
        .value_kind:     hidden_group_size_x
      - .offset:         470
        .size:           2
        .value_kind:     hidden_group_size_y
      - .offset:         472
        .size:           2
        .value_kind:     hidden_group_size_z
      - .offset:         474
        .size:           2
        .value_kind:     hidden_remainder_x
      - .offset:         476
        .size:           2
        .value_kind:     hidden_remainder_y
      - .offset:         478
        .size:           2
        .value_kind:     hidden_remainder_z
      - .offset:         496
        .size:           8
        .value_kind:     hidden_global_offset_x
      - .offset:         504
        .size:           8
        .value_kind:     hidden_global_offset_y
      - .offset:         512
        .size:           8
        .value_kind:     hidden_global_offset_z
      - .offset:         520
        .size:           2
        .value_kind:     hidden_grid_dims
    .group_segment_fixed_size: 0
    .kernarg_segment_align: 8
    .kernarg_segment_size: 712
    .language:       OpenCL C
    .language_version:
      - 2
      - 0
    .max_flat_workgroup_size: 128
    .name:           _ZN2at6native16triu_tril_kernelIN3c107complexIdEEiLb0ELi1ELb1EEEvNS_4cuda6detail10TensorInfoIT_T0_EENS7_IKS8_S9_EEllS9_
    .private_segment_fixed_size: 0
    .sgpr_count:     71
    .sgpr_spill_count: 0
    .symbol:         _ZN2at6native16triu_tril_kernelIN3c107complexIdEEiLb0ELi1ELb1EEEvNS_4cuda6detail10TensorInfoIT_T0_EENS7_IKS8_S9_EEllS9_.kd
    .uniform_work_group_size: 1
    .uses_dynamic_stack: false
    .vgpr_count:     29
    .vgpr_spill_count: 0
    .wavefront_size: 64
  - .args:
      - .offset:         0
        .size:           216
        .value_kind:     by_value
      - .offset:         216
        .size:           216
        .value_kind:     by_value
      - .offset:         432
        .size:           8
        .value_kind:     by_value
      - .offset:         440
        .size:           8
        .value_kind:     by_value
      - .offset:         448
        .size:           4
        .value_kind:     by_value
      - .offset:         456
        .size:           4
        .value_kind:     hidden_block_count_x
      - .offset:         460
        .size:           4
        .value_kind:     hidden_block_count_y
      - .offset:         464
        .size:           4
        .value_kind:     hidden_block_count_z
      - .offset:         468
        .size:           2
        .value_kind:     hidden_group_size_x
      - .offset:         470
        .size:           2
        .value_kind:     hidden_group_size_y
      - .offset:         472
        .size:           2
        .value_kind:     hidden_group_size_z
      - .offset:         474
        .size:           2
        .value_kind:     hidden_remainder_x
      - .offset:         476
        .size:           2
        .value_kind:     hidden_remainder_y
      - .offset:         478
        .size:           2
        .value_kind:     hidden_remainder_z
      - .offset:         496
        .size:           8
        .value_kind:     hidden_global_offset_x
      - .offset:         504
        .size:           8
        .value_kind:     hidden_global_offset_y
      - .offset:         512
        .size:           8
        .value_kind:     hidden_global_offset_z
      - .offset:         520
        .size:           2
        .value_kind:     hidden_grid_dims
    .group_segment_fixed_size: 0
    .kernarg_segment_align: 8
    .kernarg_segment_size: 712
    .language:       OpenCL C
    .language_version:
      - 2
      - 0
    .max_flat_workgroup_size: 128
    .name:           _ZN2at6native16triu_tril_kernelIN3c107complexIdEEiLb0ELi1ELb0EEEvNS_4cuda6detail10TensorInfoIT_T0_EENS7_IKS8_S9_EEllS9_
    .private_segment_fixed_size: 0
    .sgpr_count:     69
    .sgpr_spill_count: 0
    .symbol:         _ZN2at6native16triu_tril_kernelIN3c107complexIdEEiLb0ELi1ELb0EEEvNS_4cuda6detail10TensorInfoIT_T0_EENS7_IKS8_S9_EEllS9_.kd
    .uniform_work_group_size: 1
    .uses_dynamic_stack: false
    .vgpr_count:     22
    .vgpr_spill_count: 0
    .wavefront_size: 64
  - .args:
      - .offset:         0
        .size:           416
        .value_kind:     by_value
      - .offset:         416
        .size:           416
        .value_kind:     by_value
      - .offset:         832
        .size:           8
        .value_kind:     by_value
      - .offset:         840
        .size:           8
        .value_kind:     by_value
      - .offset:         848
        .size:           8
        .value_kind:     by_value
      - .offset:         856
        .size:           4
        .value_kind:     hidden_block_count_x
      - .offset:         860
        .size:           4
        .value_kind:     hidden_block_count_y
      - .offset:         864
        .size:           4
        .value_kind:     hidden_block_count_z
      - .offset:         868
        .size:           2
        .value_kind:     hidden_group_size_x
      - .offset:         870
        .size:           2
        .value_kind:     hidden_group_size_y
      - .offset:         872
        .size:           2
        .value_kind:     hidden_group_size_z
      - .offset:         874
        .size:           2
        .value_kind:     hidden_remainder_x
      - .offset:         876
        .size:           2
        .value_kind:     hidden_remainder_y
      - .offset:         878
        .size:           2
        .value_kind:     hidden_remainder_z
      - .offset:         896
        .size:           8
        .value_kind:     hidden_global_offset_x
      - .offset:         904
        .size:           8
        .value_kind:     hidden_global_offset_y
      - .offset:         912
        .size:           8
        .value_kind:     hidden_global_offset_z
      - .offset:         920
        .size:           2
        .value_kind:     hidden_grid_dims
    .group_segment_fixed_size: 0
    .kernarg_segment_align: 8
    .kernarg_segment_size: 1112
    .language:       OpenCL C
    .language_version:
      - 2
      - 0
    .max_flat_workgroup_size: 128
    .name:           _ZN2at6native16triu_tril_kernelIN3c107complexIdEElLb0ELi1ELb1EEEvNS_4cuda6detail10TensorInfoIT_T0_EENS7_IKS8_S9_EEllS9_
    .private_segment_fixed_size: 0
    .sgpr_count:     77
    .sgpr_spill_count: 0
    .symbol:         _ZN2at6native16triu_tril_kernelIN3c107complexIdEElLb0ELi1ELb1EEEvNS_4cuda6detail10TensorInfoIT_T0_EENS7_IKS8_S9_EEllS9_.kd
    .uniform_work_group_size: 1
    .uses_dynamic_stack: false
    .vgpr_count:     28
    .vgpr_spill_count: 0
    .wavefront_size: 64
  - .args:
      - .offset:         0
        .size:           416
        .value_kind:     by_value
      - .offset:         416
        .size:           416
        .value_kind:     by_value
      - .offset:         832
        .size:           8
        .value_kind:     by_value
      - .offset:         840
        .size:           8
        .value_kind:     by_value
      - .offset:         848
        .size:           8
        .value_kind:     by_value
      - .offset:         856
        .size:           4
        .value_kind:     hidden_block_count_x
      - .offset:         860
        .size:           4
        .value_kind:     hidden_block_count_y
      - .offset:         864
        .size:           4
        .value_kind:     hidden_block_count_z
      - .offset:         868
        .size:           2
        .value_kind:     hidden_group_size_x
      - .offset:         870
        .size:           2
        .value_kind:     hidden_group_size_y
      - .offset:         872
        .size:           2
        .value_kind:     hidden_group_size_z
      - .offset:         874
        .size:           2
        .value_kind:     hidden_remainder_x
      - .offset:         876
        .size:           2
        .value_kind:     hidden_remainder_y
      - .offset:         878
        .size:           2
        .value_kind:     hidden_remainder_z
      - .offset:         896
        .size:           8
        .value_kind:     hidden_global_offset_x
      - .offset:         904
        .size:           8
        .value_kind:     hidden_global_offset_y
      - .offset:         912
        .size:           8
        .value_kind:     hidden_global_offset_z
      - .offset:         920
        .size:           2
        .value_kind:     hidden_grid_dims
    .group_segment_fixed_size: 0
    .kernarg_segment_align: 8
    .kernarg_segment_size: 1112
    .language:       OpenCL C
    .language_version:
      - 2
      - 0
    .max_flat_workgroup_size: 128
    .name:           _ZN2at6native16triu_tril_kernelIN3c107complexIdEElLb0ELi1ELb0EEEvNS_4cuda6detail10TensorInfoIT_T0_EENS7_IKS8_S9_EEllS9_
    .private_segment_fixed_size: 0
    .sgpr_count:     77
    .sgpr_spill_count: 0
    .symbol:         _ZN2at6native16triu_tril_kernelIN3c107complexIdEElLb0ELi1ELb0EEEvNS_4cuda6detail10TensorInfoIT_T0_EENS7_IKS8_S9_EEllS9_.kd
    .uniform_work_group_size: 1
    .uses_dynamic_stack: false
    .vgpr_count:     26
    .vgpr_spill_count: 0
    .wavefront_size: 64
  - .args:
      - .offset:         0
        .size:           216
        .value_kind:     by_value
      - .offset:         216
        .size:           216
        .value_kind:     by_value
      - .offset:         432
        .size:           8
        .value_kind:     by_value
      - .offset:         440
        .size:           8
        .value_kind:     by_value
      - .offset:         448
        .size:           4
        .value_kind:     by_value
      - .offset:         456
        .size:           4
        .value_kind:     hidden_block_count_x
      - .offset:         460
        .size:           4
        .value_kind:     hidden_block_count_y
      - .offset:         464
        .size:           4
        .value_kind:     hidden_block_count_z
      - .offset:         468
        .size:           2
        .value_kind:     hidden_group_size_x
      - .offset:         470
        .size:           2
        .value_kind:     hidden_group_size_y
      - .offset:         472
        .size:           2
        .value_kind:     hidden_group_size_z
      - .offset:         474
        .size:           2
        .value_kind:     hidden_remainder_x
      - .offset:         476
        .size:           2
        .value_kind:     hidden_remainder_y
      - .offset:         478
        .size:           2
        .value_kind:     hidden_remainder_z
      - .offset:         496
        .size:           8
        .value_kind:     hidden_global_offset_x
      - .offset:         504
        .size:           8
        .value_kind:     hidden_global_offset_y
      - .offset:         512
        .size:           8
        .value_kind:     hidden_global_offset_z
      - .offset:         520
        .size:           2
        .value_kind:     hidden_grid_dims
    .group_segment_fixed_size: 0
    .kernarg_segment_align: 8
    .kernarg_segment_size: 712
    .language:       OpenCL C
    .language_version:
      - 2
      - 0
    .max_flat_workgroup_size: 128
    .name:           _ZN2at6native16triu_tril_kernelIN3c107complexIfEEiLb0ELi2ELb1EEEvNS_4cuda6detail10TensorInfoIT_T0_EENS7_IKS8_S9_EEllS9_
    .private_segment_fixed_size: 0
    .sgpr_count:     72
    .sgpr_spill_count: 0
    .symbol:         _ZN2at6native16triu_tril_kernelIN3c107complexIfEEiLb0ELi2ELb1EEEvNS_4cuda6detail10TensorInfoIT_T0_EENS7_IKS8_S9_EEllS9_.kd
    .uniform_work_group_size: 1
    .uses_dynamic_stack: false
    .vgpr_count:     30
    .vgpr_spill_count: 0
    .wavefront_size: 64
  - .args:
      - .offset:         0
        .size:           216
        .value_kind:     by_value
      - .offset:         216
        .size:           216
        .value_kind:     by_value
      - .offset:         432
        .size:           8
        .value_kind:     by_value
      - .offset:         440
        .size:           8
        .value_kind:     by_value
      - .offset:         448
        .size:           4
        .value_kind:     by_value
      - .offset:         456
        .size:           4
        .value_kind:     hidden_block_count_x
      - .offset:         460
        .size:           4
        .value_kind:     hidden_block_count_y
      - .offset:         464
        .size:           4
        .value_kind:     hidden_block_count_z
      - .offset:         468
        .size:           2
        .value_kind:     hidden_group_size_x
      - .offset:         470
        .size:           2
        .value_kind:     hidden_group_size_y
      - .offset:         472
        .size:           2
        .value_kind:     hidden_group_size_z
      - .offset:         474
        .size:           2
        .value_kind:     hidden_remainder_x
      - .offset:         476
        .size:           2
        .value_kind:     hidden_remainder_y
      - .offset:         478
        .size:           2
        .value_kind:     hidden_remainder_z
      - .offset:         496
        .size:           8
        .value_kind:     hidden_global_offset_x
      - .offset:         504
        .size:           8
        .value_kind:     hidden_global_offset_y
      - .offset:         512
        .size:           8
        .value_kind:     hidden_global_offset_z
      - .offset:         520
        .size:           2
        .value_kind:     hidden_grid_dims
    .group_segment_fixed_size: 0
    .kernarg_segment_align: 8
    .kernarg_segment_size: 712
    .language:       OpenCL C
    .language_version:
      - 2
      - 0
    .max_flat_workgroup_size: 128
    .name:           _ZN2at6native16triu_tril_kernelIN3c107complexIfEEiLb0ELi2ELb0EEEvNS_4cuda6detail10TensorInfoIT_T0_EENS7_IKS8_S9_EEllS9_
    .private_segment_fixed_size: 0
    .sgpr_count:     71
    .sgpr_spill_count: 0
    .symbol:         _ZN2at6native16triu_tril_kernelIN3c107complexIfEEiLb0ELi2ELb0EEEvNS_4cuda6detail10TensorInfoIT_T0_EENS7_IKS8_S9_EEllS9_.kd
    .uniform_work_group_size: 1
    .uses_dynamic_stack: false
    .vgpr_count:     22
    .vgpr_spill_count: 0
    .wavefront_size: 64
  - .args:
      - .offset:         0
        .size:           416
        .value_kind:     by_value
      - .offset:         416
        .size:           416
        .value_kind:     by_value
      - .offset:         832
        .size:           8
        .value_kind:     by_value
      - .offset:         840
        .size:           8
        .value_kind:     by_value
      - .offset:         848
        .size:           8
        .value_kind:     by_value
      - .offset:         856
        .size:           4
        .value_kind:     hidden_block_count_x
      - .offset:         860
        .size:           4
        .value_kind:     hidden_block_count_y
      - .offset:         864
        .size:           4
        .value_kind:     hidden_block_count_z
      - .offset:         868
        .size:           2
        .value_kind:     hidden_group_size_x
      - .offset:         870
        .size:           2
        .value_kind:     hidden_group_size_y
      - .offset:         872
        .size:           2
        .value_kind:     hidden_group_size_z
      - .offset:         874
        .size:           2
        .value_kind:     hidden_remainder_x
      - .offset:         876
        .size:           2
        .value_kind:     hidden_remainder_y
      - .offset:         878
        .size:           2
        .value_kind:     hidden_remainder_z
      - .offset:         896
        .size:           8
        .value_kind:     hidden_global_offset_x
      - .offset:         904
        .size:           8
        .value_kind:     hidden_global_offset_y
      - .offset:         912
        .size:           8
        .value_kind:     hidden_global_offset_z
      - .offset:         920
        .size:           2
        .value_kind:     hidden_grid_dims
    .group_segment_fixed_size: 0
    .kernarg_segment_align: 8
    .kernarg_segment_size: 1112
    .language:       OpenCL C
    .language_version:
      - 2
      - 0
    .max_flat_workgroup_size: 128
    .name:           _ZN2at6native16triu_tril_kernelIN3c107complexIfEElLb0ELi2ELb1EEEvNS_4cuda6detail10TensorInfoIT_T0_EENS7_IKS8_S9_EEllS9_
    .private_segment_fixed_size: 0
    .sgpr_count:     79
    .sgpr_spill_count: 0
    .symbol:         _ZN2at6native16triu_tril_kernelIN3c107complexIfEElLb0ELi2ELb1EEEvNS_4cuda6detail10TensorInfoIT_T0_EENS7_IKS8_S9_EEllS9_.kd
    .uniform_work_group_size: 1
    .uses_dynamic_stack: false
    .vgpr_count:     30
    .vgpr_spill_count: 0
    .wavefront_size: 64
  - .args:
      - .offset:         0
        .size:           416
        .value_kind:     by_value
      - .offset:         416
        .size:           416
        .value_kind:     by_value
      - .offset:         832
        .size:           8
        .value_kind:     by_value
      - .offset:         840
        .size:           8
        .value_kind:     by_value
      - .offset:         848
        .size:           8
        .value_kind:     by_value
      - .offset:         856
        .size:           4
        .value_kind:     hidden_block_count_x
      - .offset:         860
        .size:           4
        .value_kind:     hidden_block_count_y
      - .offset:         864
        .size:           4
        .value_kind:     hidden_block_count_z
      - .offset:         868
        .size:           2
        .value_kind:     hidden_group_size_x
      - .offset:         870
        .size:           2
        .value_kind:     hidden_group_size_y
      - .offset:         872
        .size:           2
        .value_kind:     hidden_group_size_z
      - .offset:         874
        .size:           2
        .value_kind:     hidden_remainder_x
      - .offset:         876
        .size:           2
        .value_kind:     hidden_remainder_y
      - .offset:         878
        .size:           2
        .value_kind:     hidden_remainder_z
      - .offset:         896
        .size:           8
        .value_kind:     hidden_global_offset_x
      - .offset:         904
        .size:           8
        .value_kind:     hidden_global_offset_y
      - .offset:         912
        .size:           8
        .value_kind:     hidden_global_offset_z
      - .offset:         920
        .size:           2
        .value_kind:     hidden_grid_dims
    .group_segment_fixed_size: 0
    .kernarg_segment_align: 8
    .kernarg_segment_size: 1112
    .language:       OpenCL C
    .language_version:
      - 2
      - 0
    .max_flat_workgroup_size: 128
    .name:           _ZN2at6native16triu_tril_kernelIN3c107complexIfEElLb0ELi2ELb0EEEvNS_4cuda6detail10TensorInfoIT_T0_EENS7_IKS8_S9_EEllS9_
    .private_segment_fixed_size: 0
    .sgpr_count:     77
    .sgpr_spill_count: 0
    .symbol:         _ZN2at6native16triu_tril_kernelIN3c107complexIfEElLb0ELi2ELb0EEEvNS_4cuda6detail10TensorInfoIT_T0_EENS7_IKS8_S9_EEllS9_.kd
    .uniform_work_group_size: 1
    .uses_dynamic_stack: false
    .vgpr_count:     26
    .vgpr_spill_count: 0
    .wavefront_size: 64
  - .args:
      - .offset:         0
        .size:           216
        .value_kind:     by_value
      - .offset:         216
        .size:           216
        .value_kind:     by_value
      - .offset:         432
        .size:           8
        .value_kind:     by_value
      - .offset:         440
        .size:           8
        .value_kind:     by_value
      - .offset:         448
        .size:           4
        .value_kind:     by_value
      - .offset:         456
        .size:           4
        .value_kind:     hidden_block_count_x
      - .offset:         460
        .size:           4
        .value_kind:     hidden_block_count_y
      - .offset:         464
        .size:           4
        .value_kind:     hidden_block_count_z
      - .offset:         468
        .size:           2
        .value_kind:     hidden_group_size_x
      - .offset:         470
        .size:           2
        .value_kind:     hidden_group_size_y
      - .offset:         472
        .size:           2
        .value_kind:     hidden_group_size_z
      - .offset:         474
        .size:           2
        .value_kind:     hidden_remainder_x
      - .offset:         476
        .size:           2
        .value_kind:     hidden_remainder_y
      - .offset:         478
        .size:           2
        .value_kind:     hidden_remainder_z
      - .offset:         496
        .size:           8
        .value_kind:     hidden_global_offset_x
      - .offset:         504
        .size:           8
        .value_kind:     hidden_global_offset_y
      - .offset:         512
        .size:           8
        .value_kind:     hidden_global_offset_z
      - .offset:         520
        .size:           2
        .value_kind:     hidden_grid_dims
    .group_segment_fixed_size: 0
    .kernarg_segment_align: 8
    .kernarg_segment_size: 712
    .language:       OpenCL C
    .language_version:
      - 2
      - 0
    .max_flat_workgroup_size: 128
    .name:           _ZN2at6native16triu_tril_kernelIN3c107complexINS2_4HalfEEEiLb0ELi2ELb1EEEvNS_4cuda6detail10TensorInfoIT_T0_EENS8_IKS9_SA_EEllSA_
    .private_segment_fixed_size: 0
    .sgpr_count:     72
    .sgpr_spill_count: 0
    .symbol:         _ZN2at6native16triu_tril_kernelIN3c107complexINS2_4HalfEEEiLb0ELi2ELb1EEEvNS_4cuda6detail10TensorInfoIT_T0_EENS8_IKS9_SA_EEllSA_.kd
    .uniform_work_group_size: 1
    .uses_dynamic_stack: false
    .vgpr_count:     30
    .vgpr_spill_count: 0
    .wavefront_size: 64
  - .args:
      - .offset:         0
        .size:           216
        .value_kind:     by_value
      - .offset:         216
        .size:           216
        .value_kind:     by_value
      - .offset:         432
        .size:           8
        .value_kind:     by_value
      - .offset:         440
        .size:           8
        .value_kind:     by_value
      - .offset:         448
        .size:           4
        .value_kind:     by_value
      - .offset:         456
        .size:           4
        .value_kind:     hidden_block_count_x
      - .offset:         460
        .size:           4
        .value_kind:     hidden_block_count_y
      - .offset:         464
        .size:           4
        .value_kind:     hidden_block_count_z
      - .offset:         468
        .size:           2
        .value_kind:     hidden_group_size_x
      - .offset:         470
        .size:           2
        .value_kind:     hidden_group_size_y
      - .offset:         472
        .size:           2
        .value_kind:     hidden_group_size_z
      - .offset:         474
        .size:           2
        .value_kind:     hidden_remainder_x
      - .offset:         476
        .size:           2
        .value_kind:     hidden_remainder_y
      - .offset:         478
        .size:           2
        .value_kind:     hidden_remainder_z
      - .offset:         496
        .size:           8
        .value_kind:     hidden_global_offset_x
      - .offset:         504
        .size:           8
        .value_kind:     hidden_global_offset_y
      - .offset:         512
        .size:           8
        .value_kind:     hidden_global_offset_z
      - .offset:         520
        .size:           2
        .value_kind:     hidden_grid_dims
    .group_segment_fixed_size: 0
    .kernarg_segment_align: 8
    .kernarg_segment_size: 712
    .language:       OpenCL C
    .language_version:
      - 2
      - 0
    .max_flat_workgroup_size: 128
    .name:           _ZN2at6native16triu_tril_kernelIN3c107complexINS2_4HalfEEEiLb0ELi2ELb0EEEvNS_4cuda6detail10TensorInfoIT_T0_EENS8_IKS9_SA_EEllSA_
    .private_segment_fixed_size: 0
    .sgpr_count:     71
    .sgpr_spill_count: 0
    .symbol:         _ZN2at6native16triu_tril_kernelIN3c107complexINS2_4HalfEEEiLb0ELi2ELb0EEEvNS_4cuda6detail10TensorInfoIT_T0_EENS8_IKS9_SA_EEllSA_.kd
    .uniform_work_group_size: 1
    .uses_dynamic_stack: false
    .vgpr_count:     22
    .vgpr_spill_count: 0
    .wavefront_size: 64
  - .args:
      - .offset:         0
        .size:           416
        .value_kind:     by_value
      - .offset:         416
        .size:           416
        .value_kind:     by_value
      - .offset:         832
        .size:           8
        .value_kind:     by_value
      - .offset:         840
        .size:           8
        .value_kind:     by_value
      - .offset:         848
        .size:           8
        .value_kind:     by_value
      - .offset:         856
        .size:           4
        .value_kind:     hidden_block_count_x
      - .offset:         860
        .size:           4
        .value_kind:     hidden_block_count_y
      - .offset:         864
        .size:           4
        .value_kind:     hidden_block_count_z
      - .offset:         868
        .size:           2
        .value_kind:     hidden_group_size_x
      - .offset:         870
        .size:           2
        .value_kind:     hidden_group_size_y
      - .offset:         872
        .size:           2
        .value_kind:     hidden_group_size_z
      - .offset:         874
        .size:           2
        .value_kind:     hidden_remainder_x
      - .offset:         876
        .size:           2
        .value_kind:     hidden_remainder_y
      - .offset:         878
        .size:           2
        .value_kind:     hidden_remainder_z
      - .offset:         896
        .size:           8
        .value_kind:     hidden_global_offset_x
      - .offset:         904
        .size:           8
        .value_kind:     hidden_global_offset_y
      - .offset:         912
        .size:           8
        .value_kind:     hidden_global_offset_z
      - .offset:         920
        .size:           2
        .value_kind:     hidden_grid_dims
    .group_segment_fixed_size: 0
    .kernarg_segment_align: 8
    .kernarg_segment_size: 1112
    .language:       OpenCL C
    .language_version:
      - 2
      - 0
    .max_flat_workgroup_size: 128
    .name:           _ZN2at6native16triu_tril_kernelIN3c107complexINS2_4HalfEEElLb0ELi2ELb1EEEvNS_4cuda6detail10TensorInfoIT_T0_EENS8_IKS9_SA_EEllSA_
    .private_segment_fixed_size: 0
    .sgpr_count:     79
    .sgpr_spill_count: 0
    .symbol:         _ZN2at6native16triu_tril_kernelIN3c107complexINS2_4HalfEEElLb0ELi2ELb1EEEvNS_4cuda6detail10TensorInfoIT_T0_EENS8_IKS9_SA_EEllSA_.kd
    .uniform_work_group_size: 1
    .uses_dynamic_stack: false
    .vgpr_count:     30
    .vgpr_spill_count: 0
    .wavefront_size: 64
  - .args:
      - .offset:         0
        .size:           416
        .value_kind:     by_value
      - .offset:         416
        .size:           416
        .value_kind:     by_value
      - .offset:         832
        .size:           8
        .value_kind:     by_value
      - .offset:         840
        .size:           8
        .value_kind:     by_value
      - .offset:         848
        .size:           8
        .value_kind:     by_value
      - .offset:         856
        .size:           4
        .value_kind:     hidden_block_count_x
      - .offset:         860
        .size:           4
        .value_kind:     hidden_block_count_y
      - .offset:         864
        .size:           4
        .value_kind:     hidden_block_count_z
      - .offset:         868
        .size:           2
        .value_kind:     hidden_group_size_x
      - .offset:         870
        .size:           2
        .value_kind:     hidden_group_size_y
      - .offset:         872
        .size:           2
        .value_kind:     hidden_group_size_z
      - .offset:         874
        .size:           2
        .value_kind:     hidden_remainder_x
      - .offset:         876
        .size:           2
        .value_kind:     hidden_remainder_y
      - .offset:         878
        .size:           2
        .value_kind:     hidden_remainder_z
      - .offset:         896
        .size:           8
        .value_kind:     hidden_global_offset_x
      - .offset:         904
        .size:           8
        .value_kind:     hidden_global_offset_y
      - .offset:         912
        .size:           8
        .value_kind:     hidden_global_offset_z
      - .offset:         920
        .size:           2
        .value_kind:     hidden_grid_dims
    .group_segment_fixed_size: 0
    .kernarg_segment_align: 8
    .kernarg_segment_size: 1112
    .language:       OpenCL C
    .language_version:
      - 2
      - 0
    .max_flat_workgroup_size: 128
    .name:           _ZN2at6native16triu_tril_kernelIN3c107complexINS2_4HalfEEElLb0ELi2ELb0EEEvNS_4cuda6detail10TensorInfoIT_T0_EENS8_IKS9_SA_EEllSA_
    .private_segment_fixed_size: 0
    .sgpr_count:     77
    .sgpr_spill_count: 0
    .symbol:         _ZN2at6native16triu_tril_kernelIN3c107complexINS2_4HalfEEElLb0ELi2ELb0EEEvNS_4cuda6detail10TensorInfoIT_T0_EENS8_IKS9_SA_EEllSA_.kd
    .uniform_work_group_size: 1
    .uses_dynamic_stack: false
    .vgpr_count:     26
    .vgpr_spill_count: 0
    .wavefront_size: 64
  - .args:
      - .offset:         0
        .size:           216
        .value_kind:     by_value
      - .offset:         216
        .size:           216
        .value_kind:     by_value
      - .offset:         432
        .size:           8
        .value_kind:     by_value
      - .offset:         440
        .size:           8
        .value_kind:     by_value
      - .offset:         448
        .size:           4
        .value_kind:     by_value
      - .offset:         456
        .size:           4
        .value_kind:     hidden_block_count_x
      - .offset:         460
        .size:           4
        .value_kind:     hidden_block_count_y
      - .offset:         464
        .size:           4
        .value_kind:     hidden_block_count_z
      - .offset:         468
        .size:           2
        .value_kind:     hidden_group_size_x
      - .offset:         470
        .size:           2
        .value_kind:     hidden_group_size_y
      - .offset:         472
        .size:           2
        .value_kind:     hidden_group_size_z
      - .offset:         474
        .size:           2
        .value_kind:     hidden_remainder_x
      - .offset:         476
        .size:           2
        .value_kind:     hidden_remainder_y
      - .offset:         478
        .size:           2
        .value_kind:     hidden_remainder_z
      - .offset:         496
        .size:           8
        .value_kind:     hidden_global_offset_x
      - .offset:         504
        .size:           8
        .value_kind:     hidden_global_offset_y
      - .offset:         512
        .size:           8
        .value_kind:     hidden_global_offset_z
      - .offset:         520
        .size:           2
        .value_kind:     hidden_grid_dims
    .group_segment_fixed_size: 0
    .kernarg_segment_align: 8
    .kernarg_segment_size: 712
    .language:       OpenCL C
    .language_version:
      - 2
      - 0
    .max_flat_workgroup_size: 128
    .name:           _ZN2at6native16triu_tril_kernelIN3c104HalfEiLb0ELi4ELb1EEEvNS_4cuda6detail10TensorInfoIT_T0_EENS6_IKS7_S8_EEllS8_
    .private_segment_fixed_size: 0
    .sgpr_count:     72
    .sgpr_spill_count: 0
    .symbol:         _ZN2at6native16triu_tril_kernelIN3c104HalfEiLb0ELi4ELb1EEEvNS_4cuda6detail10TensorInfoIT_T0_EENS6_IKS7_S8_EEllS8_.kd
    .uniform_work_group_size: 1
    .uses_dynamic_stack: false
    .vgpr_count:     29
    .vgpr_spill_count: 0
    .wavefront_size: 64
  - .args:
      - .offset:         0
        .size:           216
        .value_kind:     by_value
      - .offset:         216
        .size:           216
        .value_kind:     by_value
      - .offset:         432
        .size:           8
        .value_kind:     by_value
      - .offset:         440
        .size:           8
        .value_kind:     by_value
      - .offset:         448
        .size:           4
        .value_kind:     by_value
      - .offset:         456
        .size:           4
        .value_kind:     hidden_block_count_x
      - .offset:         460
        .size:           4
        .value_kind:     hidden_block_count_y
      - .offset:         464
        .size:           4
        .value_kind:     hidden_block_count_z
      - .offset:         468
        .size:           2
        .value_kind:     hidden_group_size_x
      - .offset:         470
        .size:           2
        .value_kind:     hidden_group_size_y
      - .offset:         472
        .size:           2
        .value_kind:     hidden_group_size_z
      - .offset:         474
        .size:           2
        .value_kind:     hidden_remainder_x
      - .offset:         476
        .size:           2
        .value_kind:     hidden_remainder_y
      - .offset:         478
        .size:           2
        .value_kind:     hidden_remainder_z
      - .offset:         496
        .size:           8
        .value_kind:     hidden_global_offset_x
      - .offset:         504
        .size:           8
        .value_kind:     hidden_global_offset_y
      - .offset:         512
        .size:           8
        .value_kind:     hidden_global_offset_z
      - .offset:         520
        .size:           2
        .value_kind:     hidden_grid_dims
    .group_segment_fixed_size: 0
    .kernarg_segment_align: 8
    .kernarg_segment_size: 712
    .language:       OpenCL C
    .language_version:
      - 2
      - 0
    .max_flat_workgroup_size: 128
    .name:           _ZN2at6native16triu_tril_kernelIN3c104HalfEiLb0ELi4ELb0EEEvNS_4cuda6detail10TensorInfoIT_T0_EENS6_IKS7_S8_EEllS8_
    .private_segment_fixed_size: 0
    .sgpr_count:     73
    .sgpr_spill_count: 0
    .symbol:         _ZN2at6native16triu_tril_kernelIN3c104HalfEiLb0ELi4ELb0EEEvNS_4cuda6detail10TensorInfoIT_T0_EENS6_IKS7_S8_EEllS8_.kd
    .uniform_work_group_size: 1
    .uses_dynamic_stack: false
    .vgpr_count:     22
    .vgpr_spill_count: 0
    .wavefront_size: 64
  - .args:
      - .offset:         0
        .size:           416
        .value_kind:     by_value
      - .offset:         416
        .size:           416
        .value_kind:     by_value
      - .offset:         832
        .size:           8
        .value_kind:     by_value
      - .offset:         840
        .size:           8
        .value_kind:     by_value
      - .offset:         848
        .size:           8
        .value_kind:     by_value
      - .offset:         856
        .size:           4
        .value_kind:     hidden_block_count_x
      - .offset:         860
        .size:           4
        .value_kind:     hidden_block_count_y
      - .offset:         864
        .size:           4
        .value_kind:     hidden_block_count_z
      - .offset:         868
        .size:           2
        .value_kind:     hidden_group_size_x
      - .offset:         870
        .size:           2
        .value_kind:     hidden_group_size_y
      - .offset:         872
        .size:           2
        .value_kind:     hidden_group_size_z
      - .offset:         874
        .size:           2
        .value_kind:     hidden_remainder_x
      - .offset:         876
        .size:           2
        .value_kind:     hidden_remainder_y
      - .offset:         878
        .size:           2
        .value_kind:     hidden_remainder_z
      - .offset:         896
        .size:           8
        .value_kind:     hidden_global_offset_x
      - .offset:         904
        .size:           8
        .value_kind:     hidden_global_offset_y
      - .offset:         912
        .size:           8
        .value_kind:     hidden_global_offset_z
      - .offset:         920
        .size:           2
        .value_kind:     hidden_grid_dims
    .group_segment_fixed_size: 0
    .kernarg_segment_align: 8
    .kernarg_segment_size: 1112
    .language:       OpenCL C
    .language_version:
      - 2
      - 0
    .max_flat_workgroup_size: 128
    .name:           _ZN2at6native16triu_tril_kernelIN3c104HalfElLb0ELi4ELb1EEEvNS_4cuda6detail10TensorInfoIT_T0_EENS6_IKS7_S8_EEllS8_
    .private_segment_fixed_size: 0
    .sgpr_count:     79
    .sgpr_spill_count: 0
    .symbol:         _ZN2at6native16triu_tril_kernelIN3c104HalfElLb0ELi4ELb1EEEvNS_4cuda6detail10TensorInfoIT_T0_EENS6_IKS7_S8_EEllS8_.kd
    .uniform_work_group_size: 1
    .uses_dynamic_stack: false
    .vgpr_count:     30
    .vgpr_spill_count: 0
    .wavefront_size: 64
  - .args:
      - .offset:         0
        .size:           416
        .value_kind:     by_value
      - .offset:         416
        .size:           416
        .value_kind:     by_value
      - .offset:         832
        .size:           8
        .value_kind:     by_value
      - .offset:         840
        .size:           8
        .value_kind:     by_value
      - .offset:         848
        .size:           8
        .value_kind:     by_value
      - .offset:         856
        .size:           4
        .value_kind:     hidden_block_count_x
      - .offset:         860
        .size:           4
        .value_kind:     hidden_block_count_y
      - .offset:         864
        .size:           4
        .value_kind:     hidden_block_count_z
      - .offset:         868
        .size:           2
        .value_kind:     hidden_group_size_x
      - .offset:         870
        .size:           2
        .value_kind:     hidden_group_size_y
      - .offset:         872
        .size:           2
        .value_kind:     hidden_group_size_z
      - .offset:         874
        .size:           2
        .value_kind:     hidden_remainder_x
      - .offset:         876
        .size:           2
        .value_kind:     hidden_remainder_y
      - .offset:         878
        .size:           2
        .value_kind:     hidden_remainder_z
      - .offset:         896
        .size:           8
        .value_kind:     hidden_global_offset_x
      - .offset:         904
        .size:           8
        .value_kind:     hidden_global_offset_y
      - .offset:         912
        .size:           8
        .value_kind:     hidden_global_offset_z
      - .offset:         920
        .size:           2
        .value_kind:     hidden_grid_dims
    .group_segment_fixed_size: 0
    .kernarg_segment_align: 8
    .kernarg_segment_size: 1112
    .language:       OpenCL C
    .language_version:
      - 2
      - 0
    .max_flat_workgroup_size: 128
    .name:           _ZN2at6native16triu_tril_kernelIN3c104HalfElLb0ELi4ELb0EEEvNS_4cuda6detail10TensorInfoIT_T0_EENS6_IKS7_S8_EEllS8_
    .private_segment_fixed_size: 0
    .sgpr_count:     85
    .sgpr_spill_count: 0
    .symbol:         _ZN2at6native16triu_tril_kernelIN3c104HalfElLb0ELi4ELb0EEEvNS_4cuda6detail10TensorInfoIT_T0_EENS6_IKS7_S8_EEllS8_.kd
    .uniform_work_group_size: 1
    .uses_dynamic_stack: false
    .vgpr_count:     26
    .vgpr_spill_count: 0
    .wavefront_size: 64
  - .args:
      - .offset:         0
        .size:           216
        .value_kind:     by_value
      - .offset:         216
        .size:           216
        .value_kind:     by_value
      - .offset:         432
        .size:           8
        .value_kind:     by_value
      - .offset:         440
        .size:           8
        .value_kind:     by_value
      - .offset:         448
        .size:           4
        .value_kind:     by_value
      - .offset:         456
        .size:           4
        .value_kind:     hidden_block_count_x
      - .offset:         460
        .size:           4
        .value_kind:     hidden_block_count_y
      - .offset:         464
        .size:           4
        .value_kind:     hidden_block_count_z
      - .offset:         468
        .size:           2
        .value_kind:     hidden_group_size_x
      - .offset:         470
        .size:           2
        .value_kind:     hidden_group_size_y
      - .offset:         472
        .size:           2
        .value_kind:     hidden_group_size_z
      - .offset:         474
        .size:           2
        .value_kind:     hidden_remainder_x
      - .offset:         476
        .size:           2
        .value_kind:     hidden_remainder_y
      - .offset:         478
        .size:           2
        .value_kind:     hidden_remainder_z
      - .offset:         496
        .size:           8
        .value_kind:     hidden_global_offset_x
      - .offset:         504
        .size:           8
        .value_kind:     hidden_global_offset_y
      - .offset:         512
        .size:           8
        .value_kind:     hidden_global_offset_z
      - .offset:         520
        .size:           2
        .value_kind:     hidden_grid_dims
    .group_segment_fixed_size: 0
    .kernarg_segment_align: 8
    .kernarg_segment_size: 712
    .language:       OpenCL C
    .language_version:
      - 2
      - 0
    .max_flat_workgroup_size: 128
    .name:           _ZN2at6native16triu_tril_kernelIN3c108BFloat16EiLb0ELi4ELb1EEEvNS_4cuda6detail10TensorInfoIT_T0_EENS6_IKS7_S8_EEllS8_
    .private_segment_fixed_size: 0
    .sgpr_count:     72
    .sgpr_spill_count: 0
    .symbol:         _ZN2at6native16triu_tril_kernelIN3c108BFloat16EiLb0ELi4ELb1EEEvNS_4cuda6detail10TensorInfoIT_T0_EENS6_IKS7_S8_EEllS8_.kd
    .uniform_work_group_size: 1
    .uses_dynamic_stack: false
    .vgpr_count:     29
    .vgpr_spill_count: 0
    .wavefront_size: 64
  - .args:
      - .offset:         0
        .size:           216
        .value_kind:     by_value
      - .offset:         216
        .size:           216
        .value_kind:     by_value
      - .offset:         432
        .size:           8
        .value_kind:     by_value
      - .offset:         440
        .size:           8
        .value_kind:     by_value
      - .offset:         448
        .size:           4
        .value_kind:     by_value
      - .offset:         456
        .size:           4
        .value_kind:     hidden_block_count_x
      - .offset:         460
        .size:           4
        .value_kind:     hidden_block_count_y
      - .offset:         464
        .size:           4
        .value_kind:     hidden_block_count_z
      - .offset:         468
        .size:           2
        .value_kind:     hidden_group_size_x
      - .offset:         470
        .size:           2
        .value_kind:     hidden_group_size_y
      - .offset:         472
        .size:           2
        .value_kind:     hidden_group_size_z
      - .offset:         474
        .size:           2
        .value_kind:     hidden_remainder_x
      - .offset:         476
        .size:           2
        .value_kind:     hidden_remainder_y
      - .offset:         478
        .size:           2
        .value_kind:     hidden_remainder_z
      - .offset:         496
        .size:           8
        .value_kind:     hidden_global_offset_x
      - .offset:         504
        .size:           8
        .value_kind:     hidden_global_offset_y
      - .offset:         512
        .size:           8
        .value_kind:     hidden_global_offset_z
      - .offset:         520
        .size:           2
        .value_kind:     hidden_grid_dims
    .group_segment_fixed_size: 0
    .kernarg_segment_align: 8
    .kernarg_segment_size: 712
    .language:       OpenCL C
    .language_version:
      - 2
      - 0
    .max_flat_workgroup_size: 128
    .name:           _ZN2at6native16triu_tril_kernelIN3c108BFloat16EiLb0ELi4ELb0EEEvNS_4cuda6detail10TensorInfoIT_T0_EENS6_IKS7_S8_EEllS8_
    .private_segment_fixed_size: 0
    .sgpr_count:     73
    .sgpr_spill_count: 0
    .symbol:         _ZN2at6native16triu_tril_kernelIN3c108BFloat16EiLb0ELi4ELb0EEEvNS_4cuda6detail10TensorInfoIT_T0_EENS6_IKS7_S8_EEllS8_.kd
    .uniform_work_group_size: 1
    .uses_dynamic_stack: false
    .vgpr_count:     22
    .vgpr_spill_count: 0
    .wavefront_size: 64
  - .args:
      - .offset:         0
        .size:           416
        .value_kind:     by_value
      - .offset:         416
        .size:           416
        .value_kind:     by_value
      - .offset:         832
        .size:           8
        .value_kind:     by_value
      - .offset:         840
        .size:           8
        .value_kind:     by_value
      - .offset:         848
        .size:           8
        .value_kind:     by_value
      - .offset:         856
        .size:           4
        .value_kind:     hidden_block_count_x
      - .offset:         860
        .size:           4
        .value_kind:     hidden_block_count_y
      - .offset:         864
        .size:           4
        .value_kind:     hidden_block_count_z
      - .offset:         868
        .size:           2
        .value_kind:     hidden_group_size_x
      - .offset:         870
        .size:           2
        .value_kind:     hidden_group_size_y
      - .offset:         872
        .size:           2
        .value_kind:     hidden_group_size_z
      - .offset:         874
        .size:           2
        .value_kind:     hidden_remainder_x
      - .offset:         876
        .size:           2
        .value_kind:     hidden_remainder_y
      - .offset:         878
        .size:           2
        .value_kind:     hidden_remainder_z
      - .offset:         896
        .size:           8
        .value_kind:     hidden_global_offset_x
      - .offset:         904
        .size:           8
        .value_kind:     hidden_global_offset_y
      - .offset:         912
        .size:           8
        .value_kind:     hidden_global_offset_z
      - .offset:         920
        .size:           2
        .value_kind:     hidden_grid_dims
    .group_segment_fixed_size: 0
    .kernarg_segment_align: 8
    .kernarg_segment_size: 1112
    .language:       OpenCL C
    .language_version:
      - 2
      - 0
    .max_flat_workgroup_size: 128
    .name:           _ZN2at6native16triu_tril_kernelIN3c108BFloat16ElLb0ELi4ELb1EEEvNS_4cuda6detail10TensorInfoIT_T0_EENS6_IKS7_S8_EEllS8_
    .private_segment_fixed_size: 0
    .sgpr_count:     79
    .sgpr_spill_count: 0
    .symbol:         _ZN2at6native16triu_tril_kernelIN3c108BFloat16ElLb0ELi4ELb1EEEvNS_4cuda6detail10TensorInfoIT_T0_EENS6_IKS7_S8_EEllS8_.kd
    .uniform_work_group_size: 1
    .uses_dynamic_stack: false
    .vgpr_count:     30
    .vgpr_spill_count: 0
    .wavefront_size: 64
  - .args:
      - .offset:         0
        .size:           416
        .value_kind:     by_value
      - .offset:         416
        .size:           416
        .value_kind:     by_value
      - .offset:         832
        .size:           8
        .value_kind:     by_value
      - .offset:         840
        .size:           8
        .value_kind:     by_value
      - .offset:         848
        .size:           8
        .value_kind:     by_value
      - .offset:         856
        .size:           4
        .value_kind:     hidden_block_count_x
      - .offset:         860
        .size:           4
        .value_kind:     hidden_block_count_y
      - .offset:         864
        .size:           4
        .value_kind:     hidden_block_count_z
      - .offset:         868
        .size:           2
        .value_kind:     hidden_group_size_x
      - .offset:         870
        .size:           2
        .value_kind:     hidden_group_size_y
      - .offset:         872
        .size:           2
        .value_kind:     hidden_group_size_z
      - .offset:         874
        .size:           2
        .value_kind:     hidden_remainder_x
      - .offset:         876
        .size:           2
        .value_kind:     hidden_remainder_y
      - .offset:         878
        .size:           2
        .value_kind:     hidden_remainder_z
      - .offset:         896
        .size:           8
        .value_kind:     hidden_global_offset_x
      - .offset:         904
        .size:           8
        .value_kind:     hidden_global_offset_y
      - .offset:         912
        .size:           8
        .value_kind:     hidden_global_offset_z
      - .offset:         920
        .size:           2
        .value_kind:     hidden_grid_dims
    .group_segment_fixed_size: 0
    .kernarg_segment_align: 8
    .kernarg_segment_size: 1112
    .language:       OpenCL C
    .language_version:
      - 2
      - 0
    .max_flat_workgroup_size: 128
    .name:           _ZN2at6native16triu_tril_kernelIN3c108BFloat16ElLb0ELi4ELb0EEEvNS_4cuda6detail10TensorInfoIT_T0_EENS6_IKS7_S8_EEllS8_
    .private_segment_fixed_size: 0
    .sgpr_count:     85
    .sgpr_spill_count: 0
    .symbol:         _ZN2at6native16triu_tril_kernelIN3c108BFloat16ElLb0ELi4ELb0EEEvNS_4cuda6detail10TensorInfoIT_T0_EENS6_IKS7_S8_EEllS8_.kd
    .uniform_work_group_size: 1
    .uses_dynamic_stack: false
    .vgpr_count:     26
    .vgpr_spill_count: 0
    .wavefront_size: 64
  - .args:
      - .offset:         0
        .size:           216
        .value_kind:     by_value
      - .offset:         216
        .size:           216
        .value_kind:     by_value
      - .offset:         432
        .size:           8
        .value_kind:     by_value
      - .offset:         440
        .size:           8
        .value_kind:     by_value
      - .offset:         448
        .size:           4
        .value_kind:     by_value
      - .offset:         456
        .size:           4
        .value_kind:     hidden_block_count_x
      - .offset:         460
        .size:           4
        .value_kind:     hidden_block_count_y
      - .offset:         464
        .size:           4
        .value_kind:     hidden_block_count_z
      - .offset:         468
        .size:           2
        .value_kind:     hidden_group_size_x
      - .offset:         470
        .size:           2
        .value_kind:     hidden_group_size_y
      - .offset:         472
        .size:           2
        .value_kind:     hidden_group_size_z
      - .offset:         474
        .size:           2
        .value_kind:     hidden_remainder_x
      - .offset:         476
        .size:           2
        .value_kind:     hidden_remainder_y
      - .offset:         478
        .size:           2
        .value_kind:     hidden_remainder_z
      - .offset:         496
        .size:           8
        .value_kind:     hidden_global_offset_x
      - .offset:         504
        .size:           8
        .value_kind:     hidden_global_offset_y
      - .offset:         512
        .size:           8
        .value_kind:     hidden_global_offset_z
      - .offset:         520
        .size:           2
        .value_kind:     hidden_grid_dims
    .group_segment_fixed_size: 0
    .kernarg_segment_align: 8
    .kernarg_segment_size: 712
    .language:       OpenCL C
    .language_version:
      - 2
      - 0
    .max_flat_workgroup_size: 128
    .name:           _ZN2at6native16triu_tril_kernelIbiLb0ELi4ELb1EEEvNS_4cuda6detail10TensorInfoIT_T0_EENS4_IKS5_S6_EEllS6_
    .private_segment_fixed_size: 0
    .sgpr_count:     72
    .sgpr_spill_count: 0
    .symbol:         _ZN2at6native16triu_tril_kernelIbiLb0ELi4ELb1EEEvNS_4cuda6detail10TensorInfoIT_T0_EENS4_IKS5_S6_EEllS6_.kd
    .uniform_work_group_size: 1
    .uses_dynamic_stack: false
    .vgpr_count:     29
    .vgpr_spill_count: 0
    .wavefront_size: 64
  - .args:
      - .offset:         0
        .size:           216
        .value_kind:     by_value
      - .offset:         216
        .size:           216
        .value_kind:     by_value
      - .offset:         432
        .size:           8
        .value_kind:     by_value
      - .offset:         440
        .size:           8
        .value_kind:     by_value
      - .offset:         448
        .size:           4
        .value_kind:     by_value
      - .offset:         456
        .size:           4
        .value_kind:     hidden_block_count_x
      - .offset:         460
        .size:           4
        .value_kind:     hidden_block_count_y
      - .offset:         464
        .size:           4
        .value_kind:     hidden_block_count_z
      - .offset:         468
        .size:           2
        .value_kind:     hidden_group_size_x
      - .offset:         470
        .size:           2
        .value_kind:     hidden_group_size_y
      - .offset:         472
        .size:           2
        .value_kind:     hidden_group_size_z
      - .offset:         474
        .size:           2
        .value_kind:     hidden_remainder_x
      - .offset:         476
        .size:           2
        .value_kind:     hidden_remainder_y
      - .offset:         478
        .size:           2
        .value_kind:     hidden_remainder_z
      - .offset:         496
        .size:           8
        .value_kind:     hidden_global_offset_x
      - .offset:         504
        .size:           8
        .value_kind:     hidden_global_offset_y
      - .offset:         512
        .size:           8
        .value_kind:     hidden_global_offset_z
      - .offset:         520
        .size:           2
        .value_kind:     hidden_grid_dims
    .group_segment_fixed_size: 0
    .kernarg_segment_align: 8
    .kernarg_segment_size: 712
    .language:       OpenCL C
    .language_version:
      - 2
      - 0
    .max_flat_workgroup_size: 128
    .name:           _ZN2at6native16triu_tril_kernelIbiLb0ELi4ELb0EEEvNS_4cuda6detail10TensorInfoIT_T0_EENS4_IKS5_S6_EEllS6_
    .private_segment_fixed_size: 0
    .sgpr_count:     73
    .sgpr_spill_count: 0
    .symbol:         _ZN2at6native16triu_tril_kernelIbiLb0ELi4ELb0EEEvNS_4cuda6detail10TensorInfoIT_T0_EENS4_IKS5_S6_EEllS6_.kd
    .uniform_work_group_size: 1
    .uses_dynamic_stack: false
    .vgpr_count:     22
    .vgpr_spill_count: 0
    .wavefront_size: 64
  - .args:
      - .offset:         0
        .size:           416
        .value_kind:     by_value
      - .offset:         416
        .size:           416
        .value_kind:     by_value
      - .offset:         832
        .size:           8
        .value_kind:     by_value
      - .offset:         840
        .size:           8
        .value_kind:     by_value
      - .offset:         848
        .size:           8
        .value_kind:     by_value
      - .offset:         856
        .size:           4
        .value_kind:     hidden_block_count_x
      - .offset:         860
        .size:           4
        .value_kind:     hidden_block_count_y
      - .offset:         864
        .size:           4
        .value_kind:     hidden_block_count_z
      - .offset:         868
        .size:           2
        .value_kind:     hidden_group_size_x
      - .offset:         870
        .size:           2
        .value_kind:     hidden_group_size_y
      - .offset:         872
        .size:           2
        .value_kind:     hidden_group_size_z
      - .offset:         874
        .size:           2
        .value_kind:     hidden_remainder_x
      - .offset:         876
        .size:           2
        .value_kind:     hidden_remainder_y
      - .offset:         878
        .size:           2
        .value_kind:     hidden_remainder_z
      - .offset:         896
        .size:           8
        .value_kind:     hidden_global_offset_x
      - .offset:         904
        .size:           8
        .value_kind:     hidden_global_offset_y
      - .offset:         912
        .size:           8
        .value_kind:     hidden_global_offset_z
      - .offset:         920
        .size:           2
        .value_kind:     hidden_grid_dims
    .group_segment_fixed_size: 0
    .kernarg_segment_align: 8
    .kernarg_segment_size: 1112
    .language:       OpenCL C
    .language_version:
      - 2
      - 0
    .max_flat_workgroup_size: 128
    .name:           _ZN2at6native16triu_tril_kernelIblLb0ELi4ELb1EEEvNS_4cuda6detail10TensorInfoIT_T0_EENS4_IKS5_S6_EEllS6_
    .private_segment_fixed_size: 0
    .sgpr_count:     79
    .sgpr_spill_count: 0
    .symbol:         _ZN2at6native16triu_tril_kernelIblLb0ELi4ELb1EEEvNS_4cuda6detail10TensorInfoIT_T0_EENS4_IKS5_S6_EEllS6_.kd
    .uniform_work_group_size: 1
    .uses_dynamic_stack: false
    .vgpr_count:     30
    .vgpr_spill_count: 0
    .wavefront_size: 64
  - .args:
      - .offset:         0
        .size:           416
        .value_kind:     by_value
      - .offset:         416
        .size:           416
        .value_kind:     by_value
      - .offset:         832
        .size:           8
        .value_kind:     by_value
      - .offset:         840
        .size:           8
        .value_kind:     by_value
      - .offset:         848
        .size:           8
        .value_kind:     by_value
      - .offset:         856
        .size:           4
        .value_kind:     hidden_block_count_x
      - .offset:         860
        .size:           4
        .value_kind:     hidden_block_count_y
      - .offset:         864
        .size:           4
        .value_kind:     hidden_block_count_z
      - .offset:         868
        .size:           2
        .value_kind:     hidden_group_size_x
      - .offset:         870
        .size:           2
        .value_kind:     hidden_group_size_y
      - .offset:         872
        .size:           2
        .value_kind:     hidden_group_size_z
      - .offset:         874
        .size:           2
        .value_kind:     hidden_remainder_x
      - .offset:         876
        .size:           2
        .value_kind:     hidden_remainder_y
      - .offset:         878
        .size:           2
        .value_kind:     hidden_remainder_z
      - .offset:         896
        .size:           8
        .value_kind:     hidden_global_offset_x
      - .offset:         904
        .size:           8
        .value_kind:     hidden_global_offset_y
      - .offset:         912
        .size:           8
        .value_kind:     hidden_global_offset_z
      - .offset:         920
        .size:           2
        .value_kind:     hidden_grid_dims
    .group_segment_fixed_size: 0
    .kernarg_segment_align: 8
    .kernarg_segment_size: 1112
    .language:       OpenCL C
    .language_version:
      - 2
      - 0
    .max_flat_workgroup_size: 128
    .name:           _ZN2at6native16triu_tril_kernelIblLb0ELi4ELb0EEEvNS_4cuda6detail10TensorInfoIT_T0_EENS4_IKS5_S6_EEllS6_
    .private_segment_fixed_size: 0
    .sgpr_count:     78
    .sgpr_spill_count: 0
    .symbol:         _ZN2at6native16triu_tril_kernelIblLb0ELi4ELb0EEEvNS_4cuda6detail10TensorInfoIT_T0_EENS4_IKS5_S6_EEllS6_.kd
    .uniform_work_group_size: 1
    .uses_dynamic_stack: false
    .vgpr_count:     27
    .vgpr_spill_count: 0
    .wavefront_size: 64
  - .args:
      - .offset:         0
        .size:           216
        .value_kind:     by_value
      - .offset:         216
        .size:           216
        .value_kind:     by_value
      - .offset:         432
        .size:           8
        .value_kind:     by_value
      - .offset:         440
        .size:           8
        .value_kind:     by_value
      - .offset:         448
        .size:           4
        .value_kind:     by_value
      - .offset:         456
        .size:           4
        .value_kind:     hidden_block_count_x
      - .offset:         460
        .size:           4
        .value_kind:     hidden_block_count_y
      - .offset:         464
        .size:           4
        .value_kind:     hidden_block_count_z
      - .offset:         468
        .size:           2
        .value_kind:     hidden_group_size_x
      - .offset:         470
        .size:           2
        .value_kind:     hidden_group_size_y
      - .offset:         472
        .size:           2
        .value_kind:     hidden_group_size_z
      - .offset:         474
        .size:           2
        .value_kind:     hidden_remainder_x
      - .offset:         476
        .size:           2
        .value_kind:     hidden_remainder_y
      - .offset:         478
        .size:           2
        .value_kind:     hidden_remainder_z
      - .offset:         496
        .size:           8
        .value_kind:     hidden_global_offset_x
      - .offset:         504
        .size:           8
        .value_kind:     hidden_global_offset_y
      - .offset:         512
        .size:           8
        .value_kind:     hidden_global_offset_z
      - .offset:         520
        .size:           2
        .value_kind:     hidden_grid_dims
    .group_segment_fixed_size: 0
    .kernarg_segment_align: 8
    .kernarg_segment_size: 712
    .language:       OpenCL C
    .language_version:
      - 2
      - 0
    .max_flat_workgroup_size: 128
    .name:           _ZN2at6native16triu_tril_kernelIhiLb1ELi4ELb1EEEvNS_4cuda6detail10TensorInfoIT_T0_EENS4_IKS5_S6_EEllS6_
    .private_segment_fixed_size: 0
    .sgpr_count:     72
    .sgpr_spill_count: 0
    .symbol:         _ZN2at6native16triu_tril_kernelIhiLb1ELi4ELb1EEEvNS_4cuda6detail10TensorInfoIT_T0_EENS4_IKS5_S6_EEllS6_.kd
    .uniform_work_group_size: 1
    .uses_dynamic_stack: false
    .vgpr_count:     28
    .vgpr_spill_count: 0
    .wavefront_size: 64
  - .args:
      - .offset:         0
        .size:           216
        .value_kind:     by_value
      - .offset:         216
        .size:           216
        .value_kind:     by_value
      - .offset:         432
        .size:           8
        .value_kind:     by_value
      - .offset:         440
        .size:           8
        .value_kind:     by_value
      - .offset:         448
        .size:           4
        .value_kind:     by_value
      - .offset:         456
        .size:           4
        .value_kind:     hidden_block_count_x
      - .offset:         460
        .size:           4
        .value_kind:     hidden_block_count_y
      - .offset:         464
        .size:           4
        .value_kind:     hidden_block_count_z
      - .offset:         468
        .size:           2
        .value_kind:     hidden_group_size_x
      - .offset:         470
        .size:           2
        .value_kind:     hidden_group_size_y
      - .offset:         472
        .size:           2
        .value_kind:     hidden_group_size_z
      - .offset:         474
        .size:           2
        .value_kind:     hidden_remainder_x
      - .offset:         476
        .size:           2
        .value_kind:     hidden_remainder_y
      - .offset:         478
        .size:           2
        .value_kind:     hidden_remainder_z
      - .offset:         496
        .size:           8
        .value_kind:     hidden_global_offset_x
      - .offset:         504
        .size:           8
        .value_kind:     hidden_global_offset_y
      - .offset:         512
        .size:           8
        .value_kind:     hidden_global_offset_z
      - .offset:         520
        .size:           2
        .value_kind:     hidden_grid_dims
    .group_segment_fixed_size: 0
    .kernarg_segment_align: 8
    .kernarg_segment_size: 712
    .language:       OpenCL C
    .language_version:
      - 2
      - 0
    .max_flat_workgroup_size: 128
    .name:           _ZN2at6native16triu_tril_kernelIhiLb1ELi4ELb0EEEvNS_4cuda6detail10TensorInfoIT_T0_EENS4_IKS5_S6_EEllS6_
    .private_segment_fixed_size: 0
    .sgpr_count:     80
    .sgpr_spill_count: 0
    .symbol:         _ZN2at6native16triu_tril_kernelIhiLb1ELi4ELb0EEEvNS_4cuda6detail10TensorInfoIT_T0_EENS4_IKS5_S6_EEllS6_.kd
    .uniform_work_group_size: 1
    .uses_dynamic_stack: false
    .vgpr_count:     22
    .vgpr_spill_count: 0
    .wavefront_size: 64
  - .args:
      - .offset:         0
        .size:           416
        .value_kind:     by_value
      - .offset:         416
        .size:           416
        .value_kind:     by_value
      - .offset:         832
        .size:           8
        .value_kind:     by_value
      - .offset:         840
        .size:           8
        .value_kind:     by_value
      - .offset:         848
        .size:           8
        .value_kind:     by_value
      - .offset:         856
        .size:           4
        .value_kind:     hidden_block_count_x
      - .offset:         860
        .size:           4
        .value_kind:     hidden_block_count_y
      - .offset:         864
        .size:           4
        .value_kind:     hidden_block_count_z
      - .offset:         868
        .size:           2
        .value_kind:     hidden_group_size_x
      - .offset:         870
        .size:           2
        .value_kind:     hidden_group_size_y
      - .offset:         872
        .size:           2
        .value_kind:     hidden_group_size_z
      - .offset:         874
        .size:           2
        .value_kind:     hidden_remainder_x
      - .offset:         876
        .size:           2
        .value_kind:     hidden_remainder_y
      - .offset:         878
        .size:           2
        .value_kind:     hidden_remainder_z
      - .offset:         896
        .size:           8
        .value_kind:     hidden_global_offset_x
      - .offset:         904
        .size:           8
        .value_kind:     hidden_global_offset_y
      - .offset:         912
        .size:           8
        .value_kind:     hidden_global_offset_z
      - .offset:         920
        .size:           2
        .value_kind:     hidden_grid_dims
    .group_segment_fixed_size: 0
    .kernarg_segment_align: 8
    .kernarg_segment_size: 1112
    .language:       OpenCL C
    .language_version:
      - 2
      - 0
    .max_flat_workgroup_size: 128
    .name:           _ZN2at6native16triu_tril_kernelIhlLb1ELi4ELb1EEEvNS_4cuda6detail10TensorInfoIT_T0_EENS4_IKS5_S6_EEllS6_
    .private_segment_fixed_size: 0
    .sgpr_count:     79
    .sgpr_spill_count: 0
    .symbol:         _ZN2at6native16triu_tril_kernelIhlLb1ELi4ELb1EEEvNS_4cuda6detail10TensorInfoIT_T0_EENS4_IKS5_S6_EEllS6_.kd
    .uniform_work_group_size: 1
    .uses_dynamic_stack: false
    .vgpr_count:     28
    .vgpr_spill_count: 0
    .wavefront_size: 64
  - .args:
      - .offset:         0
        .size:           416
        .value_kind:     by_value
      - .offset:         416
        .size:           416
        .value_kind:     by_value
      - .offset:         832
        .size:           8
        .value_kind:     by_value
      - .offset:         840
        .size:           8
        .value_kind:     by_value
      - .offset:         848
        .size:           8
        .value_kind:     by_value
      - .offset:         856
        .size:           4
        .value_kind:     hidden_block_count_x
      - .offset:         860
        .size:           4
        .value_kind:     hidden_block_count_y
      - .offset:         864
        .size:           4
        .value_kind:     hidden_block_count_z
      - .offset:         868
        .size:           2
        .value_kind:     hidden_group_size_x
      - .offset:         870
        .size:           2
        .value_kind:     hidden_group_size_y
      - .offset:         872
        .size:           2
        .value_kind:     hidden_group_size_z
      - .offset:         874
        .size:           2
        .value_kind:     hidden_remainder_x
      - .offset:         876
        .size:           2
        .value_kind:     hidden_remainder_y
      - .offset:         878
        .size:           2
        .value_kind:     hidden_remainder_z
      - .offset:         896
        .size:           8
        .value_kind:     hidden_global_offset_x
      - .offset:         904
        .size:           8
        .value_kind:     hidden_global_offset_y
      - .offset:         912
        .size:           8
        .value_kind:     hidden_global_offset_z
      - .offset:         920
        .size:           2
        .value_kind:     hidden_grid_dims
    .group_segment_fixed_size: 0
    .kernarg_segment_align: 8
    .kernarg_segment_size: 1112
    .language:       OpenCL C
    .language_version:
      - 2
      - 0
    .max_flat_workgroup_size: 128
    .name:           _ZN2at6native16triu_tril_kernelIhlLb1ELi4ELb0EEEvNS_4cuda6detail10TensorInfoIT_T0_EENS4_IKS5_S6_EEllS6_
    .private_segment_fixed_size: 0
    .sgpr_count:     85
    .sgpr_spill_count: 0
    .symbol:         _ZN2at6native16triu_tril_kernelIhlLb1ELi4ELb0EEEvNS_4cuda6detail10TensorInfoIT_T0_EENS4_IKS5_S6_EEllS6_.kd
    .uniform_work_group_size: 1
    .uses_dynamic_stack: false
    .vgpr_count:     26
    .vgpr_spill_count: 0
    .wavefront_size: 64
  - .args:
      - .offset:         0
        .size:           216
        .value_kind:     by_value
      - .offset:         216
        .size:           216
        .value_kind:     by_value
      - .offset:         432
        .size:           8
        .value_kind:     by_value
      - .offset:         440
        .size:           8
        .value_kind:     by_value
      - .offset:         448
        .size:           4
        .value_kind:     by_value
      - .offset:         456
        .size:           4
        .value_kind:     hidden_block_count_x
      - .offset:         460
        .size:           4
        .value_kind:     hidden_block_count_y
      - .offset:         464
        .size:           4
        .value_kind:     hidden_block_count_z
      - .offset:         468
        .size:           2
        .value_kind:     hidden_group_size_x
      - .offset:         470
        .size:           2
        .value_kind:     hidden_group_size_y
      - .offset:         472
        .size:           2
        .value_kind:     hidden_group_size_z
      - .offset:         474
        .size:           2
        .value_kind:     hidden_remainder_x
      - .offset:         476
        .size:           2
        .value_kind:     hidden_remainder_y
      - .offset:         478
        .size:           2
        .value_kind:     hidden_remainder_z
      - .offset:         496
        .size:           8
        .value_kind:     hidden_global_offset_x
      - .offset:         504
        .size:           8
        .value_kind:     hidden_global_offset_y
      - .offset:         512
        .size:           8
        .value_kind:     hidden_global_offset_z
      - .offset:         520
        .size:           2
        .value_kind:     hidden_grid_dims
    .group_segment_fixed_size: 0
    .kernarg_segment_align: 8
    .kernarg_segment_size: 712
    .language:       OpenCL C
    .language_version:
      - 2
      - 0
    .max_flat_workgroup_size: 128
    .name:           _ZN2at6native16triu_tril_kernelIaiLb1ELi4ELb1EEEvNS_4cuda6detail10TensorInfoIT_T0_EENS4_IKS5_S6_EEllS6_
    .private_segment_fixed_size: 0
    .sgpr_count:     72
    .sgpr_spill_count: 0
    .symbol:         _ZN2at6native16triu_tril_kernelIaiLb1ELi4ELb1EEEvNS_4cuda6detail10TensorInfoIT_T0_EENS4_IKS5_S6_EEllS6_.kd
    .uniform_work_group_size: 1
    .uses_dynamic_stack: false
    .vgpr_count:     28
    .vgpr_spill_count: 0
    .wavefront_size: 64
  - .args:
      - .offset:         0
        .size:           216
        .value_kind:     by_value
      - .offset:         216
        .size:           216
        .value_kind:     by_value
      - .offset:         432
        .size:           8
        .value_kind:     by_value
      - .offset:         440
        .size:           8
        .value_kind:     by_value
      - .offset:         448
        .size:           4
        .value_kind:     by_value
      - .offset:         456
        .size:           4
        .value_kind:     hidden_block_count_x
      - .offset:         460
        .size:           4
        .value_kind:     hidden_block_count_y
      - .offset:         464
        .size:           4
        .value_kind:     hidden_block_count_z
      - .offset:         468
        .size:           2
        .value_kind:     hidden_group_size_x
      - .offset:         470
        .size:           2
        .value_kind:     hidden_group_size_y
      - .offset:         472
        .size:           2
        .value_kind:     hidden_group_size_z
      - .offset:         474
        .size:           2
        .value_kind:     hidden_remainder_x
      - .offset:         476
        .size:           2
        .value_kind:     hidden_remainder_y
      - .offset:         478
        .size:           2
        .value_kind:     hidden_remainder_z
      - .offset:         496
        .size:           8
        .value_kind:     hidden_global_offset_x
      - .offset:         504
        .size:           8
        .value_kind:     hidden_global_offset_y
      - .offset:         512
        .size:           8
        .value_kind:     hidden_global_offset_z
      - .offset:         520
        .size:           2
        .value_kind:     hidden_grid_dims
    .group_segment_fixed_size: 0
    .kernarg_segment_align: 8
    .kernarg_segment_size: 712
    .language:       OpenCL C
    .language_version:
      - 2
      - 0
    .max_flat_workgroup_size: 128
    .name:           _ZN2at6native16triu_tril_kernelIaiLb1ELi4ELb0EEEvNS_4cuda6detail10TensorInfoIT_T0_EENS4_IKS5_S6_EEllS6_
    .private_segment_fixed_size: 0
    .sgpr_count:     80
    .sgpr_spill_count: 0
    .symbol:         _ZN2at6native16triu_tril_kernelIaiLb1ELi4ELb0EEEvNS_4cuda6detail10TensorInfoIT_T0_EENS4_IKS5_S6_EEllS6_.kd
    .uniform_work_group_size: 1
    .uses_dynamic_stack: false
    .vgpr_count:     22
    .vgpr_spill_count: 0
    .wavefront_size: 64
  - .args:
      - .offset:         0
        .size:           416
        .value_kind:     by_value
      - .offset:         416
        .size:           416
        .value_kind:     by_value
      - .offset:         832
        .size:           8
        .value_kind:     by_value
      - .offset:         840
        .size:           8
        .value_kind:     by_value
      - .offset:         848
        .size:           8
        .value_kind:     by_value
      - .offset:         856
        .size:           4
        .value_kind:     hidden_block_count_x
      - .offset:         860
        .size:           4
        .value_kind:     hidden_block_count_y
      - .offset:         864
        .size:           4
        .value_kind:     hidden_block_count_z
      - .offset:         868
        .size:           2
        .value_kind:     hidden_group_size_x
      - .offset:         870
        .size:           2
        .value_kind:     hidden_group_size_y
      - .offset:         872
        .size:           2
        .value_kind:     hidden_group_size_z
      - .offset:         874
        .size:           2
        .value_kind:     hidden_remainder_x
      - .offset:         876
        .size:           2
        .value_kind:     hidden_remainder_y
      - .offset:         878
        .size:           2
        .value_kind:     hidden_remainder_z
      - .offset:         896
        .size:           8
        .value_kind:     hidden_global_offset_x
      - .offset:         904
        .size:           8
        .value_kind:     hidden_global_offset_y
      - .offset:         912
        .size:           8
        .value_kind:     hidden_global_offset_z
      - .offset:         920
        .size:           2
        .value_kind:     hidden_grid_dims
    .group_segment_fixed_size: 0
    .kernarg_segment_align: 8
    .kernarg_segment_size: 1112
    .language:       OpenCL C
    .language_version:
      - 2
      - 0
    .max_flat_workgroup_size: 128
    .name:           _ZN2at6native16triu_tril_kernelIalLb1ELi4ELb1EEEvNS_4cuda6detail10TensorInfoIT_T0_EENS4_IKS5_S6_EEllS6_
    .private_segment_fixed_size: 0
    .sgpr_count:     79
    .sgpr_spill_count: 0
    .symbol:         _ZN2at6native16triu_tril_kernelIalLb1ELi4ELb1EEEvNS_4cuda6detail10TensorInfoIT_T0_EENS4_IKS5_S6_EEllS6_.kd
    .uniform_work_group_size: 1
    .uses_dynamic_stack: false
    .vgpr_count:     28
    .vgpr_spill_count: 0
    .wavefront_size: 64
  - .args:
      - .offset:         0
        .size:           416
        .value_kind:     by_value
      - .offset:         416
        .size:           416
        .value_kind:     by_value
      - .offset:         832
        .size:           8
        .value_kind:     by_value
      - .offset:         840
        .size:           8
        .value_kind:     by_value
      - .offset:         848
        .size:           8
        .value_kind:     by_value
      - .offset:         856
        .size:           4
        .value_kind:     hidden_block_count_x
      - .offset:         860
        .size:           4
        .value_kind:     hidden_block_count_y
      - .offset:         864
        .size:           4
        .value_kind:     hidden_block_count_z
      - .offset:         868
        .size:           2
        .value_kind:     hidden_group_size_x
      - .offset:         870
        .size:           2
        .value_kind:     hidden_group_size_y
      - .offset:         872
        .size:           2
        .value_kind:     hidden_group_size_z
      - .offset:         874
        .size:           2
        .value_kind:     hidden_remainder_x
      - .offset:         876
        .size:           2
        .value_kind:     hidden_remainder_y
      - .offset:         878
        .size:           2
        .value_kind:     hidden_remainder_z
      - .offset:         896
        .size:           8
        .value_kind:     hidden_global_offset_x
      - .offset:         904
        .size:           8
        .value_kind:     hidden_global_offset_y
      - .offset:         912
        .size:           8
        .value_kind:     hidden_global_offset_z
      - .offset:         920
        .size:           2
        .value_kind:     hidden_grid_dims
    .group_segment_fixed_size: 0
    .kernarg_segment_align: 8
    .kernarg_segment_size: 1112
    .language:       OpenCL C
    .language_version:
      - 2
      - 0
    .max_flat_workgroup_size: 128
    .name:           _ZN2at6native16triu_tril_kernelIalLb1ELi4ELb0EEEvNS_4cuda6detail10TensorInfoIT_T0_EENS4_IKS5_S6_EEllS6_
    .private_segment_fixed_size: 0
    .sgpr_count:     85
    .sgpr_spill_count: 0
    .symbol:         _ZN2at6native16triu_tril_kernelIalLb1ELi4ELb0EEEvNS_4cuda6detail10TensorInfoIT_T0_EENS4_IKS5_S6_EEllS6_.kd
    .uniform_work_group_size: 1
    .uses_dynamic_stack: false
    .vgpr_count:     26
    .vgpr_spill_count: 0
    .wavefront_size: 64
  - .args:
      - .offset:         0
        .size:           216
        .value_kind:     by_value
      - .offset:         216
        .size:           216
        .value_kind:     by_value
      - .offset:         432
        .size:           8
        .value_kind:     by_value
      - .offset:         440
        .size:           8
        .value_kind:     by_value
      - .offset:         448
        .size:           4
        .value_kind:     by_value
      - .offset:         456
        .size:           4
        .value_kind:     hidden_block_count_x
      - .offset:         460
        .size:           4
        .value_kind:     hidden_block_count_y
      - .offset:         464
        .size:           4
        .value_kind:     hidden_block_count_z
      - .offset:         468
        .size:           2
        .value_kind:     hidden_group_size_x
      - .offset:         470
        .size:           2
        .value_kind:     hidden_group_size_y
      - .offset:         472
        .size:           2
        .value_kind:     hidden_group_size_z
      - .offset:         474
        .size:           2
        .value_kind:     hidden_remainder_x
      - .offset:         476
        .size:           2
        .value_kind:     hidden_remainder_y
      - .offset:         478
        .size:           2
        .value_kind:     hidden_remainder_z
      - .offset:         496
        .size:           8
        .value_kind:     hidden_global_offset_x
      - .offset:         504
        .size:           8
        .value_kind:     hidden_global_offset_y
      - .offset:         512
        .size:           8
        .value_kind:     hidden_global_offset_z
      - .offset:         520
        .size:           2
        .value_kind:     hidden_grid_dims
    .group_segment_fixed_size: 0
    .kernarg_segment_align: 8
    .kernarg_segment_size: 712
    .language:       OpenCL C
    .language_version:
      - 2
      - 0
    .max_flat_workgroup_size: 128
    .name:           _ZN2at6native16triu_tril_kernelIiiLb1ELi2ELb1EEEvNS_4cuda6detail10TensorInfoIT_T0_EENS4_IKS5_S6_EEllS6_
    .private_segment_fixed_size: 0
    .sgpr_count:     72
    .sgpr_spill_count: 0
    .symbol:         _ZN2at6native16triu_tril_kernelIiiLb1ELi2ELb1EEEvNS_4cuda6detail10TensorInfoIT_T0_EENS4_IKS5_S6_EEllS6_.kd
    .uniform_work_group_size: 1
    .uses_dynamic_stack: false
    .vgpr_count:     28
    .vgpr_spill_count: 0
    .wavefront_size: 64
  - .args:
      - .offset:         0
        .size:           216
        .value_kind:     by_value
      - .offset:         216
        .size:           216
        .value_kind:     by_value
      - .offset:         432
        .size:           8
        .value_kind:     by_value
      - .offset:         440
        .size:           8
        .value_kind:     by_value
      - .offset:         448
        .size:           4
        .value_kind:     by_value
      - .offset:         456
        .size:           4
        .value_kind:     hidden_block_count_x
      - .offset:         460
        .size:           4
        .value_kind:     hidden_block_count_y
      - .offset:         464
        .size:           4
        .value_kind:     hidden_block_count_z
      - .offset:         468
        .size:           2
        .value_kind:     hidden_group_size_x
      - .offset:         470
        .size:           2
        .value_kind:     hidden_group_size_y
      - .offset:         472
        .size:           2
        .value_kind:     hidden_group_size_z
      - .offset:         474
        .size:           2
        .value_kind:     hidden_remainder_x
      - .offset:         476
        .size:           2
        .value_kind:     hidden_remainder_y
      - .offset:         478
        .size:           2
        .value_kind:     hidden_remainder_z
      - .offset:         496
        .size:           8
        .value_kind:     hidden_global_offset_x
      - .offset:         504
        .size:           8
        .value_kind:     hidden_global_offset_y
      - .offset:         512
        .size:           8
        .value_kind:     hidden_global_offset_z
      - .offset:         520
        .size:           2
        .value_kind:     hidden_grid_dims
    .group_segment_fixed_size: 0
    .kernarg_segment_align: 8
    .kernarg_segment_size: 712
    .language:       OpenCL C
    .language_version:
      - 2
      - 0
    .max_flat_workgroup_size: 128
    .name:           _ZN2at6native16triu_tril_kernelIiiLb1ELi2ELb0EEEvNS_4cuda6detail10TensorInfoIT_T0_EENS4_IKS5_S6_EEllS6_
    .private_segment_fixed_size: 0
    .sgpr_count:     71
    .sgpr_spill_count: 0
    .symbol:         _ZN2at6native16triu_tril_kernelIiiLb1ELi2ELb0EEEvNS_4cuda6detail10TensorInfoIT_T0_EENS4_IKS5_S6_EEllS6_.kd
    .uniform_work_group_size: 1
    .uses_dynamic_stack: false
    .vgpr_count:     22
    .vgpr_spill_count: 0
    .wavefront_size: 64
  - .args:
      - .offset:         0
        .size:           416
        .value_kind:     by_value
      - .offset:         416
        .size:           416
        .value_kind:     by_value
      - .offset:         832
        .size:           8
        .value_kind:     by_value
      - .offset:         840
        .size:           8
        .value_kind:     by_value
      - .offset:         848
        .size:           8
        .value_kind:     by_value
      - .offset:         856
        .size:           4
        .value_kind:     hidden_block_count_x
      - .offset:         860
        .size:           4
        .value_kind:     hidden_block_count_y
      - .offset:         864
        .size:           4
        .value_kind:     hidden_block_count_z
      - .offset:         868
        .size:           2
        .value_kind:     hidden_group_size_x
      - .offset:         870
        .size:           2
        .value_kind:     hidden_group_size_y
      - .offset:         872
        .size:           2
        .value_kind:     hidden_group_size_z
      - .offset:         874
        .size:           2
        .value_kind:     hidden_remainder_x
      - .offset:         876
        .size:           2
        .value_kind:     hidden_remainder_y
      - .offset:         878
        .size:           2
        .value_kind:     hidden_remainder_z
      - .offset:         896
        .size:           8
        .value_kind:     hidden_global_offset_x
      - .offset:         904
        .size:           8
        .value_kind:     hidden_global_offset_y
      - .offset:         912
        .size:           8
        .value_kind:     hidden_global_offset_z
      - .offset:         920
        .size:           2
        .value_kind:     hidden_grid_dims
    .group_segment_fixed_size: 0
    .kernarg_segment_align: 8
    .kernarg_segment_size: 1112
    .language:       OpenCL C
    .language_version:
      - 2
      - 0
    .max_flat_workgroup_size: 128
    .name:           _ZN2at6native16triu_tril_kernelIilLb1ELi2ELb1EEEvNS_4cuda6detail10TensorInfoIT_T0_EENS4_IKS5_S6_EEllS6_
    .private_segment_fixed_size: 0
    .sgpr_count:     79
    .sgpr_spill_count: 0
    .symbol:         _ZN2at6native16triu_tril_kernelIilLb1ELi2ELb1EEEvNS_4cuda6detail10TensorInfoIT_T0_EENS4_IKS5_S6_EEllS6_.kd
    .uniform_work_group_size: 1
    .uses_dynamic_stack: false
    .vgpr_count:     28
    .vgpr_spill_count: 0
    .wavefront_size: 64
  - .args:
      - .offset:         0
        .size:           416
        .value_kind:     by_value
      - .offset:         416
        .size:           416
        .value_kind:     by_value
      - .offset:         832
        .size:           8
        .value_kind:     by_value
      - .offset:         840
        .size:           8
        .value_kind:     by_value
      - .offset:         848
        .size:           8
        .value_kind:     by_value
      - .offset:         856
        .size:           4
        .value_kind:     hidden_block_count_x
      - .offset:         860
        .size:           4
        .value_kind:     hidden_block_count_y
      - .offset:         864
        .size:           4
        .value_kind:     hidden_block_count_z
      - .offset:         868
        .size:           2
        .value_kind:     hidden_group_size_x
      - .offset:         870
        .size:           2
        .value_kind:     hidden_group_size_y
      - .offset:         872
        .size:           2
        .value_kind:     hidden_group_size_z
      - .offset:         874
        .size:           2
        .value_kind:     hidden_remainder_x
      - .offset:         876
        .size:           2
        .value_kind:     hidden_remainder_y
      - .offset:         878
        .size:           2
        .value_kind:     hidden_remainder_z
      - .offset:         896
        .size:           8
        .value_kind:     hidden_global_offset_x
      - .offset:         904
        .size:           8
        .value_kind:     hidden_global_offset_y
      - .offset:         912
        .size:           8
        .value_kind:     hidden_global_offset_z
      - .offset:         920
        .size:           2
        .value_kind:     hidden_grid_dims
    .group_segment_fixed_size: 0
    .kernarg_segment_align: 8
    .kernarg_segment_size: 1112
    .language:       OpenCL C
    .language_version:
      - 2
      - 0
    .max_flat_workgroup_size: 128
    .name:           _ZN2at6native16triu_tril_kernelIilLb1ELi2ELb0EEEvNS_4cuda6detail10TensorInfoIT_T0_EENS4_IKS5_S6_EEllS6_
    .private_segment_fixed_size: 0
    .sgpr_count:     77
    .sgpr_spill_count: 0
    .symbol:         _ZN2at6native16triu_tril_kernelIilLb1ELi2ELb0EEEvNS_4cuda6detail10TensorInfoIT_T0_EENS4_IKS5_S6_EEllS6_.kd
    .uniform_work_group_size: 1
    .uses_dynamic_stack: false
    .vgpr_count:     26
    .vgpr_spill_count: 0
    .wavefront_size: 64
  - .args:
      - .offset:         0
        .size:           216
        .value_kind:     by_value
      - .offset:         216
        .size:           216
        .value_kind:     by_value
      - .offset:         432
        .size:           8
        .value_kind:     by_value
      - .offset:         440
        .size:           8
        .value_kind:     by_value
      - .offset:         448
        .size:           4
        .value_kind:     by_value
      - .offset:         456
        .size:           4
        .value_kind:     hidden_block_count_x
      - .offset:         460
        .size:           4
        .value_kind:     hidden_block_count_y
      - .offset:         464
        .size:           4
        .value_kind:     hidden_block_count_z
      - .offset:         468
        .size:           2
        .value_kind:     hidden_group_size_x
      - .offset:         470
        .size:           2
        .value_kind:     hidden_group_size_y
      - .offset:         472
        .size:           2
        .value_kind:     hidden_group_size_z
      - .offset:         474
        .size:           2
        .value_kind:     hidden_remainder_x
      - .offset:         476
        .size:           2
        .value_kind:     hidden_remainder_y
      - .offset:         478
        .size:           2
        .value_kind:     hidden_remainder_z
      - .offset:         496
        .size:           8
        .value_kind:     hidden_global_offset_x
      - .offset:         504
        .size:           8
        .value_kind:     hidden_global_offset_y
      - .offset:         512
        .size:           8
        .value_kind:     hidden_global_offset_z
      - .offset:         520
        .size:           2
        .value_kind:     hidden_grid_dims
    .group_segment_fixed_size: 0
    .kernarg_segment_align: 8
    .kernarg_segment_size: 712
    .language:       OpenCL C
    .language_version:
      - 2
      - 0
    .max_flat_workgroup_size: 128
    .name:           _ZN2at6native16triu_tril_kernelIliLb1ELi2ELb1EEEvNS_4cuda6detail10TensorInfoIT_T0_EENS4_IKS5_S6_EEllS6_
    .private_segment_fixed_size: 0
    .sgpr_count:     72
    .sgpr_spill_count: 0
    .symbol:         _ZN2at6native16triu_tril_kernelIliLb1ELi2ELb1EEEvNS_4cuda6detail10TensorInfoIT_T0_EENS4_IKS5_S6_EEllS6_.kd
    .uniform_work_group_size: 1
    .uses_dynamic_stack: false
    .vgpr_count:     28
    .vgpr_spill_count: 0
    .wavefront_size: 64
  - .args:
      - .offset:         0
        .size:           216
        .value_kind:     by_value
      - .offset:         216
        .size:           216
        .value_kind:     by_value
      - .offset:         432
        .size:           8
        .value_kind:     by_value
      - .offset:         440
        .size:           8
        .value_kind:     by_value
      - .offset:         448
        .size:           4
        .value_kind:     by_value
      - .offset:         456
        .size:           4
        .value_kind:     hidden_block_count_x
      - .offset:         460
        .size:           4
        .value_kind:     hidden_block_count_y
      - .offset:         464
        .size:           4
        .value_kind:     hidden_block_count_z
      - .offset:         468
        .size:           2
        .value_kind:     hidden_group_size_x
      - .offset:         470
        .size:           2
        .value_kind:     hidden_group_size_y
      - .offset:         472
        .size:           2
        .value_kind:     hidden_group_size_z
      - .offset:         474
        .size:           2
        .value_kind:     hidden_remainder_x
      - .offset:         476
        .size:           2
        .value_kind:     hidden_remainder_y
      - .offset:         478
        .size:           2
        .value_kind:     hidden_remainder_z
      - .offset:         496
        .size:           8
        .value_kind:     hidden_global_offset_x
      - .offset:         504
        .size:           8
        .value_kind:     hidden_global_offset_y
      - .offset:         512
        .size:           8
        .value_kind:     hidden_global_offset_z
      - .offset:         520
        .size:           2
        .value_kind:     hidden_grid_dims
    .group_segment_fixed_size: 0
    .kernarg_segment_align: 8
    .kernarg_segment_size: 712
    .language:       OpenCL C
    .language_version:
      - 2
      - 0
    .max_flat_workgroup_size: 128
    .name:           _ZN2at6native16triu_tril_kernelIliLb1ELi2ELb0EEEvNS_4cuda6detail10TensorInfoIT_T0_EENS4_IKS5_S6_EEllS6_
    .private_segment_fixed_size: 0
    .sgpr_count:     71
    .sgpr_spill_count: 0
    .symbol:         _ZN2at6native16triu_tril_kernelIliLb1ELi2ELb0EEEvNS_4cuda6detail10TensorInfoIT_T0_EENS4_IKS5_S6_EEllS6_.kd
    .uniform_work_group_size: 1
    .uses_dynamic_stack: false
    .vgpr_count:     22
    .vgpr_spill_count: 0
    .wavefront_size: 64
  - .args:
      - .offset:         0
        .size:           416
        .value_kind:     by_value
      - .offset:         416
        .size:           416
        .value_kind:     by_value
      - .offset:         832
        .size:           8
        .value_kind:     by_value
      - .offset:         840
        .size:           8
        .value_kind:     by_value
      - .offset:         848
        .size:           8
        .value_kind:     by_value
      - .offset:         856
        .size:           4
        .value_kind:     hidden_block_count_x
      - .offset:         860
        .size:           4
        .value_kind:     hidden_block_count_y
      - .offset:         864
        .size:           4
        .value_kind:     hidden_block_count_z
      - .offset:         868
        .size:           2
        .value_kind:     hidden_group_size_x
      - .offset:         870
        .size:           2
        .value_kind:     hidden_group_size_y
      - .offset:         872
        .size:           2
        .value_kind:     hidden_group_size_z
      - .offset:         874
        .size:           2
        .value_kind:     hidden_remainder_x
      - .offset:         876
        .size:           2
        .value_kind:     hidden_remainder_y
      - .offset:         878
        .size:           2
        .value_kind:     hidden_remainder_z
      - .offset:         896
        .size:           8
        .value_kind:     hidden_global_offset_x
      - .offset:         904
        .size:           8
        .value_kind:     hidden_global_offset_y
      - .offset:         912
        .size:           8
        .value_kind:     hidden_global_offset_z
      - .offset:         920
        .size:           2
        .value_kind:     hidden_grid_dims
    .group_segment_fixed_size: 0
    .kernarg_segment_align: 8
    .kernarg_segment_size: 1112
    .language:       OpenCL C
    .language_version:
      - 2
      - 0
    .max_flat_workgroup_size: 128
    .name:           _ZN2at6native16triu_tril_kernelIllLb1ELi2ELb1EEEvNS_4cuda6detail10TensorInfoIT_T0_EENS4_IKS5_S6_EEllS6_
    .private_segment_fixed_size: 0
    .sgpr_count:     79
    .sgpr_spill_count: 0
    .symbol:         _ZN2at6native16triu_tril_kernelIllLb1ELi2ELb1EEEvNS_4cuda6detail10TensorInfoIT_T0_EENS4_IKS5_S6_EEllS6_.kd
    .uniform_work_group_size: 1
    .uses_dynamic_stack: false
    .vgpr_count:     28
    .vgpr_spill_count: 0
    .wavefront_size: 64
  - .args:
      - .offset:         0
        .size:           416
        .value_kind:     by_value
      - .offset:         416
        .size:           416
        .value_kind:     by_value
      - .offset:         832
        .size:           8
        .value_kind:     by_value
      - .offset:         840
        .size:           8
        .value_kind:     by_value
      - .offset:         848
        .size:           8
        .value_kind:     by_value
      - .offset:         856
        .size:           4
        .value_kind:     hidden_block_count_x
      - .offset:         860
        .size:           4
        .value_kind:     hidden_block_count_y
      - .offset:         864
        .size:           4
        .value_kind:     hidden_block_count_z
      - .offset:         868
        .size:           2
        .value_kind:     hidden_group_size_x
      - .offset:         870
        .size:           2
        .value_kind:     hidden_group_size_y
      - .offset:         872
        .size:           2
        .value_kind:     hidden_group_size_z
      - .offset:         874
        .size:           2
        .value_kind:     hidden_remainder_x
      - .offset:         876
        .size:           2
        .value_kind:     hidden_remainder_y
      - .offset:         878
        .size:           2
        .value_kind:     hidden_remainder_z
      - .offset:         896
        .size:           8
        .value_kind:     hidden_global_offset_x
      - .offset:         904
        .size:           8
        .value_kind:     hidden_global_offset_y
      - .offset:         912
        .size:           8
        .value_kind:     hidden_global_offset_z
      - .offset:         920
        .size:           2
        .value_kind:     hidden_grid_dims
    .group_segment_fixed_size: 0
    .kernarg_segment_align: 8
    .kernarg_segment_size: 1112
    .language:       OpenCL C
    .language_version:
      - 2
      - 0
    .max_flat_workgroup_size: 128
    .name:           _ZN2at6native16triu_tril_kernelIllLb1ELi2ELb0EEEvNS_4cuda6detail10TensorInfoIT_T0_EENS4_IKS5_S6_EEllS6_
    .private_segment_fixed_size: 0
    .sgpr_count:     77
    .sgpr_spill_count: 0
    .symbol:         _ZN2at6native16triu_tril_kernelIllLb1ELi2ELb0EEEvNS_4cuda6detail10TensorInfoIT_T0_EENS4_IKS5_S6_EEllS6_.kd
    .uniform_work_group_size: 1
    .uses_dynamic_stack: false
    .vgpr_count:     26
    .vgpr_spill_count: 0
    .wavefront_size: 64
  - .args:
      - .offset:         0
        .size:           216
        .value_kind:     by_value
      - .offset:         216
        .size:           216
        .value_kind:     by_value
      - .offset:         432
        .size:           8
        .value_kind:     by_value
      - .offset:         440
        .size:           8
        .value_kind:     by_value
      - .offset:         448
        .size:           4
        .value_kind:     by_value
      - .offset:         456
        .size:           4
        .value_kind:     hidden_block_count_x
      - .offset:         460
        .size:           4
        .value_kind:     hidden_block_count_y
      - .offset:         464
        .size:           4
        .value_kind:     hidden_block_count_z
      - .offset:         468
        .size:           2
        .value_kind:     hidden_group_size_x
      - .offset:         470
        .size:           2
        .value_kind:     hidden_group_size_y
      - .offset:         472
        .size:           2
        .value_kind:     hidden_group_size_z
      - .offset:         474
        .size:           2
        .value_kind:     hidden_remainder_x
      - .offset:         476
        .size:           2
        .value_kind:     hidden_remainder_y
      - .offset:         478
        .size:           2
        .value_kind:     hidden_remainder_z
      - .offset:         496
        .size:           8
        .value_kind:     hidden_global_offset_x
      - .offset:         504
        .size:           8
        .value_kind:     hidden_global_offset_y
      - .offset:         512
        .size:           8
        .value_kind:     hidden_global_offset_z
      - .offset:         520
        .size:           2
        .value_kind:     hidden_grid_dims
    .group_segment_fixed_size: 0
    .kernarg_segment_align: 8
    .kernarg_segment_size: 712
    .language:       OpenCL C
    .language_version:
      - 2
      - 0
    .max_flat_workgroup_size: 128
    .name:           _ZN2at6native16triu_tril_kernelIsiLb1ELi4ELb1EEEvNS_4cuda6detail10TensorInfoIT_T0_EENS4_IKS5_S6_EEllS6_
    .private_segment_fixed_size: 0
    .sgpr_count:     72
    .sgpr_spill_count: 0
    .symbol:         _ZN2at6native16triu_tril_kernelIsiLb1ELi4ELb1EEEvNS_4cuda6detail10TensorInfoIT_T0_EENS4_IKS5_S6_EEllS6_.kd
    .uniform_work_group_size: 1
    .uses_dynamic_stack: false
    .vgpr_count:     28
    .vgpr_spill_count: 0
    .wavefront_size: 64
  - .args:
      - .offset:         0
        .size:           216
        .value_kind:     by_value
      - .offset:         216
        .size:           216
        .value_kind:     by_value
      - .offset:         432
        .size:           8
        .value_kind:     by_value
      - .offset:         440
        .size:           8
        .value_kind:     by_value
      - .offset:         448
        .size:           4
        .value_kind:     by_value
      - .offset:         456
        .size:           4
        .value_kind:     hidden_block_count_x
      - .offset:         460
        .size:           4
        .value_kind:     hidden_block_count_y
      - .offset:         464
        .size:           4
        .value_kind:     hidden_block_count_z
      - .offset:         468
        .size:           2
        .value_kind:     hidden_group_size_x
      - .offset:         470
        .size:           2
        .value_kind:     hidden_group_size_y
      - .offset:         472
        .size:           2
        .value_kind:     hidden_group_size_z
      - .offset:         474
        .size:           2
        .value_kind:     hidden_remainder_x
      - .offset:         476
        .size:           2
        .value_kind:     hidden_remainder_y
      - .offset:         478
        .size:           2
        .value_kind:     hidden_remainder_z
      - .offset:         496
        .size:           8
        .value_kind:     hidden_global_offset_x
      - .offset:         504
        .size:           8
        .value_kind:     hidden_global_offset_y
      - .offset:         512
        .size:           8
        .value_kind:     hidden_global_offset_z
      - .offset:         520
        .size:           2
        .value_kind:     hidden_grid_dims
    .group_segment_fixed_size: 0
    .kernarg_segment_align: 8
    .kernarg_segment_size: 712
    .language:       OpenCL C
    .language_version:
      - 2
      - 0
    .max_flat_workgroup_size: 128
    .name:           _ZN2at6native16triu_tril_kernelIsiLb1ELi4ELb0EEEvNS_4cuda6detail10TensorInfoIT_T0_EENS4_IKS5_S6_EEllS6_
    .private_segment_fixed_size: 0
    .sgpr_count:     82
    .sgpr_spill_count: 0
    .symbol:         _ZN2at6native16triu_tril_kernelIsiLb1ELi4ELb0EEEvNS_4cuda6detail10TensorInfoIT_T0_EENS4_IKS5_S6_EEllS6_.kd
    .uniform_work_group_size: 1
    .uses_dynamic_stack: false
    .vgpr_count:     22
    .vgpr_spill_count: 0
    .wavefront_size: 64
  - .args:
      - .offset:         0
        .size:           416
        .value_kind:     by_value
      - .offset:         416
        .size:           416
        .value_kind:     by_value
      - .offset:         832
        .size:           8
        .value_kind:     by_value
      - .offset:         840
        .size:           8
        .value_kind:     by_value
      - .offset:         848
        .size:           8
        .value_kind:     by_value
      - .offset:         856
        .size:           4
        .value_kind:     hidden_block_count_x
      - .offset:         860
        .size:           4
        .value_kind:     hidden_block_count_y
      - .offset:         864
        .size:           4
        .value_kind:     hidden_block_count_z
      - .offset:         868
        .size:           2
        .value_kind:     hidden_group_size_x
      - .offset:         870
        .size:           2
        .value_kind:     hidden_group_size_y
      - .offset:         872
        .size:           2
        .value_kind:     hidden_group_size_z
      - .offset:         874
        .size:           2
        .value_kind:     hidden_remainder_x
      - .offset:         876
        .size:           2
        .value_kind:     hidden_remainder_y
      - .offset:         878
        .size:           2
        .value_kind:     hidden_remainder_z
      - .offset:         896
        .size:           8
        .value_kind:     hidden_global_offset_x
      - .offset:         904
        .size:           8
        .value_kind:     hidden_global_offset_y
      - .offset:         912
        .size:           8
        .value_kind:     hidden_global_offset_z
      - .offset:         920
        .size:           2
        .value_kind:     hidden_grid_dims
    .group_segment_fixed_size: 0
    .kernarg_segment_align: 8
    .kernarg_segment_size: 1112
    .language:       OpenCL C
    .language_version:
      - 2
      - 0
    .max_flat_workgroup_size: 128
    .name:           _ZN2at6native16triu_tril_kernelIslLb1ELi4ELb1EEEvNS_4cuda6detail10TensorInfoIT_T0_EENS4_IKS5_S6_EEllS6_
    .private_segment_fixed_size: 0
    .sgpr_count:     79
    .sgpr_spill_count: 0
    .symbol:         _ZN2at6native16triu_tril_kernelIslLb1ELi4ELb1EEEvNS_4cuda6detail10TensorInfoIT_T0_EENS4_IKS5_S6_EEllS6_.kd
    .uniform_work_group_size: 1
    .uses_dynamic_stack: false
    .vgpr_count:     28
    .vgpr_spill_count: 0
    .wavefront_size: 64
  - .args:
      - .offset:         0
        .size:           416
        .value_kind:     by_value
      - .offset:         416
        .size:           416
        .value_kind:     by_value
      - .offset:         832
        .size:           8
        .value_kind:     by_value
      - .offset:         840
        .size:           8
        .value_kind:     by_value
      - .offset:         848
        .size:           8
        .value_kind:     by_value
      - .offset:         856
        .size:           4
        .value_kind:     hidden_block_count_x
      - .offset:         860
        .size:           4
        .value_kind:     hidden_block_count_y
      - .offset:         864
        .size:           4
        .value_kind:     hidden_block_count_z
      - .offset:         868
        .size:           2
        .value_kind:     hidden_group_size_x
      - .offset:         870
        .size:           2
        .value_kind:     hidden_group_size_y
      - .offset:         872
        .size:           2
        .value_kind:     hidden_group_size_z
      - .offset:         874
        .size:           2
        .value_kind:     hidden_remainder_x
      - .offset:         876
        .size:           2
        .value_kind:     hidden_remainder_y
      - .offset:         878
        .size:           2
        .value_kind:     hidden_remainder_z
      - .offset:         896
        .size:           8
        .value_kind:     hidden_global_offset_x
      - .offset:         904
        .size:           8
        .value_kind:     hidden_global_offset_y
      - .offset:         912
        .size:           8
        .value_kind:     hidden_global_offset_z
      - .offset:         920
        .size:           2
        .value_kind:     hidden_grid_dims
    .group_segment_fixed_size: 0
    .kernarg_segment_align: 8
    .kernarg_segment_size: 1112
    .language:       OpenCL C
    .language_version:
      - 2
      - 0
    .max_flat_workgroup_size: 128
    .name:           _ZN2at6native16triu_tril_kernelIslLb1ELi4ELb0EEEvNS_4cuda6detail10TensorInfoIT_T0_EENS4_IKS5_S6_EEllS6_
    .private_segment_fixed_size: 0
    .sgpr_count:     95
    .sgpr_spill_count: 0
    .symbol:         _ZN2at6native16triu_tril_kernelIslLb1ELi4ELb0EEEvNS_4cuda6detail10TensorInfoIT_T0_EENS4_IKS5_S6_EEllS6_.kd
    .uniform_work_group_size: 1
    .uses_dynamic_stack: false
    .vgpr_count:     26
    .vgpr_spill_count: 0
    .wavefront_size: 64
  - .args:
      - .offset:         0
        .size:           216
        .value_kind:     by_value
      - .offset:         216
        .size:           216
        .value_kind:     by_value
      - .offset:         432
        .size:           8
        .value_kind:     by_value
      - .offset:         440
        .size:           8
        .value_kind:     by_value
      - .offset:         448
        .size:           4
        .value_kind:     by_value
      - .offset:         456
        .size:           4
        .value_kind:     hidden_block_count_x
      - .offset:         460
        .size:           4
        .value_kind:     hidden_block_count_y
      - .offset:         464
        .size:           4
        .value_kind:     hidden_block_count_z
      - .offset:         468
        .size:           2
        .value_kind:     hidden_group_size_x
      - .offset:         470
        .size:           2
        .value_kind:     hidden_group_size_y
      - .offset:         472
        .size:           2
        .value_kind:     hidden_group_size_z
      - .offset:         474
        .size:           2
        .value_kind:     hidden_remainder_x
      - .offset:         476
        .size:           2
        .value_kind:     hidden_remainder_y
      - .offset:         478
        .size:           2
        .value_kind:     hidden_remainder_z
      - .offset:         496
        .size:           8
        .value_kind:     hidden_global_offset_x
      - .offset:         504
        .size:           8
        .value_kind:     hidden_global_offset_y
      - .offset:         512
        .size:           8
        .value_kind:     hidden_global_offset_z
      - .offset:         520
        .size:           2
        .value_kind:     hidden_grid_dims
    .group_segment_fixed_size: 0
    .kernarg_segment_align: 8
    .kernarg_segment_size: 712
    .language:       OpenCL C
    .language_version:
      - 2
      - 0
    .max_flat_workgroup_size: 128
    .name:           _ZN2at6native16triu_tril_kernelIdiLb1ELi2ELb1EEEvNS_4cuda6detail10TensorInfoIT_T0_EENS4_IKS5_S6_EEllS6_
    .private_segment_fixed_size: 0
    .sgpr_count:     72
    .sgpr_spill_count: 0
    .symbol:         _ZN2at6native16triu_tril_kernelIdiLb1ELi2ELb1EEEvNS_4cuda6detail10TensorInfoIT_T0_EENS4_IKS5_S6_EEllS6_.kd
    .uniform_work_group_size: 1
    .uses_dynamic_stack: false
    .vgpr_count:     28
    .vgpr_spill_count: 0
    .wavefront_size: 64
  - .args:
      - .offset:         0
        .size:           216
        .value_kind:     by_value
      - .offset:         216
        .size:           216
        .value_kind:     by_value
      - .offset:         432
        .size:           8
        .value_kind:     by_value
      - .offset:         440
        .size:           8
        .value_kind:     by_value
      - .offset:         448
        .size:           4
        .value_kind:     by_value
      - .offset:         456
        .size:           4
        .value_kind:     hidden_block_count_x
      - .offset:         460
        .size:           4
        .value_kind:     hidden_block_count_y
      - .offset:         464
        .size:           4
        .value_kind:     hidden_block_count_z
      - .offset:         468
        .size:           2
        .value_kind:     hidden_group_size_x
      - .offset:         470
        .size:           2
        .value_kind:     hidden_group_size_y
      - .offset:         472
        .size:           2
        .value_kind:     hidden_group_size_z
      - .offset:         474
        .size:           2
        .value_kind:     hidden_remainder_x
      - .offset:         476
        .size:           2
        .value_kind:     hidden_remainder_y
      - .offset:         478
        .size:           2
        .value_kind:     hidden_remainder_z
      - .offset:         496
        .size:           8
        .value_kind:     hidden_global_offset_x
      - .offset:         504
        .size:           8
        .value_kind:     hidden_global_offset_y
      - .offset:         512
        .size:           8
        .value_kind:     hidden_global_offset_z
      - .offset:         520
        .size:           2
        .value_kind:     hidden_grid_dims
    .group_segment_fixed_size: 0
    .kernarg_segment_align: 8
    .kernarg_segment_size: 712
    .language:       OpenCL C
    .language_version:
      - 2
      - 0
    .max_flat_workgroup_size: 128
    .name:           _ZN2at6native16triu_tril_kernelIdiLb1ELi2ELb0EEEvNS_4cuda6detail10TensorInfoIT_T0_EENS4_IKS5_S6_EEllS6_
    .private_segment_fixed_size: 0
    .sgpr_count:     71
    .sgpr_spill_count: 0
    .symbol:         _ZN2at6native16triu_tril_kernelIdiLb1ELi2ELb0EEEvNS_4cuda6detail10TensorInfoIT_T0_EENS4_IKS5_S6_EEllS6_.kd
    .uniform_work_group_size: 1
    .uses_dynamic_stack: false
    .vgpr_count:     22
    .vgpr_spill_count: 0
    .wavefront_size: 64
  - .args:
      - .offset:         0
        .size:           416
        .value_kind:     by_value
      - .offset:         416
        .size:           416
        .value_kind:     by_value
      - .offset:         832
        .size:           8
        .value_kind:     by_value
      - .offset:         840
        .size:           8
        .value_kind:     by_value
      - .offset:         848
        .size:           8
        .value_kind:     by_value
      - .offset:         856
        .size:           4
        .value_kind:     hidden_block_count_x
      - .offset:         860
        .size:           4
        .value_kind:     hidden_block_count_y
      - .offset:         864
        .size:           4
        .value_kind:     hidden_block_count_z
      - .offset:         868
        .size:           2
        .value_kind:     hidden_group_size_x
      - .offset:         870
        .size:           2
        .value_kind:     hidden_group_size_y
      - .offset:         872
        .size:           2
        .value_kind:     hidden_group_size_z
      - .offset:         874
        .size:           2
        .value_kind:     hidden_remainder_x
      - .offset:         876
        .size:           2
        .value_kind:     hidden_remainder_y
      - .offset:         878
        .size:           2
        .value_kind:     hidden_remainder_z
      - .offset:         896
        .size:           8
        .value_kind:     hidden_global_offset_x
      - .offset:         904
        .size:           8
        .value_kind:     hidden_global_offset_y
      - .offset:         912
        .size:           8
        .value_kind:     hidden_global_offset_z
      - .offset:         920
        .size:           2
        .value_kind:     hidden_grid_dims
    .group_segment_fixed_size: 0
    .kernarg_segment_align: 8
    .kernarg_segment_size: 1112
    .language:       OpenCL C
    .language_version:
      - 2
      - 0
    .max_flat_workgroup_size: 128
    .name:           _ZN2at6native16triu_tril_kernelIdlLb1ELi2ELb1EEEvNS_4cuda6detail10TensorInfoIT_T0_EENS4_IKS5_S6_EEllS6_
    .private_segment_fixed_size: 0
    .sgpr_count:     79
    .sgpr_spill_count: 0
    .symbol:         _ZN2at6native16triu_tril_kernelIdlLb1ELi2ELb1EEEvNS_4cuda6detail10TensorInfoIT_T0_EENS4_IKS5_S6_EEllS6_.kd
    .uniform_work_group_size: 1
    .uses_dynamic_stack: false
    .vgpr_count:     28
    .vgpr_spill_count: 0
    .wavefront_size: 64
  - .args:
      - .offset:         0
        .size:           416
        .value_kind:     by_value
      - .offset:         416
        .size:           416
        .value_kind:     by_value
      - .offset:         832
        .size:           8
        .value_kind:     by_value
      - .offset:         840
        .size:           8
        .value_kind:     by_value
      - .offset:         848
        .size:           8
        .value_kind:     by_value
      - .offset:         856
        .size:           4
        .value_kind:     hidden_block_count_x
      - .offset:         860
        .size:           4
        .value_kind:     hidden_block_count_y
      - .offset:         864
        .size:           4
        .value_kind:     hidden_block_count_z
      - .offset:         868
        .size:           2
        .value_kind:     hidden_group_size_x
      - .offset:         870
        .size:           2
        .value_kind:     hidden_group_size_y
      - .offset:         872
        .size:           2
        .value_kind:     hidden_group_size_z
      - .offset:         874
        .size:           2
        .value_kind:     hidden_remainder_x
      - .offset:         876
        .size:           2
        .value_kind:     hidden_remainder_y
      - .offset:         878
        .size:           2
        .value_kind:     hidden_remainder_z
      - .offset:         896
        .size:           8
        .value_kind:     hidden_global_offset_x
      - .offset:         904
        .size:           8
        .value_kind:     hidden_global_offset_y
      - .offset:         912
        .size:           8
        .value_kind:     hidden_global_offset_z
      - .offset:         920
        .size:           2
        .value_kind:     hidden_grid_dims
    .group_segment_fixed_size: 0
    .kernarg_segment_align: 8
    .kernarg_segment_size: 1112
    .language:       OpenCL C
    .language_version:
      - 2
      - 0
    .max_flat_workgroup_size: 128
    .name:           _ZN2at6native16triu_tril_kernelIdlLb1ELi2ELb0EEEvNS_4cuda6detail10TensorInfoIT_T0_EENS4_IKS5_S6_EEllS6_
    .private_segment_fixed_size: 0
    .sgpr_count:     77
    .sgpr_spill_count: 0
    .symbol:         _ZN2at6native16triu_tril_kernelIdlLb1ELi2ELb0EEEvNS_4cuda6detail10TensorInfoIT_T0_EENS4_IKS5_S6_EEllS6_.kd
    .uniform_work_group_size: 1
    .uses_dynamic_stack: false
    .vgpr_count:     26
    .vgpr_spill_count: 0
    .wavefront_size: 64
  - .args:
      - .offset:         0
        .size:           216
        .value_kind:     by_value
      - .offset:         216
        .size:           216
        .value_kind:     by_value
      - .offset:         432
        .size:           8
        .value_kind:     by_value
      - .offset:         440
        .size:           8
        .value_kind:     by_value
      - .offset:         448
        .size:           4
        .value_kind:     by_value
      - .offset:         456
        .size:           4
        .value_kind:     hidden_block_count_x
      - .offset:         460
        .size:           4
        .value_kind:     hidden_block_count_y
      - .offset:         464
        .size:           4
        .value_kind:     hidden_block_count_z
      - .offset:         468
        .size:           2
        .value_kind:     hidden_group_size_x
      - .offset:         470
        .size:           2
        .value_kind:     hidden_group_size_y
      - .offset:         472
        .size:           2
        .value_kind:     hidden_group_size_z
      - .offset:         474
        .size:           2
        .value_kind:     hidden_remainder_x
      - .offset:         476
        .size:           2
        .value_kind:     hidden_remainder_y
      - .offset:         478
        .size:           2
        .value_kind:     hidden_remainder_z
      - .offset:         496
        .size:           8
        .value_kind:     hidden_global_offset_x
      - .offset:         504
        .size:           8
        .value_kind:     hidden_global_offset_y
      - .offset:         512
        .size:           8
        .value_kind:     hidden_global_offset_z
      - .offset:         520
        .size:           2
        .value_kind:     hidden_grid_dims
    .group_segment_fixed_size: 0
    .kernarg_segment_align: 8
    .kernarg_segment_size: 712
    .language:       OpenCL C
    .language_version:
      - 2
      - 0
    .max_flat_workgroup_size: 128
    .name:           _ZN2at6native16triu_tril_kernelIfiLb1ELi2ELb1EEEvNS_4cuda6detail10TensorInfoIT_T0_EENS4_IKS5_S6_EEllS6_
    .private_segment_fixed_size: 0
    .sgpr_count:     72
    .sgpr_spill_count: 0
    .symbol:         _ZN2at6native16triu_tril_kernelIfiLb1ELi2ELb1EEEvNS_4cuda6detail10TensorInfoIT_T0_EENS4_IKS5_S6_EEllS6_.kd
    .uniform_work_group_size: 1
    .uses_dynamic_stack: false
    .vgpr_count:     28
    .vgpr_spill_count: 0
    .wavefront_size: 64
  - .args:
      - .offset:         0
        .size:           216
        .value_kind:     by_value
      - .offset:         216
        .size:           216
        .value_kind:     by_value
      - .offset:         432
        .size:           8
        .value_kind:     by_value
      - .offset:         440
        .size:           8
        .value_kind:     by_value
      - .offset:         448
        .size:           4
        .value_kind:     by_value
      - .offset:         456
        .size:           4
        .value_kind:     hidden_block_count_x
      - .offset:         460
        .size:           4
        .value_kind:     hidden_block_count_y
      - .offset:         464
        .size:           4
        .value_kind:     hidden_block_count_z
      - .offset:         468
        .size:           2
        .value_kind:     hidden_group_size_x
      - .offset:         470
        .size:           2
        .value_kind:     hidden_group_size_y
      - .offset:         472
        .size:           2
        .value_kind:     hidden_group_size_z
      - .offset:         474
        .size:           2
        .value_kind:     hidden_remainder_x
      - .offset:         476
        .size:           2
        .value_kind:     hidden_remainder_y
      - .offset:         478
        .size:           2
        .value_kind:     hidden_remainder_z
      - .offset:         496
        .size:           8
        .value_kind:     hidden_global_offset_x
      - .offset:         504
        .size:           8
        .value_kind:     hidden_global_offset_y
      - .offset:         512
        .size:           8
        .value_kind:     hidden_global_offset_z
      - .offset:         520
        .size:           2
        .value_kind:     hidden_grid_dims
    .group_segment_fixed_size: 0
    .kernarg_segment_align: 8
    .kernarg_segment_size: 712
    .language:       OpenCL C
    .language_version:
      - 2
      - 0
    .max_flat_workgroup_size: 128
    .name:           _ZN2at6native16triu_tril_kernelIfiLb1ELi2ELb0EEEvNS_4cuda6detail10TensorInfoIT_T0_EENS4_IKS5_S6_EEllS6_
    .private_segment_fixed_size: 0
    .sgpr_count:     71
    .sgpr_spill_count: 0
    .symbol:         _ZN2at6native16triu_tril_kernelIfiLb1ELi2ELb0EEEvNS_4cuda6detail10TensorInfoIT_T0_EENS4_IKS5_S6_EEllS6_.kd
    .uniform_work_group_size: 1
    .uses_dynamic_stack: false
    .vgpr_count:     22
    .vgpr_spill_count: 0
    .wavefront_size: 64
  - .args:
      - .offset:         0
        .size:           416
        .value_kind:     by_value
      - .offset:         416
        .size:           416
        .value_kind:     by_value
      - .offset:         832
        .size:           8
        .value_kind:     by_value
      - .offset:         840
        .size:           8
        .value_kind:     by_value
      - .offset:         848
        .size:           8
        .value_kind:     by_value
      - .offset:         856
        .size:           4
        .value_kind:     hidden_block_count_x
      - .offset:         860
        .size:           4
        .value_kind:     hidden_block_count_y
      - .offset:         864
        .size:           4
        .value_kind:     hidden_block_count_z
      - .offset:         868
        .size:           2
        .value_kind:     hidden_group_size_x
      - .offset:         870
        .size:           2
        .value_kind:     hidden_group_size_y
      - .offset:         872
        .size:           2
        .value_kind:     hidden_group_size_z
      - .offset:         874
        .size:           2
        .value_kind:     hidden_remainder_x
      - .offset:         876
        .size:           2
        .value_kind:     hidden_remainder_y
      - .offset:         878
        .size:           2
        .value_kind:     hidden_remainder_z
      - .offset:         896
        .size:           8
        .value_kind:     hidden_global_offset_x
      - .offset:         904
        .size:           8
        .value_kind:     hidden_global_offset_y
      - .offset:         912
        .size:           8
        .value_kind:     hidden_global_offset_z
      - .offset:         920
        .size:           2
        .value_kind:     hidden_grid_dims
    .group_segment_fixed_size: 0
    .kernarg_segment_align: 8
    .kernarg_segment_size: 1112
    .language:       OpenCL C
    .language_version:
      - 2
      - 0
    .max_flat_workgroup_size: 128
    .name:           _ZN2at6native16triu_tril_kernelIflLb1ELi2ELb1EEEvNS_4cuda6detail10TensorInfoIT_T0_EENS4_IKS5_S6_EEllS6_
    .private_segment_fixed_size: 0
    .sgpr_count:     79
    .sgpr_spill_count: 0
    .symbol:         _ZN2at6native16triu_tril_kernelIflLb1ELi2ELb1EEEvNS_4cuda6detail10TensorInfoIT_T0_EENS4_IKS5_S6_EEllS6_.kd
    .uniform_work_group_size: 1
    .uses_dynamic_stack: false
    .vgpr_count:     28
    .vgpr_spill_count: 0
    .wavefront_size: 64
  - .args:
      - .offset:         0
        .size:           416
        .value_kind:     by_value
      - .offset:         416
        .size:           416
        .value_kind:     by_value
      - .offset:         832
        .size:           8
        .value_kind:     by_value
      - .offset:         840
        .size:           8
        .value_kind:     by_value
      - .offset:         848
        .size:           8
        .value_kind:     by_value
      - .offset:         856
        .size:           4
        .value_kind:     hidden_block_count_x
      - .offset:         860
        .size:           4
        .value_kind:     hidden_block_count_y
      - .offset:         864
        .size:           4
        .value_kind:     hidden_block_count_z
      - .offset:         868
        .size:           2
        .value_kind:     hidden_group_size_x
      - .offset:         870
        .size:           2
        .value_kind:     hidden_group_size_y
      - .offset:         872
        .size:           2
        .value_kind:     hidden_group_size_z
      - .offset:         874
        .size:           2
        .value_kind:     hidden_remainder_x
      - .offset:         876
        .size:           2
        .value_kind:     hidden_remainder_y
      - .offset:         878
        .size:           2
        .value_kind:     hidden_remainder_z
      - .offset:         896
        .size:           8
        .value_kind:     hidden_global_offset_x
      - .offset:         904
        .size:           8
        .value_kind:     hidden_global_offset_y
      - .offset:         912
        .size:           8
        .value_kind:     hidden_global_offset_z
      - .offset:         920
        .size:           2
        .value_kind:     hidden_grid_dims
    .group_segment_fixed_size: 0
    .kernarg_segment_align: 8
    .kernarg_segment_size: 1112
    .language:       OpenCL C
    .language_version:
      - 2
      - 0
    .max_flat_workgroup_size: 128
    .name:           _ZN2at6native16triu_tril_kernelIflLb1ELi2ELb0EEEvNS_4cuda6detail10TensorInfoIT_T0_EENS4_IKS5_S6_EEllS6_
    .private_segment_fixed_size: 0
    .sgpr_count:     77
    .sgpr_spill_count: 0
    .symbol:         _ZN2at6native16triu_tril_kernelIflLb1ELi2ELb0EEEvNS_4cuda6detail10TensorInfoIT_T0_EENS4_IKS5_S6_EEllS6_.kd
    .uniform_work_group_size: 1
    .uses_dynamic_stack: false
    .vgpr_count:     26
    .vgpr_spill_count: 0
    .wavefront_size: 64
  - .args:
      - .offset:         0
        .size:           216
        .value_kind:     by_value
      - .offset:         216
        .size:           216
        .value_kind:     by_value
      - .offset:         432
        .size:           8
        .value_kind:     by_value
      - .offset:         440
        .size:           8
        .value_kind:     by_value
      - .offset:         448
        .size:           4
        .value_kind:     by_value
      - .offset:         456
        .size:           4
        .value_kind:     hidden_block_count_x
      - .offset:         460
        .size:           4
        .value_kind:     hidden_block_count_y
      - .offset:         464
        .size:           4
        .value_kind:     hidden_block_count_z
      - .offset:         468
        .size:           2
        .value_kind:     hidden_group_size_x
      - .offset:         470
        .size:           2
        .value_kind:     hidden_group_size_y
      - .offset:         472
        .size:           2
        .value_kind:     hidden_group_size_z
      - .offset:         474
        .size:           2
        .value_kind:     hidden_remainder_x
      - .offset:         476
        .size:           2
        .value_kind:     hidden_remainder_y
      - .offset:         478
        .size:           2
        .value_kind:     hidden_remainder_z
      - .offset:         496
        .size:           8
        .value_kind:     hidden_global_offset_x
      - .offset:         504
        .size:           8
        .value_kind:     hidden_global_offset_y
      - .offset:         512
        .size:           8
        .value_kind:     hidden_global_offset_z
      - .offset:         520
        .size:           2
        .value_kind:     hidden_grid_dims
    .group_segment_fixed_size: 0
    .kernarg_segment_align: 8
    .kernarg_segment_size: 712
    .language:       OpenCL C
    .language_version:
      - 2
      - 0
    .max_flat_workgroup_size: 128
    .name:           _ZN2at6native16triu_tril_kernelIN3c107complexIdEEiLb1ELi1ELb1EEEvNS_4cuda6detail10TensorInfoIT_T0_EENS7_IKS8_S9_EEllS9_
    .private_segment_fixed_size: 0
    .sgpr_count:     71
    .sgpr_spill_count: 0
    .symbol:         _ZN2at6native16triu_tril_kernelIN3c107complexIdEEiLb1ELi1ELb1EEEvNS_4cuda6detail10TensorInfoIT_T0_EENS7_IKS8_S9_EEllS9_.kd
    .uniform_work_group_size: 1
    .uses_dynamic_stack: false
    .vgpr_count:     27
    .vgpr_spill_count: 0
    .wavefront_size: 64
  - .args:
      - .offset:         0
        .size:           216
        .value_kind:     by_value
      - .offset:         216
        .size:           216
        .value_kind:     by_value
      - .offset:         432
        .size:           8
        .value_kind:     by_value
      - .offset:         440
        .size:           8
        .value_kind:     by_value
      - .offset:         448
        .size:           4
        .value_kind:     by_value
      - .offset:         456
        .size:           4
        .value_kind:     hidden_block_count_x
      - .offset:         460
        .size:           4
        .value_kind:     hidden_block_count_y
      - .offset:         464
        .size:           4
        .value_kind:     hidden_block_count_z
      - .offset:         468
        .size:           2
        .value_kind:     hidden_group_size_x
      - .offset:         470
        .size:           2
        .value_kind:     hidden_group_size_y
      - .offset:         472
        .size:           2
        .value_kind:     hidden_group_size_z
      - .offset:         474
        .size:           2
        .value_kind:     hidden_remainder_x
      - .offset:         476
        .size:           2
        .value_kind:     hidden_remainder_y
      - .offset:         478
        .size:           2
        .value_kind:     hidden_remainder_z
      - .offset:         496
        .size:           8
        .value_kind:     hidden_global_offset_x
      - .offset:         504
        .size:           8
        .value_kind:     hidden_global_offset_y
      - .offset:         512
        .size:           8
        .value_kind:     hidden_global_offset_z
      - .offset:         520
        .size:           2
        .value_kind:     hidden_grid_dims
    .group_segment_fixed_size: 0
    .kernarg_segment_align: 8
    .kernarg_segment_size: 712
    .language:       OpenCL C
    .language_version:
      - 2
      - 0
    .max_flat_workgroup_size: 128
    .name:           _ZN2at6native16triu_tril_kernelIN3c107complexIdEEiLb1ELi1ELb0EEEvNS_4cuda6detail10TensorInfoIT_T0_EENS7_IKS8_S9_EEllS9_
    .private_segment_fixed_size: 0
    .sgpr_count:     69
    .sgpr_spill_count: 0
    .symbol:         _ZN2at6native16triu_tril_kernelIN3c107complexIdEEiLb1ELi1ELb0EEEvNS_4cuda6detail10TensorInfoIT_T0_EENS7_IKS8_S9_EEllS9_.kd
    .uniform_work_group_size: 1
    .uses_dynamic_stack: false
    .vgpr_count:     22
    .vgpr_spill_count: 0
    .wavefront_size: 64
  - .args:
      - .offset:         0
        .size:           416
        .value_kind:     by_value
      - .offset:         416
        .size:           416
        .value_kind:     by_value
      - .offset:         832
        .size:           8
        .value_kind:     by_value
      - .offset:         840
        .size:           8
        .value_kind:     by_value
      - .offset:         848
        .size:           8
        .value_kind:     by_value
      - .offset:         856
        .size:           4
        .value_kind:     hidden_block_count_x
      - .offset:         860
        .size:           4
        .value_kind:     hidden_block_count_y
      - .offset:         864
        .size:           4
        .value_kind:     hidden_block_count_z
      - .offset:         868
        .size:           2
        .value_kind:     hidden_group_size_x
      - .offset:         870
        .size:           2
        .value_kind:     hidden_group_size_y
      - .offset:         872
        .size:           2
        .value_kind:     hidden_group_size_z
      - .offset:         874
        .size:           2
        .value_kind:     hidden_remainder_x
      - .offset:         876
        .size:           2
        .value_kind:     hidden_remainder_y
      - .offset:         878
        .size:           2
        .value_kind:     hidden_remainder_z
      - .offset:         896
        .size:           8
        .value_kind:     hidden_global_offset_x
      - .offset:         904
        .size:           8
        .value_kind:     hidden_global_offset_y
      - .offset:         912
        .size:           8
        .value_kind:     hidden_global_offset_z
      - .offset:         920
        .size:           2
        .value_kind:     hidden_grid_dims
    .group_segment_fixed_size: 0
    .kernarg_segment_align: 8
    .kernarg_segment_size: 1112
    .language:       OpenCL C
    .language_version:
      - 2
      - 0
    .max_flat_workgroup_size: 128
    .name:           _ZN2at6native16triu_tril_kernelIN3c107complexIdEElLb1ELi1ELb1EEEvNS_4cuda6detail10TensorInfoIT_T0_EENS7_IKS8_S9_EEllS9_
    .private_segment_fixed_size: 0
    .sgpr_count:     77
    .sgpr_spill_count: 0
    .symbol:         _ZN2at6native16triu_tril_kernelIN3c107complexIdEElLb1ELi1ELb1EEEvNS_4cuda6detail10TensorInfoIT_T0_EENS7_IKS8_S9_EEllS9_.kd
    .uniform_work_group_size: 1
    .uses_dynamic_stack: false
    .vgpr_count:     26
    .vgpr_spill_count: 0
    .wavefront_size: 64
  - .args:
      - .offset:         0
        .size:           416
        .value_kind:     by_value
      - .offset:         416
        .size:           416
        .value_kind:     by_value
      - .offset:         832
        .size:           8
        .value_kind:     by_value
      - .offset:         840
        .size:           8
        .value_kind:     by_value
      - .offset:         848
        .size:           8
        .value_kind:     by_value
      - .offset:         856
        .size:           4
        .value_kind:     hidden_block_count_x
      - .offset:         860
        .size:           4
        .value_kind:     hidden_block_count_y
      - .offset:         864
        .size:           4
        .value_kind:     hidden_block_count_z
      - .offset:         868
        .size:           2
        .value_kind:     hidden_group_size_x
      - .offset:         870
        .size:           2
        .value_kind:     hidden_group_size_y
      - .offset:         872
        .size:           2
        .value_kind:     hidden_group_size_z
      - .offset:         874
        .size:           2
        .value_kind:     hidden_remainder_x
      - .offset:         876
        .size:           2
        .value_kind:     hidden_remainder_y
      - .offset:         878
        .size:           2
        .value_kind:     hidden_remainder_z
      - .offset:         896
        .size:           8
        .value_kind:     hidden_global_offset_x
      - .offset:         904
        .size:           8
        .value_kind:     hidden_global_offset_y
      - .offset:         912
        .size:           8
        .value_kind:     hidden_global_offset_z
      - .offset:         920
        .size:           2
        .value_kind:     hidden_grid_dims
    .group_segment_fixed_size: 0
    .kernarg_segment_align: 8
    .kernarg_segment_size: 1112
    .language:       OpenCL C
    .language_version:
      - 2
      - 0
    .max_flat_workgroup_size: 128
    .name:           _ZN2at6native16triu_tril_kernelIN3c107complexIdEElLb1ELi1ELb0EEEvNS_4cuda6detail10TensorInfoIT_T0_EENS7_IKS8_S9_EEllS9_
    .private_segment_fixed_size: 0
    .sgpr_count:     77
    .sgpr_spill_count: 0
    .symbol:         _ZN2at6native16triu_tril_kernelIN3c107complexIdEElLb1ELi1ELb0EEEvNS_4cuda6detail10TensorInfoIT_T0_EENS7_IKS8_S9_EEllS9_.kd
    .uniform_work_group_size: 1
    .uses_dynamic_stack: false
    .vgpr_count:     26
    .vgpr_spill_count: 0
    .wavefront_size: 64
  - .args:
      - .offset:         0
        .size:           216
        .value_kind:     by_value
      - .offset:         216
        .size:           216
        .value_kind:     by_value
      - .offset:         432
        .size:           8
        .value_kind:     by_value
      - .offset:         440
        .size:           8
        .value_kind:     by_value
      - .offset:         448
        .size:           4
        .value_kind:     by_value
      - .offset:         456
        .size:           4
        .value_kind:     hidden_block_count_x
      - .offset:         460
        .size:           4
        .value_kind:     hidden_block_count_y
      - .offset:         464
        .size:           4
        .value_kind:     hidden_block_count_z
      - .offset:         468
        .size:           2
        .value_kind:     hidden_group_size_x
      - .offset:         470
        .size:           2
        .value_kind:     hidden_group_size_y
      - .offset:         472
        .size:           2
        .value_kind:     hidden_group_size_z
      - .offset:         474
        .size:           2
        .value_kind:     hidden_remainder_x
      - .offset:         476
        .size:           2
        .value_kind:     hidden_remainder_y
      - .offset:         478
        .size:           2
        .value_kind:     hidden_remainder_z
      - .offset:         496
        .size:           8
        .value_kind:     hidden_global_offset_x
      - .offset:         504
        .size:           8
        .value_kind:     hidden_global_offset_y
      - .offset:         512
        .size:           8
        .value_kind:     hidden_global_offset_z
      - .offset:         520
        .size:           2
        .value_kind:     hidden_grid_dims
    .group_segment_fixed_size: 0
    .kernarg_segment_align: 8
    .kernarg_segment_size: 712
    .language:       OpenCL C
    .language_version:
      - 2
      - 0
    .max_flat_workgroup_size: 128
    .name:           _ZN2at6native16triu_tril_kernelIN3c107complexIfEEiLb1ELi2ELb1EEEvNS_4cuda6detail10TensorInfoIT_T0_EENS7_IKS8_S9_EEllS9_
    .private_segment_fixed_size: 0
    .sgpr_count:     72
    .sgpr_spill_count: 0
    .symbol:         _ZN2at6native16triu_tril_kernelIN3c107complexIfEEiLb1ELi2ELb1EEEvNS_4cuda6detail10TensorInfoIT_T0_EENS7_IKS8_S9_EEllS9_.kd
    .uniform_work_group_size: 1
    .uses_dynamic_stack: false
    .vgpr_count:     28
    .vgpr_spill_count: 0
    .wavefront_size: 64
  - .args:
      - .offset:         0
        .size:           216
        .value_kind:     by_value
      - .offset:         216
        .size:           216
        .value_kind:     by_value
      - .offset:         432
        .size:           8
        .value_kind:     by_value
      - .offset:         440
        .size:           8
        .value_kind:     by_value
      - .offset:         448
        .size:           4
        .value_kind:     by_value
      - .offset:         456
        .size:           4
        .value_kind:     hidden_block_count_x
      - .offset:         460
        .size:           4
        .value_kind:     hidden_block_count_y
      - .offset:         464
        .size:           4
        .value_kind:     hidden_block_count_z
      - .offset:         468
        .size:           2
        .value_kind:     hidden_group_size_x
      - .offset:         470
        .size:           2
        .value_kind:     hidden_group_size_y
      - .offset:         472
        .size:           2
        .value_kind:     hidden_group_size_z
      - .offset:         474
        .size:           2
        .value_kind:     hidden_remainder_x
      - .offset:         476
        .size:           2
        .value_kind:     hidden_remainder_y
      - .offset:         478
        .size:           2
        .value_kind:     hidden_remainder_z
      - .offset:         496
        .size:           8
        .value_kind:     hidden_global_offset_x
      - .offset:         504
        .size:           8
        .value_kind:     hidden_global_offset_y
      - .offset:         512
        .size:           8
        .value_kind:     hidden_global_offset_z
      - .offset:         520
        .size:           2
        .value_kind:     hidden_grid_dims
    .group_segment_fixed_size: 0
    .kernarg_segment_align: 8
    .kernarg_segment_size: 712
    .language:       OpenCL C
    .language_version:
      - 2
      - 0
    .max_flat_workgroup_size: 128
    .name:           _ZN2at6native16triu_tril_kernelIN3c107complexIfEEiLb1ELi2ELb0EEEvNS_4cuda6detail10TensorInfoIT_T0_EENS7_IKS8_S9_EEllS9_
    .private_segment_fixed_size: 0
    .sgpr_count:     71
    .sgpr_spill_count: 0
    .symbol:         _ZN2at6native16triu_tril_kernelIN3c107complexIfEEiLb1ELi2ELb0EEEvNS_4cuda6detail10TensorInfoIT_T0_EENS7_IKS8_S9_EEllS9_.kd
    .uniform_work_group_size: 1
    .uses_dynamic_stack: false
    .vgpr_count:     22
    .vgpr_spill_count: 0
    .wavefront_size: 64
  - .args:
      - .offset:         0
        .size:           416
        .value_kind:     by_value
      - .offset:         416
        .size:           416
        .value_kind:     by_value
      - .offset:         832
        .size:           8
        .value_kind:     by_value
      - .offset:         840
        .size:           8
        .value_kind:     by_value
      - .offset:         848
        .size:           8
        .value_kind:     by_value
      - .offset:         856
        .size:           4
        .value_kind:     hidden_block_count_x
      - .offset:         860
        .size:           4
        .value_kind:     hidden_block_count_y
      - .offset:         864
        .size:           4
        .value_kind:     hidden_block_count_z
      - .offset:         868
        .size:           2
        .value_kind:     hidden_group_size_x
      - .offset:         870
        .size:           2
        .value_kind:     hidden_group_size_y
      - .offset:         872
        .size:           2
        .value_kind:     hidden_group_size_z
      - .offset:         874
        .size:           2
        .value_kind:     hidden_remainder_x
      - .offset:         876
        .size:           2
        .value_kind:     hidden_remainder_y
      - .offset:         878
        .size:           2
        .value_kind:     hidden_remainder_z
      - .offset:         896
        .size:           8
        .value_kind:     hidden_global_offset_x
      - .offset:         904
        .size:           8
        .value_kind:     hidden_global_offset_y
      - .offset:         912
        .size:           8
        .value_kind:     hidden_global_offset_z
      - .offset:         920
        .size:           2
        .value_kind:     hidden_grid_dims
    .group_segment_fixed_size: 0
    .kernarg_segment_align: 8
    .kernarg_segment_size: 1112
    .language:       OpenCL C
    .language_version:
      - 2
      - 0
    .max_flat_workgroup_size: 128
    .name:           _ZN2at6native16triu_tril_kernelIN3c107complexIfEElLb1ELi2ELb1EEEvNS_4cuda6detail10TensorInfoIT_T0_EENS7_IKS8_S9_EEllS9_
    .private_segment_fixed_size: 0
    .sgpr_count:     79
    .sgpr_spill_count: 0
    .symbol:         _ZN2at6native16triu_tril_kernelIN3c107complexIfEElLb1ELi2ELb1EEEvNS_4cuda6detail10TensorInfoIT_T0_EENS7_IKS8_S9_EEllS9_.kd
    .uniform_work_group_size: 1
    .uses_dynamic_stack: false
    .vgpr_count:     28
    .vgpr_spill_count: 0
    .wavefront_size: 64
  - .args:
      - .offset:         0
        .size:           416
        .value_kind:     by_value
      - .offset:         416
        .size:           416
        .value_kind:     by_value
      - .offset:         832
        .size:           8
        .value_kind:     by_value
      - .offset:         840
        .size:           8
        .value_kind:     by_value
      - .offset:         848
        .size:           8
        .value_kind:     by_value
      - .offset:         856
        .size:           4
        .value_kind:     hidden_block_count_x
      - .offset:         860
        .size:           4
        .value_kind:     hidden_block_count_y
      - .offset:         864
        .size:           4
        .value_kind:     hidden_block_count_z
      - .offset:         868
        .size:           2
        .value_kind:     hidden_group_size_x
      - .offset:         870
        .size:           2
        .value_kind:     hidden_group_size_y
      - .offset:         872
        .size:           2
        .value_kind:     hidden_group_size_z
      - .offset:         874
        .size:           2
        .value_kind:     hidden_remainder_x
      - .offset:         876
        .size:           2
        .value_kind:     hidden_remainder_y
      - .offset:         878
        .size:           2
        .value_kind:     hidden_remainder_z
      - .offset:         896
        .size:           8
        .value_kind:     hidden_global_offset_x
      - .offset:         904
        .size:           8
        .value_kind:     hidden_global_offset_y
      - .offset:         912
        .size:           8
        .value_kind:     hidden_global_offset_z
      - .offset:         920
        .size:           2
        .value_kind:     hidden_grid_dims
    .group_segment_fixed_size: 0
    .kernarg_segment_align: 8
    .kernarg_segment_size: 1112
    .language:       OpenCL C
    .language_version:
      - 2
      - 0
    .max_flat_workgroup_size: 128
    .name:           _ZN2at6native16triu_tril_kernelIN3c107complexIfEElLb1ELi2ELb0EEEvNS_4cuda6detail10TensorInfoIT_T0_EENS7_IKS8_S9_EEllS9_
    .private_segment_fixed_size: 0
    .sgpr_count:     77
    .sgpr_spill_count: 0
    .symbol:         _ZN2at6native16triu_tril_kernelIN3c107complexIfEElLb1ELi2ELb0EEEvNS_4cuda6detail10TensorInfoIT_T0_EENS7_IKS8_S9_EEllS9_.kd
    .uniform_work_group_size: 1
    .uses_dynamic_stack: false
    .vgpr_count:     26
    .vgpr_spill_count: 0
    .wavefront_size: 64
  - .args:
      - .offset:         0
        .size:           216
        .value_kind:     by_value
      - .offset:         216
        .size:           216
        .value_kind:     by_value
      - .offset:         432
        .size:           8
        .value_kind:     by_value
      - .offset:         440
        .size:           8
        .value_kind:     by_value
      - .offset:         448
        .size:           4
        .value_kind:     by_value
      - .offset:         456
        .size:           4
        .value_kind:     hidden_block_count_x
      - .offset:         460
        .size:           4
        .value_kind:     hidden_block_count_y
      - .offset:         464
        .size:           4
        .value_kind:     hidden_block_count_z
      - .offset:         468
        .size:           2
        .value_kind:     hidden_group_size_x
      - .offset:         470
        .size:           2
        .value_kind:     hidden_group_size_y
      - .offset:         472
        .size:           2
        .value_kind:     hidden_group_size_z
      - .offset:         474
        .size:           2
        .value_kind:     hidden_remainder_x
      - .offset:         476
        .size:           2
        .value_kind:     hidden_remainder_y
      - .offset:         478
        .size:           2
        .value_kind:     hidden_remainder_z
      - .offset:         496
        .size:           8
        .value_kind:     hidden_global_offset_x
      - .offset:         504
        .size:           8
        .value_kind:     hidden_global_offset_y
      - .offset:         512
        .size:           8
        .value_kind:     hidden_global_offset_z
      - .offset:         520
        .size:           2
        .value_kind:     hidden_grid_dims
    .group_segment_fixed_size: 0
    .kernarg_segment_align: 8
    .kernarg_segment_size: 712
    .language:       OpenCL C
    .language_version:
      - 2
      - 0
    .max_flat_workgroup_size: 128
    .name:           _ZN2at6native16triu_tril_kernelIN3c107complexINS2_4HalfEEEiLb1ELi2ELb1EEEvNS_4cuda6detail10TensorInfoIT_T0_EENS8_IKS9_SA_EEllSA_
    .private_segment_fixed_size: 0
    .sgpr_count:     72
    .sgpr_spill_count: 0
    .symbol:         _ZN2at6native16triu_tril_kernelIN3c107complexINS2_4HalfEEEiLb1ELi2ELb1EEEvNS_4cuda6detail10TensorInfoIT_T0_EENS8_IKS9_SA_EEllSA_.kd
    .uniform_work_group_size: 1
    .uses_dynamic_stack: false
    .vgpr_count:     28
    .vgpr_spill_count: 0
    .wavefront_size: 64
  - .args:
      - .offset:         0
        .size:           216
        .value_kind:     by_value
      - .offset:         216
        .size:           216
        .value_kind:     by_value
      - .offset:         432
        .size:           8
        .value_kind:     by_value
      - .offset:         440
        .size:           8
        .value_kind:     by_value
      - .offset:         448
        .size:           4
        .value_kind:     by_value
      - .offset:         456
        .size:           4
        .value_kind:     hidden_block_count_x
      - .offset:         460
        .size:           4
        .value_kind:     hidden_block_count_y
      - .offset:         464
        .size:           4
        .value_kind:     hidden_block_count_z
      - .offset:         468
        .size:           2
        .value_kind:     hidden_group_size_x
      - .offset:         470
        .size:           2
        .value_kind:     hidden_group_size_y
      - .offset:         472
        .size:           2
        .value_kind:     hidden_group_size_z
      - .offset:         474
        .size:           2
        .value_kind:     hidden_remainder_x
      - .offset:         476
        .size:           2
        .value_kind:     hidden_remainder_y
      - .offset:         478
        .size:           2
        .value_kind:     hidden_remainder_z
      - .offset:         496
        .size:           8
        .value_kind:     hidden_global_offset_x
      - .offset:         504
        .size:           8
        .value_kind:     hidden_global_offset_y
      - .offset:         512
        .size:           8
        .value_kind:     hidden_global_offset_z
      - .offset:         520
        .size:           2
        .value_kind:     hidden_grid_dims
    .group_segment_fixed_size: 0
    .kernarg_segment_align: 8
    .kernarg_segment_size: 712
    .language:       OpenCL C
    .language_version:
      - 2
      - 0
    .max_flat_workgroup_size: 128
    .name:           _ZN2at6native16triu_tril_kernelIN3c107complexINS2_4HalfEEEiLb1ELi2ELb0EEEvNS_4cuda6detail10TensorInfoIT_T0_EENS8_IKS9_SA_EEllSA_
    .private_segment_fixed_size: 0
    .sgpr_count:     71
    .sgpr_spill_count: 0
    .symbol:         _ZN2at6native16triu_tril_kernelIN3c107complexINS2_4HalfEEEiLb1ELi2ELb0EEEvNS_4cuda6detail10TensorInfoIT_T0_EENS8_IKS9_SA_EEllSA_.kd
    .uniform_work_group_size: 1
    .uses_dynamic_stack: false
    .vgpr_count:     22
    .vgpr_spill_count: 0
    .wavefront_size: 64
  - .args:
      - .offset:         0
        .size:           416
        .value_kind:     by_value
      - .offset:         416
        .size:           416
        .value_kind:     by_value
      - .offset:         832
        .size:           8
        .value_kind:     by_value
      - .offset:         840
        .size:           8
        .value_kind:     by_value
      - .offset:         848
        .size:           8
        .value_kind:     by_value
      - .offset:         856
        .size:           4
        .value_kind:     hidden_block_count_x
      - .offset:         860
        .size:           4
        .value_kind:     hidden_block_count_y
      - .offset:         864
        .size:           4
        .value_kind:     hidden_block_count_z
      - .offset:         868
        .size:           2
        .value_kind:     hidden_group_size_x
      - .offset:         870
        .size:           2
        .value_kind:     hidden_group_size_y
      - .offset:         872
        .size:           2
        .value_kind:     hidden_group_size_z
      - .offset:         874
        .size:           2
        .value_kind:     hidden_remainder_x
      - .offset:         876
        .size:           2
        .value_kind:     hidden_remainder_y
      - .offset:         878
        .size:           2
        .value_kind:     hidden_remainder_z
      - .offset:         896
        .size:           8
        .value_kind:     hidden_global_offset_x
      - .offset:         904
        .size:           8
        .value_kind:     hidden_global_offset_y
      - .offset:         912
        .size:           8
        .value_kind:     hidden_global_offset_z
      - .offset:         920
        .size:           2
        .value_kind:     hidden_grid_dims
    .group_segment_fixed_size: 0
    .kernarg_segment_align: 8
    .kernarg_segment_size: 1112
    .language:       OpenCL C
    .language_version:
      - 2
      - 0
    .max_flat_workgroup_size: 128
    .name:           _ZN2at6native16triu_tril_kernelIN3c107complexINS2_4HalfEEElLb1ELi2ELb1EEEvNS_4cuda6detail10TensorInfoIT_T0_EENS8_IKS9_SA_EEllSA_
    .private_segment_fixed_size: 0
    .sgpr_count:     79
    .sgpr_spill_count: 0
    .symbol:         _ZN2at6native16triu_tril_kernelIN3c107complexINS2_4HalfEEElLb1ELi2ELb1EEEvNS_4cuda6detail10TensorInfoIT_T0_EENS8_IKS9_SA_EEllSA_.kd
    .uniform_work_group_size: 1
    .uses_dynamic_stack: false
    .vgpr_count:     28
    .vgpr_spill_count: 0
    .wavefront_size: 64
  - .args:
      - .offset:         0
        .size:           416
        .value_kind:     by_value
      - .offset:         416
        .size:           416
        .value_kind:     by_value
      - .offset:         832
        .size:           8
        .value_kind:     by_value
      - .offset:         840
        .size:           8
        .value_kind:     by_value
      - .offset:         848
        .size:           8
        .value_kind:     by_value
      - .offset:         856
        .size:           4
        .value_kind:     hidden_block_count_x
      - .offset:         860
        .size:           4
        .value_kind:     hidden_block_count_y
      - .offset:         864
        .size:           4
        .value_kind:     hidden_block_count_z
      - .offset:         868
        .size:           2
        .value_kind:     hidden_group_size_x
      - .offset:         870
        .size:           2
        .value_kind:     hidden_group_size_y
      - .offset:         872
        .size:           2
        .value_kind:     hidden_group_size_z
      - .offset:         874
        .size:           2
        .value_kind:     hidden_remainder_x
      - .offset:         876
        .size:           2
        .value_kind:     hidden_remainder_y
      - .offset:         878
        .size:           2
        .value_kind:     hidden_remainder_z
      - .offset:         896
        .size:           8
        .value_kind:     hidden_global_offset_x
      - .offset:         904
        .size:           8
        .value_kind:     hidden_global_offset_y
      - .offset:         912
        .size:           8
        .value_kind:     hidden_global_offset_z
      - .offset:         920
        .size:           2
        .value_kind:     hidden_grid_dims
    .group_segment_fixed_size: 0
    .kernarg_segment_align: 8
    .kernarg_segment_size: 1112
    .language:       OpenCL C
    .language_version:
      - 2
      - 0
    .max_flat_workgroup_size: 128
    .name:           _ZN2at6native16triu_tril_kernelIN3c107complexINS2_4HalfEEElLb1ELi2ELb0EEEvNS_4cuda6detail10TensorInfoIT_T0_EENS8_IKS9_SA_EEllSA_
    .private_segment_fixed_size: 0
    .sgpr_count:     77
    .sgpr_spill_count: 0
    .symbol:         _ZN2at6native16triu_tril_kernelIN3c107complexINS2_4HalfEEElLb1ELi2ELb0EEEvNS_4cuda6detail10TensorInfoIT_T0_EENS8_IKS9_SA_EEllSA_.kd
    .uniform_work_group_size: 1
    .uses_dynamic_stack: false
    .vgpr_count:     26
    .vgpr_spill_count: 0
    .wavefront_size: 64
  - .args:
      - .offset:         0
        .size:           216
        .value_kind:     by_value
      - .offset:         216
        .size:           216
        .value_kind:     by_value
      - .offset:         432
        .size:           8
        .value_kind:     by_value
      - .offset:         440
        .size:           8
        .value_kind:     by_value
      - .offset:         448
        .size:           4
        .value_kind:     by_value
      - .offset:         456
        .size:           4
        .value_kind:     hidden_block_count_x
      - .offset:         460
        .size:           4
        .value_kind:     hidden_block_count_y
      - .offset:         464
        .size:           4
        .value_kind:     hidden_block_count_z
      - .offset:         468
        .size:           2
        .value_kind:     hidden_group_size_x
      - .offset:         470
        .size:           2
        .value_kind:     hidden_group_size_y
      - .offset:         472
        .size:           2
        .value_kind:     hidden_group_size_z
      - .offset:         474
        .size:           2
        .value_kind:     hidden_remainder_x
      - .offset:         476
        .size:           2
        .value_kind:     hidden_remainder_y
      - .offset:         478
        .size:           2
        .value_kind:     hidden_remainder_z
      - .offset:         496
        .size:           8
        .value_kind:     hidden_global_offset_x
      - .offset:         504
        .size:           8
        .value_kind:     hidden_global_offset_y
      - .offset:         512
        .size:           8
        .value_kind:     hidden_global_offset_z
      - .offset:         520
        .size:           2
        .value_kind:     hidden_grid_dims
    .group_segment_fixed_size: 0
    .kernarg_segment_align: 8
    .kernarg_segment_size: 712
    .language:       OpenCL C
    .language_version:
      - 2
      - 0
    .max_flat_workgroup_size: 128
    .name:           _ZN2at6native16triu_tril_kernelIN3c104HalfEiLb1ELi4ELb1EEEvNS_4cuda6detail10TensorInfoIT_T0_EENS6_IKS7_S8_EEllS8_
    .private_segment_fixed_size: 0
    .sgpr_count:     72
    .sgpr_spill_count: 0
    .symbol:         _ZN2at6native16triu_tril_kernelIN3c104HalfEiLb1ELi4ELb1EEEvNS_4cuda6detail10TensorInfoIT_T0_EENS6_IKS7_S8_EEllS8_.kd
    .uniform_work_group_size: 1
    .uses_dynamic_stack: false
    .vgpr_count:     28
    .vgpr_spill_count: 0
    .wavefront_size: 64
  - .args:
      - .offset:         0
        .size:           216
        .value_kind:     by_value
      - .offset:         216
        .size:           216
        .value_kind:     by_value
      - .offset:         432
        .size:           8
        .value_kind:     by_value
      - .offset:         440
        .size:           8
        .value_kind:     by_value
      - .offset:         448
        .size:           4
        .value_kind:     by_value
      - .offset:         456
        .size:           4
        .value_kind:     hidden_block_count_x
      - .offset:         460
        .size:           4
        .value_kind:     hidden_block_count_y
      - .offset:         464
        .size:           4
        .value_kind:     hidden_block_count_z
      - .offset:         468
        .size:           2
        .value_kind:     hidden_group_size_x
      - .offset:         470
        .size:           2
        .value_kind:     hidden_group_size_y
      - .offset:         472
        .size:           2
        .value_kind:     hidden_group_size_z
      - .offset:         474
        .size:           2
        .value_kind:     hidden_remainder_x
      - .offset:         476
        .size:           2
        .value_kind:     hidden_remainder_y
      - .offset:         478
        .size:           2
        .value_kind:     hidden_remainder_z
      - .offset:         496
        .size:           8
        .value_kind:     hidden_global_offset_x
      - .offset:         504
        .size:           8
        .value_kind:     hidden_global_offset_y
      - .offset:         512
        .size:           8
        .value_kind:     hidden_global_offset_z
      - .offset:         520
        .size:           2
        .value_kind:     hidden_grid_dims
    .group_segment_fixed_size: 0
    .kernarg_segment_align: 8
    .kernarg_segment_size: 712
    .language:       OpenCL C
    .language_version:
      - 2
      - 0
    .max_flat_workgroup_size: 128
    .name:           _ZN2at6native16triu_tril_kernelIN3c104HalfEiLb1ELi4ELb0EEEvNS_4cuda6detail10TensorInfoIT_T0_EENS6_IKS7_S8_EEllS8_
    .private_segment_fixed_size: 0
    .sgpr_count:     73
    .sgpr_spill_count: 0
    .symbol:         _ZN2at6native16triu_tril_kernelIN3c104HalfEiLb1ELi4ELb0EEEvNS_4cuda6detail10TensorInfoIT_T0_EENS6_IKS7_S8_EEllS8_.kd
    .uniform_work_group_size: 1
    .uses_dynamic_stack: false
    .vgpr_count:     22
    .vgpr_spill_count: 0
    .wavefront_size: 64
  - .args:
      - .offset:         0
        .size:           416
        .value_kind:     by_value
      - .offset:         416
        .size:           416
        .value_kind:     by_value
      - .offset:         832
        .size:           8
        .value_kind:     by_value
      - .offset:         840
        .size:           8
        .value_kind:     by_value
      - .offset:         848
        .size:           8
        .value_kind:     by_value
      - .offset:         856
        .size:           4
        .value_kind:     hidden_block_count_x
      - .offset:         860
        .size:           4
        .value_kind:     hidden_block_count_y
      - .offset:         864
        .size:           4
        .value_kind:     hidden_block_count_z
      - .offset:         868
        .size:           2
        .value_kind:     hidden_group_size_x
      - .offset:         870
        .size:           2
        .value_kind:     hidden_group_size_y
      - .offset:         872
        .size:           2
        .value_kind:     hidden_group_size_z
      - .offset:         874
        .size:           2
        .value_kind:     hidden_remainder_x
      - .offset:         876
        .size:           2
        .value_kind:     hidden_remainder_y
      - .offset:         878
        .size:           2
        .value_kind:     hidden_remainder_z
      - .offset:         896
        .size:           8
        .value_kind:     hidden_global_offset_x
      - .offset:         904
        .size:           8
        .value_kind:     hidden_global_offset_y
      - .offset:         912
        .size:           8
        .value_kind:     hidden_global_offset_z
      - .offset:         920
        .size:           2
        .value_kind:     hidden_grid_dims
    .group_segment_fixed_size: 0
    .kernarg_segment_align: 8
    .kernarg_segment_size: 1112
    .language:       OpenCL C
    .language_version:
      - 2
      - 0
    .max_flat_workgroup_size: 128
    .name:           _ZN2at6native16triu_tril_kernelIN3c104HalfElLb1ELi4ELb1EEEvNS_4cuda6detail10TensorInfoIT_T0_EENS6_IKS7_S8_EEllS8_
    .private_segment_fixed_size: 0
    .sgpr_count:     79
    .sgpr_spill_count: 0
    .symbol:         _ZN2at6native16triu_tril_kernelIN3c104HalfElLb1ELi4ELb1EEEvNS_4cuda6detail10TensorInfoIT_T0_EENS6_IKS7_S8_EEllS8_.kd
    .uniform_work_group_size: 1
    .uses_dynamic_stack: false
    .vgpr_count:     28
    .vgpr_spill_count: 0
    .wavefront_size: 64
  - .args:
      - .offset:         0
        .size:           416
        .value_kind:     by_value
      - .offset:         416
        .size:           416
        .value_kind:     by_value
      - .offset:         832
        .size:           8
        .value_kind:     by_value
      - .offset:         840
        .size:           8
        .value_kind:     by_value
      - .offset:         848
        .size:           8
        .value_kind:     by_value
      - .offset:         856
        .size:           4
        .value_kind:     hidden_block_count_x
      - .offset:         860
        .size:           4
        .value_kind:     hidden_block_count_y
      - .offset:         864
        .size:           4
        .value_kind:     hidden_block_count_z
      - .offset:         868
        .size:           2
        .value_kind:     hidden_group_size_x
      - .offset:         870
        .size:           2
        .value_kind:     hidden_group_size_y
      - .offset:         872
        .size:           2
        .value_kind:     hidden_group_size_z
      - .offset:         874
        .size:           2
        .value_kind:     hidden_remainder_x
      - .offset:         876
        .size:           2
        .value_kind:     hidden_remainder_y
      - .offset:         878
        .size:           2
        .value_kind:     hidden_remainder_z
      - .offset:         896
        .size:           8
        .value_kind:     hidden_global_offset_x
      - .offset:         904
        .size:           8
        .value_kind:     hidden_global_offset_y
      - .offset:         912
        .size:           8
        .value_kind:     hidden_global_offset_z
      - .offset:         920
        .size:           2
        .value_kind:     hidden_grid_dims
    .group_segment_fixed_size: 0
    .kernarg_segment_align: 8
    .kernarg_segment_size: 1112
    .language:       OpenCL C
    .language_version:
      - 2
      - 0
    .max_flat_workgroup_size: 128
    .name:           _ZN2at6native16triu_tril_kernelIN3c104HalfElLb1ELi4ELb0EEEvNS_4cuda6detail10TensorInfoIT_T0_EENS6_IKS7_S8_EEllS8_
    .private_segment_fixed_size: 0
    .sgpr_count:     85
    .sgpr_spill_count: 0
    .symbol:         _ZN2at6native16triu_tril_kernelIN3c104HalfElLb1ELi4ELb0EEEvNS_4cuda6detail10TensorInfoIT_T0_EENS6_IKS7_S8_EEllS8_.kd
    .uniform_work_group_size: 1
    .uses_dynamic_stack: false
    .vgpr_count:     26
    .vgpr_spill_count: 0
    .wavefront_size: 64
  - .args:
      - .offset:         0
        .size:           216
        .value_kind:     by_value
      - .offset:         216
        .size:           216
        .value_kind:     by_value
      - .offset:         432
        .size:           8
        .value_kind:     by_value
      - .offset:         440
        .size:           8
        .value_kind:     by_value
      - .offset:         448
        .size:           4
        .value_kind:     by_value
      - .offset:         456
        .size:           4
        .value_kind:     hidden_block_count_x
      - .offset:         460
        .size:           4
        .value_kind:     hidden_block_count_y
      - .offset:         464
        .size:           4
        .value_kind:     hidden_block_count_z
      - .offset:         468
        .size:           2
        .value_kind:     hidden_group_size_x
      - .offset:         470
        .size:           2
        .value_kind:     hidden_group_size_y
      - .offset:         472
        .size:           2
        .value_kind:     hidden_group_size_z
      - .offset:         474
        .size:           2
        .value_kind:     hidden_remainder_x
      - .offset:         476
        .size:           2
        .value_kind:     hidden_remainder_y
      - .offset:         478
        .size:           2
        .value_kind:     hidden_remainder_z
      - .offset:         496
        .size:           8
        .value_kind:     hidden_global_offset_x
      - .offset:         504
        .size:           8
        .value_kind:     hidden_global_offset_y
      - .offset:         512
        .size:           8
        .value_kind:     hidden_global_offset_z
      - .offset:         520
        .size:           2
        .value_kind:     hidden_grid_dims
    .group_segment_fixed_size: 0
    .kernarg_segment_align: 8
    .kernarg_segment_size: 712
    .language:       OpenCL C
    .language_version:
      - 2
      - 0
    .max_flat_workgroup_size: 128
    .name:           _ZN2at6native16triu_tril_kernelIN3c108BFloat16EiLb1ELi4ELb1EEEvNS_4cuda6detail10TensorInfoIT_T0_EENS6_IKS7_S8_EEllS8_
    .private_segment_fixed_size: 0
    .sgpr_count:     72
    .sgpr_spill_count: 0
    .symbol:         _ZN2at6native16triu_tril_kernelIN3c108BFloat16EiLb1ELi4ELb1EEEvNS_4cuda6detail10TensorInfoIT_T0_EENS6_IKS7_S8_EEllS8_.kd
    .uniform_work_group_size: 1
    .uses_dynamic_stack: false
    .vgpr_count:     28
    .vgpr_spill_count: 0
    .wavefront_size: 64
  - .args:
      - .offset:         0
        .size:           216
        .value_kind:     by_value
      - .offset:         216
        .size:           216
        .value_kind:     by_value
      - .offset:         432
        .size:           8
        .value_kind:     by_value
      - .offset:         440
        .size:           8
        .value_kind:     by_value
      - .offset:         448
        .size:           4
        .value_kind:     by_value
      - .offset:         456
        .size:           4
        .value_kind:     hidden_block_count_x
      - .offset:         460
        .size:           4
        .value_kind:     hidden_block_count_y
      - .offset:         464
        .size:           4
        .value_kind:     hidden_block_count_z
      - .offset:         468
        .size:           2
        .value_kind:     hidden_group_size_x
      - .offset:         470
        .size:           2
        .value_kind:     hidden_group_size_y
      - .offset:         472
        .size:           2
        .value_kind:     hidden_group_size_z
      - .offset:         474
        .size:           2
        .value_kind:     hidden_remainder_x
      - .offset:         476
        .size:           2
        .value_kind:     hidden_remainder_y
      - .offset:         478
        .size:           2
        .value_kind:     hidden_remainder_z
      - .offset:         496
        .size:           8
        .value_kind:     hidden_global_offset_x
      - .offset:         504
        .size:           8
        .value_kind:     hidden_global_offset_y
      - .offset:         512
        .size:           8
        .value_kind:     hidden_global_offset_z
      - .offset:         520
        .size:           2
        .value_kind:     hidden_grid_dims
    .group_segment_fixed_size: 0
    .kernarg_segment_align: 8
    .kernarg_segment_size: 712
    .language:       OpenCL C
    .language_version:
      - 2
      - 0
    .max_flat_workgroup_size: 128
    .name:           _ZN2at6native16triu_tril_kernelIN3c108BFloat16EiLb1ELi4ELb0EEEvNS_4cuda6detail10TensorInfoIT_T0_EENS6_IKS7_S8_EEllS8_
    .private_segment_fixed_size: 0
    .sgpr_count:     73
    .sgpr_spill_count: 0
    .symbol:         _ZN2at6native16triu_tril_kernelIN3c108BFloat16EiLb1ELi4ELb0EEEvNS_4cuda6detail10TensorInfoIT_T0_EENS6_IKS7_S8_EEllS8_.kd
    .uniform_work_group_size: 1
    .uses_dynamic_stack: false
    .vgpr_count:     22
    .vgpr_spill_count: 0
    .wavefront_size: 64
  - .args:
      - .offset:         0
        .size:           416
        .value_kind:     by_value
      - .offset:         416
        .size:           416
        .value_kind:     by_value
      - .offset:         832
        .size:           8
        .value_kind:     by_value
      - .offset:         840
        .size:           8
        .value_kind:     by_value
      - .offset:         848
        .size:           8
        .value_kind:     by_value
      - .offset:         856
        .size:           4
        .value_kind:     hidden_block_count_x
      - .offset:         860
        .size:           4
        .value_kind:     hidden_block_count_y
      - .offset:         864
        .size:           4
        .value_kind:     hidden_block_count_z
      - .offset:         868
        .size:           2
        .value_kind:     hidden_group_size_x
      - .offset:         870
        .size:           2
        .value_kind:     hidden_group_size_y
      - .offset:         872
        .size:           2
        .value_kind:     hidden_group_size_z
      - .offset:         874
        .size:           2
        .value_kind:     hidden_remainder_x
      - .offset:         876
        .size:           2
        .value_kind:     hidden_remainder_y
      - .offset:         878
        .size:           2
        .value_kind:     hidden_remainder_z
      - .offset:         896
        .size:           8
        .value_kind:     hidden_global_offset_x
      - .offset:         904
        .size:           8
        .value_kind:     hidden_global_offset_y
      - .offset:         912
        .size:           8
        .value_kind:     hidden_global_offset_z
      - .offset:         920
        .size:           2
        .value_kind:     hidden_grid_dims
    .group_segment_fixed_size: 0
    .kernarg_segment_align: 8
    .kernarg_segment_size: 1112
    .language:       OpenCL C
    .language_version:
      - 2
      - 0
    .max_flat_workgroup_size: 128
    .name:           _ZN2at6native16triu_tril_kernelIN3c108BFloat16ElLb1ELi4ELb1EEEvNS_4cuda6detail10TensorInfoIT_T0_EENS6_IKS7_S8_EEllS8_
    .private_segment_fixed_size: 0
    .sgpr_count:     79
    .sgpr_spill_count: 0
    .symbol:         _ZN2at6native16triu_tril_kernelIN3c108BFloat16ElLb1ELi4ELb1EEEvNS_4cuda6detail10TensorInfoIT_T0_EENS6_IKS7_S8_EEllS8_.kd
    .uniform_work_group_size: 1
    .uses_dynamic_stack: false
    .vgpr_count:     28
    .vgpr_spill_count: 0
    .wavefront_size: 64
  - .args:
      - .offset:         0
        .size:           416
        .value_kind:     by_value
      - .offset:         416
        .size:           416
        .value_kind:     by_value
      - .offset:         832
        .size:           8
        .value_kind:     by_value
      - .offset:         840
        .size:           8
        .value_kind:     by_value
      - .offset:         848
        .size:           8
        .value_kind:     by_value
      - .offset:         856
        .size:           4
        .value_kind:     hidden_block_count_x
      - .offset:         860
        .size:           4
        .value_kind:     hidden_block_count_y
      - .offset:         864
        .size:           4
        .value_kind:     hidden_block_count_z
      - .offset:         868
        .size:           2
        .value_kind:     hidden_group_size_x
      - .offset:         870
        .size:           2
        .value_kind:     hidden_group_size_y
      - .offset:         872
        .size:           2
        .value_kind:     hidden_group_size_z
      - .offset:         874
        .size:           2
        .value_kind:     hidden_remainder_x
      - .offset:         876
        .size:           2
        .value_kind:     hidden_remainder_y
      - .offset:         878
        .size:           2
        .value_kind:     hidden_remainder_z
      - .offset:         896
        .size:           8
        .value_kind:     hidden_global_offset_x
      - .offset:         904
        .size:           8
        .value_kind:     hidden_global_offset_y
      - .offset:         912
        .size:           8
        .value_kind:     hidden_global_offset_z
      - .offset:         920
        .size:           2
        .value_kind:     hidden_grid_dims
    .group_segment_fixed_size: 0
    .kernarg_segment_align: 8
    .kernarg_segment_size: 1112
    .language:       OpenCL C
    .language_version:
      - 2
      - 0
    .max_flat_workgroup_size: 128
    .name:           _ZN2at6native16triu_tril_kernelIN3c108BFloat16ElLb1ELi4ELb0EEEvNS_4cuda6detail10TensorInfoIT_T0_EENS6_IKS7_S8_EEllS8_
    .private_segment_fixed_size: 0
    .sgpr_count:     85
    .sgpr_spill_count: 0
    .symbol:         _ZN2at6native16triu_tril_kernelIN3c108BFloat16ElLb1ELi4ELb0EEEvNS_4cuda6detail10TensorInfoIT_T0_EENS6_IKS7_S8_EEllS8_.kd
    .uniform_work_group_size: 1
    .uses_dynamic_stack: false
    .vgpr_count:     26
    .vgpr_spill_count: 0
    .wavefront_size: 64
  - .args:
      - .offset:         0
        .size:           216
        .value_kind:     by_value
      - .offset:         216
        .size:           216
        .value_kind:     by_value
      - .offset:         432
        .size:           8
        .value_kind:     by_value
      - .offset:         440
        .size:           8
        .value_kind:     by_value
      - .offset:         448
        .size:           4
        .value_kind:     by_value
      - .offset:         456
        .size:           4
        .value_kind:     hidden_block_count_x
      - .offset:         460
        .size:           4
        .value_kind:     hidden_block_count_y
      - .offset:         464
        .size:           4
        .value_kind:     hidden_block_count_z
      - .offset:         468
        .size:           2
        .value_kind:     hidden_group_size_x
      - .offset:         470
        .size:           2
        .value_kind:     hidden_group_size_y
      - .offset:         472
        .size:           2
        .value_kind:     hidden_group_size_z
      - .offset:         474
        .size:           2
        .value_kind:     hidden_remainder_x
      - .offset:         476
        .size:           2
        .value_kind:     hidden_remainder_y
      - .offset:         478
        .size:           2
        .value_kind:     hidden_remainder_z
      - .offset:         496
        .size:           8
        .value_kind:     hidden_global_offset_x
      - .offset:         504
        .size:           8
        .value_kind:     hidden_global_offset_y
      - .offset:         512
        .size:           8
        .value_kind:     hidden_global_offset_z
      - .offset:         520
        .size:           2
        .value_kind:     hidden_grid_dims
    .group_segment_fixed_size: 0
    .kernarg_segment_align: 8
    .kernarg_segment_size: 712
    .language:       OpenCL C
    .language_version:
      - 2
      - 0
    .max_flat_workgroup_size: 128
    .name:           _ZN2at6native16triu_tril_kernelIbiLb1ELi4ELb1EEEvNS_4cuda6detail10TensorInfoIT_T0_EENS4_IKS5_S6_EEllS6_
    .private_segment_fixed_size: 0
    .sgpr_count:     72
    .sgpr_spill_count: 0
    .symbol:         _ZN2at6native16triu_tril_kernelIbiLb1ELi4ELb1EEEvNS_4cuda6detail10TensorInfoIT_T0_EENS4_IKS5_S6_EEllS6_.kd
    .uniform_work_group_size: 1
    .uses_dynamic_stack: false
    .vgpr_count:     28
    .vgpr_spill_count: 0
    .wavefront_size: 64
  - .args:
      - .offset:         0
        .size:           216
        .value_kind:     by_value
      - .offset:         216
        .size:           216
        .value_kind:     by_value
      - .offset:         432
        .size:           8
        .value_kind:     by_value
      - .offset:         440
        .size:           8
        .value_kind:     by_value
      - .offset:         448
        .size:           4
        .value_kind:     by_value
      - .offset:         456
        .size:           4
        .value_kind:     hidden_block_count_x
      - .offset:         460
        .size:           4
        .value_kind:     hidden_block_count_y
      - .offset:         464
        .size:           4
        .value_kind:     hidden_block_count_z
      - .offset:         468
        .size:           2
        .value_kind:     hidden_group_size_x
      - .offset:         470
        .size:           2
        .value_kind:     hidden_group_size_y
      - .offset:         472
        .size:           2
        .value_kind:     hidden_group_size_z
      - .offset:         474
        .size:           2
        .value_kind:     hidden_remainder_x
      - .offset:         476
        .size:           2
        .value_kind:     hidden_remainder_y
      - .offset:         478
        .size:           2
        .value_kind:     hidden_remainder_z
      - .offset:         496
        .size:           8
        .value_kind:     hidden_global_offset_x
      - .offset:         504
        .size:           8
        .value_kind:     hidden_global_offset_y
      - .offset:         512
        .size:           8
        .value_kind:     hidden_global_offset_z
      - .offset:         520
        .size:           2
        .value_kind:     hidden_grid_dims
    .group_segment_fixed_size: 0
    .kernarg_segment_align: 8
    .kernarg_segment_size: 712
    .language:       OpenCL C
    .language_version:
      - 2
      - 0
    .max_flat_workgroup_size: 128
    .name:           _ZN2at6native16triu_tril_kernelIbiLb1ELi4ELb0EEEvNS_4cuda6detail10TensorInfoIT_T0_EENS4_IKS5_S6_EEllS6_
    .private_segment_fixed_size: 0
    .sgpr_count:     73
    .sgpr_spill_count: 0
    .symbol:         _ZN2at6native16triu_tril_kernelIbiLb1ELi4ELb0EEEvNS_4cuda6detail10TensorInfoIT_T0_EENS4_IKS5_S6_EEllS6_.kd
    .uniform_work_group_size: 1
    .uses_dynamic_stack: false
    .vgpr_count:     22
    .vgpr_spill_count: 0
    .wavefront_size: 64
  - .args:
      - .offset:         0
        .size:           416
        .value_kind:     by_value
      - .offset:         416
        .size:           416
        .value_kind:     by_value
      - .offset:         832
        .size:           8
        .value_kind:     by_value
      - .offset:         840
        .size:           8
        .value_kind:     by_value
      - .offset:         848
        .size:           8
        .value_kind:     by_value
      - .offset:         856
        .size:           4
        .value_kind:     hidden_block_count_x
      - .offset:         860
        .size:           4
        .value_kind:     hidden_block_count_y
      - .offset:         864
        .size:           4
        .value_kind:     hidden_block_count_z
      - .offset:         868
        .size:           2
        .value_kind:     hidden_group_size_x
      - .offset:         870
        .size:           2
        .value_kind:     hidden_group_size_y
      - .offset:         872
        .size:           2
        .value_kind:     hidden_group_size_z
      - .offset:         874
        .size:           2
        .value_kind:     hidden_remainder_x
      - .offset:         876
        .size:           2
        .value_kind:     hidden_remainder_y
      - .offset:         878
        .size:           2
        .value_kind:     hidden_remainder_z
      - .offset:         896
        .size:           8
        .value_kind:     hidden_global_offset_x
      - .offset:         904
        .size:           8
        .value_kind:     hidden_global_offset_y
      - .offset:         912
        .size:           8
        .value_kind:     hidden_global_offset_z
      - .offset:         920
        .size:           2
        .value_kind:     hidden_grid_dims
    .group_segment_fixed_size: 0
    .kernarg_segment_align: 8
    .kernarg_segment_size: 1112
    .language:       OpenCL C
    .language_version:
      - 2
      - 0
    .max_flat_workgroup_size: 128
    .name:           _ZN2at6native16triu_tril_kernelIblLb1ELi4ELb1EEEvNS_4cuda6detail10TensorInfoIT_T0_EENS4_IKS5_S6_EEllS6_
    .private_segment_fixed_size: 0
    .sgpr_count:     79
    .sgpr_spill_count: 0
    .symbol:         _ZN2at6native16triu_tril_kernelIblLb1ELi4ELb1EEEvNS_4cuda6detail10TensorInfoIT_T0_EENS4_IKS5_S6_EEllS6_.kd
    .uniform_work_group_size: 1
    .uses_dynamic_stack: false
    .vgpr_count:     28
    .vgpr_spill_count: 0
    .wavefront_size: 64
  - .args:
      - .offset:         0
        .size:           416
        .value_kind:     by_value
      - .offset:         416
        .size:           416
        .value_kind:     by_value
      - .offset:         832
        .size:           8
        .value_kind:     by_value
      - .offset:         840
        .size:           8
        .value_kind:     by_value
      - .offset:         848
        .size:           8
        .value_kind:     by_value
      - .offset:         856
        .size:           4
        .value_kind:     hidden_block_count_x
      - .offset:         860
        .size:           4
        .value_kind:     hidden_block_count_y
      - .offset:         864
        .size:           4
        .value_kind:     hidden_block_count_z
      - .offset:         868
        .size:           2
        .value_kind:     hidden_group_size_x
      - .offset:         870
        .size:           2
        .value_kind:     hidden_group_size_y
      - .offset:         872
        .size:           2
        .value_kind:     hidden_group_size_z
      - .offset:         874
        .size:           2
        .value_kind:     hidden_remainder_x
      - .offset:         876
        .size:           2
        .value_kind:     hidden_remainder_y
      - .offset:         878
        .size:           2
        .value_kind:     hidden_remainder_z
      - .offset:         896
        .size:           8
        .value_kind:     hidden_global_offset_x
      - .offset:         904
        .size:           8
        .value_kind:     hidden_global_offset_y
      - .offset:         912
        .size:           8
        .value_kind:     hidden_global_offset_z
      - .offset:         920
        .size:           2
        .value_kind:     hidden_grid_dims
    .group_segment_fixed_size: 0
    .kernarg_segment_align: 8
    .kernarg_segment_size: 1112
    .language:       OpenCL C
    .language_version:
      - 2
      - 0
    .max_flat_workgroup_size: 128
    .name:           _ZN2at6native16triu_tril_kernelIblLb1ELi4ELb0EEEvNS_4cuda6detail10TensorInfoIT_T0_EENS4_IKS5_S6_EEllS6_
    .private_segment_fixed_size: 0
    .sgpr_count:     77
    .sgpr_spill_count: 0
    .symbol:         _ZN2at6native16triu_tril_kernelIblLb1ELi4ELb0EEEvNS_4cuda6detail10TensorInfoIT_T0_EENS4_IKS5_S6_EEllS6_.kd
    .uniform_work_group_size: 1
    .uses_dynamic_stack: false
    .vgpr_count:     26
    .vgpr_spill_count: 0
    .wavefront_size: 64
amdhsa.target:   amdgcn-amd-amdhsa--gfx906
amdhsa.version:
  - 1
  - 2
...

	.end_amdgpu_metadata
